;; amdgpu-corpus repo=ROCm/rocSPARSE kind=compiled arch=gfx1100 opt=O3
	.text
	.amdgcn_target "amdgcn-amd-amdhsa--gfx1100"
	.amdhsa_code_object_version 6
	.section	.text._ZN9rocsparseL25csrgemm_max_row_nnz_part1ILj256EiiEEvT1_PKT0_PS1_,"axG",@progbits,_ZN9rocsparseL25csrgemm_max_row_nnz_part1ILj256EiiEEvT1_PKT0_PS1_,comdat
	.globl	_ZN9rocsparseL25csrgemm_max_row_nnz_part1ILj256EiiEEvT1_PKT0_PS1_ ; -- Begin function _ZN9rocsparseL25csrgemm_max_row_nnz_part1ILj256EiiEEvT1_PKT0_PS1_
	.p2align	8
	.type	_ZN9rocsparseL25csrgemm_max_row_nnz_part1ILj256EiiEEvT1_PKT0_PS1_,@function
_ZN9rocsparseL25csrgemm_max_row_nnz_part1ILj256EiiEEvT1_PKT0_PS1_: ; @_ZN9rocsparseL25csrgemm_max_row_nnz_part1ILj256EiiEEvT1_PKT0_PS1_
; %bb.0:
	s_clause 0x1
	s_load_b32 s3, s[0:1], 0x0
	s_load_b64 s[4:5], s[0:1], 0x10
	s_mov_b32 s2, s15
	v_mov_b32_e32 v3, 0
	v_lshl_or_b32 v1, s2, 8, v0
	s_mov_b32 s6, exec_lo
	s_waitcnt lgkmcnt(0)
	s_delay_alu instid0(VALU_DEP_1)
	v_cmpx_gt_i32_e64 s3, v1
	s_cbranch_execz .LBB0_4
; %bb.1:
	s_clause 0x1
	s_load_b32 s7, s[0:1], 0x18
	s_load_b64 s[0:1], s[0:1], 0x8
	v_mov_b32_e32 v3, 0
	s_waitcnt lgkmcnt(0)
	s_lshl_b32 s8, s7, 8
	s_mov_b32 s7, 0
.LBB0_2:                                ; =>This Inner Loop Header: Depth=1
	v_ashrrev_i32_e32 v2, 31, v1
	s_delay_alu instid0(VALU_DEP_1) | instskip(SKIP_1) | instid1(VALU_DEP_2)
	v_lshlrev_b64 v[4:5], 2, v[1:2]
	v_add_nc_u32_e32 v1, s8, v1
	v_add_co_u32 v4, vcc_lo, s0, v4
	s_delay_alu instid0(VALU_DEP_3) | instskip(NEXT) | instid1(VALU_DEP_3)
	v_add_co_ci_u32_e32 v5, vcc_lo, s1, v5, vcc_lo
	v_cmp_le_i32_e32 vcc_lo, s3, v1
	global_load_b64 v[4:5], v[4:5], off
	s_or_b32 s7, vcc_lo, s7
	s_waitcnt vmcnt(0)
	v_sub_nc_u32_e32 v2, v5, v4
	s_delay_alu instid0(VALU_DEP_1)
	v_max_i32_e32 v3, v3, v2
	s_and_not1_b32 exec_lo, exec_lo, s7
	s_cbranch_execnz .LBB0_2
; %bb.3:
	s_or_b32 exec_lo, exec_lo, s7
.LBB0_4:
	s_delay_alu instid0(SALU_CYCLE_1)
	s_or_b32 exec_lo, exec_lo, s6
	v_lshlrev_b32_e32 v1, 2, v0
	s_mov_b32 s0, exec_lo
	ds_store_b32 v1, v3
	s_waitcnt lgkmcnt(0)
	s_barrier
	buffer_gl0_inv
	v_cmpx_gt_u32_e32 0x80, v0
	s_cbranch_execz .LBB0_6
; %bb.5:
	ds_load_2addr_stride64_b32 v[2:3], v1 offset1:2
	s_waitcnt lgkmcnt(0)
	v_max_i32_e32 v2, v2, v3
	ds_store_b32 v1, v2
.LBB0_6:
	s_or_b32 exec_lo, exec_lo, s0
	s_delay_alu instid0(SALU_CYCLE_1)
	s_mov_b32 s0, exec_lo
	s_waitcnt lgkmcnt(0)
	s_barrier
	buffer_gl0_inv
	v_cmpx_gt_u32_e32 64, v0
	s_cbranch_execz .LBB0_8
; %bb.7:
	ds_load_2addr_stride64_b32 v[2:3], v1 offset1:1
	s_waitcnt lgkmcnt(0)
	v_max_i32_e32 v2, v2, v3
	ds_store_b32 v1, v2
.LBB0_8:
	s_or_b32 exec_lo, exec_lo, s0
	s_delay_alu instid0(SALU_CYCLE_1)
	s_mov_b32 s0, exec_lo
	s_waitcnt lgkmcnt(0)
	s_barrier
	buffer_gl0_inv
	v_cmpx_gt_u32_e32 32, v0
	s_cbranch_execz .LBB0_10
; %bb.9:
	ds_load_2addr_b32 v[2:3], v1 offset1:32
	s_waitcnt lgkmcnt(0)
	v_max_i32_e32 v2, v2, v3
	ds_store_b32 v1, v2
.LBB0_10:
	s_or_b32 exec_lo, exec_lo, s0
	s_delay_alu instid0(SALU_CYCLE_1)
	s_mov_b32 s0, exec_lo
	s_waitcnt lgkmcnt(0)
	s_barrier
	buffer_gl0_inv
	v_cmpx_gt_u32_e32 16, v0
	s_cbranch_execz .LBB0_12
; %bb.11:
	ds_load_2addr_b32 v[2:3], v1 offset1:16
	s_waitcnt lgkmcnt(0)
	v_max_i32_e32 v2, v2, v3
	ds_store_b32 v1, v2
.LBB0_12:
	s_or_b32 exec_lo, exec_lo, s0
	s_delay_alu instid0(SALU_CYCLE_1)
	s_mov_b32 s0, exec_lo
	s_waitcnt lgkmcnt(0)
	s_barrier
	buffer_gl0_inv
	v_cmpx_gt_u32_e32 8, v0
	s_cbranch_execz .LBB0_14
; %bb.13:
	ds_load_2addr_b32 v[2:3], v1 offset1:8
	s_waitcnt lgkmcnt(0)
	v_max_i32_e32 v2, v2, v3
	ds_store_b32 v1, v2
.LBB0_14:
	s_or_b32 exec_lo, exec_lo, s0
	s_delay_alu instid0(SALU_CYCLE_1)
	s_mov_b32 s0, exec_lo
	s_waitcnt lgkmcnt(0)
	s_barrier
	buffer_gl0_inv
	v_cmpx_gt_u32_e32 4, v0
	s_cbranch_execz .LBB0_16
; %bb.15:
	ds_load_2addr_b32 v[2:3], v1 offset1:4
	s_waitcnt lgkmcnt(0)
	v_max_i32_e32 v2, v2, v3
	ds_store_b32 v1, v2
.LBB0_16:
	s_or_b32 exec_lo, exec_lo, s0
	s_delay_alu instid0(SALU_CYCLE_1)
	s_mov_b32 s0, exec_lo
	s_waitcnt lgkmcnt(0)
	s_barrier
	buffer_gl0_inv
	v_cmpx_gt_u32_e32 2, v0
	s_cbranch_execz .LBB0_18
; %bb.17:
	ds_load_2addr_b32 v[2:3], v1 offset1:2
	s_waitcnt lgkmcnt(0)
	v_max_i32_e32 v2, v2, v3
	ds_store_b32 v1, v2
.LBB0_18:
	s_or_b32 exec_lo, exec_lo, s0
	v_cmp_eq_u32_e32 vcc_lo, 0, v0
	s_waitcnt lgkmcnt(0)
	s_barrier
	buffer_gl0_inv
	s_and_saveexec_b32 s0, vcc_lo
	s_cbranch_execz .LBB0_20
; %bb.19:
	v_mov_b32_e32 v2, 0
	ds_load_b64 v[0:1], v2
	s_waitcnt lgkmcnt(0)
	v_max_i32_e32 v0, v0, v1
	ds_store_b32 v2, v0
.LBB0_20:
	s_or_b32 exec_lo, exec_lo, s0
	s_waitcnt lgkmcnt(0)
	s_barrier
	buffer_gl0_inv
	s_and_saveexec_b32 s0, vcc_lo
	s_cbranch_execz .LBB0_22
; %bb.21:
	v_mov_b32_e32 v0, 0
	s_mov_b32 s3, 0
	s_delay_alu instid0(SALU_CYCLE_1) | instskip(NEXT) | instid1(SALU_CYCLE_1)
	s_lshl_b64 s[0:1], s[2:3], 2
	s_add_u32 s0, s4, s0
	ds_load_b32 v1, v0
	s_addc_u32 s1, s5, s1
	s_waitcnt lgkmcnt(0)
	global_store_b32 v0, v1, s[0:1]
.LBB0_22:
	s_nop 0
	s_sendmsg sendmsg(MSG_DEALLOC_VGPRS)
	s_endpgm
	.section	.rodata,"a",@progbits
	.p2align	6, 0x0
	.amdhsa_kernel _ZN9rocsparseL25csrgemm_max_row_nnz_part1ILj256EiiEEvT1_PKT0_PS1_
		.amdhsa_group_segment_fixed_size 1024
		.amdhsa_private_segment_fixed_size 0
		.amdhsa_kernarg_size 280
		.amdhsa_user_sgpr_count 15
		.amdhsa_user_sgpr_dispatch_ptr 0
		.amdhsa_user_sgpr_queue_ptr 0
		.amdhsa_user_sgpr_kernarg_segment_ptr 1
		.amdhsa_user_sgpr_dispatch_id 0
		.amdhsa_user_sgpr_private_segment_size 0
		.amdhsa_wavefront_size32 1
		.amdhsa_uses_dynamic_stack 0
		.amdhsa_enable_private_segment 0
		.amdhsa_system_sgpr_workgroup_id_x 1
		.amdhsa_system_sgpr_workgroup_id_y 0
		.amdhsa_system_sgpr_workgroup_id_z 0
		.amdhsa_system_sgpr_workgroup_info 0
		.amdhsa_system_vgpr_workitem_id 0
		.amdhsa_next_free_vgpr 6
		.amdhsa_next_free_sgpr 16
		.amdhsa_reserve_vcc 1
		.amdhsa_float_round_mode_32 0
		.amdhsa_float_round_mode_16_64 0
		.amdhsa_float_denorm_mode_32 3
		.amdhsa_float_denorm_mode_16_64 3
		.amdhsa_dx10_clamp 1
		.amdhsa_ieee_mode 1
		.amdhsa_fp16_overflow 0
		.amdhsa_workgroup_processor_mode 1
		.amdhsa_memory_ordered 1
		.amdhsa_forward_progress 0
		.amdhsa_shared_vgpr_count 0
		.amdhsa_exception_fp_ieee_invalid_op 0
		.amdhsa_exception_fp_denorm_src 0
		.amdhsa_exception_fp_ieee_div_zero 0
		.amdhsa_exception_fp_ieee_overflow 0
		.amdhsa_exception_fp_ieee_underflow 0
		.amdhsa_exception_fp_ieee_inexact 0
		.amdhsa_exception_int_div_zero 0
	.end_amdhsa_kernel
	.section	.text._ZN9rocsparseL25csrgemm_max_row_nnz_part1ILj256EiiEEvT1_PKT0_PS1_,"axG",@progbits,_ZN9rocsparseL25csrgemm_max_row_nnz_part1ILj256EiiEEvT1_PKT0_PS1_,comdat
.Lfunc_end0:
	.size	_ZN9rocsparseL25csrgemm_max_row_nnz_part1ILj256EiiEEvT1_PKT0_PS1_, .Lfunc_end0-_ZN9rocsparseL25csrgemm_max_row_nnz_part1ILj256EiiEEvT1_PKT0_PS1_
                                        ; -- End function
	.section	.AMDGPU.csdata,"",@progbits
; Kernel info:
; codeLenInByte = 756
; NumSgprs: 18
; NumVgprs: 6
; ScratchSize: 0
; MemoryBound: 0
; FloatMode: 240
; IeeeMode: 1
; LDSByteSize: 1024 bytes/workgroup (compile time only)
; SGPRBlocks: 2
; VGPRBlocks: 0
; NumSGPRsForWavesPerEU: 18
; NumVGPRsForWavesPerEU: 6
; Occupancy: 16
; WaveLimiterHint : 0
; COMPUTE_PGM_RSRC2:SCRATCH_EN: 0
; COMPUTE_PGM_RSRC2:USER_SGPR: 15
; COMPUTE_PGM_RSRC2:TRAP_HANDLER: 0
; COMPUTE_PGM_RSRC2:TGID_X_EN: 1
; COMPUTE_PGM_RSRC2:TGID_Y_EN: 0
; COMPUTE_PGM_RSRC2:TGID_Z_EN: 0
; COMPUTE_PGM_RSRC2:TIDIG_COMP_CNT: 0
	.section	.text._ZN9rocsparseL25csrgemm_max_row_nnz_part2ILj256EiEEvPT0_,"axG",@progbits,_ZN9rocsparseL25csrgemm_max_row_nnz_part2ILj256EiEEvPT0_,comdat
	.globl	_ZN9rocsparseL25csrgemm_max_row_nnz_part2ILj256EiEEvPT0_ ; -- Begin function _ZN9rocsparseL25csrgemm_max_row_nnz_part2ILj256EiEEvPT0_
	.p2align	8
	.type	_ZN9rocsparseL25csrgemm_max_row_nnz_part2ILj256EiEEvPT0_,@function
_ZN9rocsparseL25csrgemm_max_row_nnz_part2ILj256EiEEvPT0_: ; @_ZN9rocsparseL25csrgemm_max_row_nnz_part2ILj256EiEEvPT0_
; %bb.0:
	s_load_b64 s[0:1], s[0:1], 0x0
	v_lshlrev_b32_e32 v1, 2, v0
	s_mov_b32 s2, exec_lo
	s_waitcnt lgkmcnt(0)
	global_load_b32 v2, v1, s[0:1]
	s_waitcnt vmcnt(0)
	ds_store_b32 v1, v2
	s_waitcnt lgkmcnt(0)
	s_barrier
	buffer_gl0_inv
	v_cmpx_gt_u32_e32 0x80, v0
	s_cbranch_execz .LBB1_2
; %bb.1:
	ds_load_2addr_stride64_b32 v[2:3], v1 offset1:2
	s_waitcnt lgkmcnt(0)
	v_max_i32_e32 v2, v2, v3
	ds_store_b32 v1, v2
.LBB1_2:
	s_or_b32 exec_lo, exec_lo, s2
	s_delay_alu instid0(SALU_CYCLE_1)
	s_mov_b32 s2, exec_lo
	s_waitcnt lgkmcnt(0)
	s_barrier
	buffer_gl0_inv
	v_cmpx_gt_u32_e32 64, v0
	s_cbranch_execz .LBB1_4
; %bb.3:
	ds_load_2addr_stride64_b32 v[2:3], v1 offset1:1
	s_waitcnt lgkmcnt(0)
	v_max_i32_e32 v2, v2, v3
	ds_store_b32 v1, v2
.LBB1_4:
	s_or_b32 exec_lo, exec_lo, s2
	s_delay_alu instid0(SALU_CYCLE_1)
	s_mov_b32 s2, exec_lo
	s_waitcnt lgkmcnt(0)
	s_barrier
	buffer_gl0_inv
	v_cmpx_gt_u32_e32 32, v0
	s_cbranch_execz .LBB1_6
; %bb.5:
	ds_load_2addr_b32 v[2:3], v1 offset1:32
	s_waitcnt lgkmcnt(0)
	v_max_i32_e32 v2, v2, v3
	ds_store_b32 v1, v2
.LBB1_6:
	s_or_b32 exec_lo, exec_lo, s2
	s_delay_alu instid0(SALU_CYCLE_1)
	s_mov_b32 s2, exec_lo
	s_waitcnt lgkmcnt(0)
	s_barrier
	buffer_gl0_inv
	v_cmpx_gt_u32_e32 16, v0
	s_cbranch_execz .LBB1_8
; %bb.7:
	ds_load_2addr_b32 v[2:3], v1 offset1:16
	s_waitcnt lgkmcnt(0)
	v_max_i32_e32 v2, v2, v3
	ds_store_b32 v1, v2
.LBB1_8:
	;; [unrolled: 14-line block ×5, first 2 shown]
	s_or_b32 exec_lo, exec_lo, s2
	v_cmp_eq_u32_e32 vcc_lo, 0, v0
	s_waitcnt lgkmcnt(0)
	s_barrier
	buffer_gl0_inv
	s_and_saveexec_b32 s2, vcc_lo
	s_cbranch_execz .LBB1_16
; %bb.15:
	v_mov_b32_e32 v2, 0
	ds_load_b64 v[0:1], v2
	s_waitcnt lgkmcnt(0)
	v_max_i32_e32 v0, v0, v1
	ds_store_b32 v2, v0
.LBB1_16:
	s_or_b32 exec_lo, exec_lo, s2
	s_waitcnt lgkmcnt(0)
	s_barrier
	buffer_gl0_inv
	s_and_saveexec_b32 s2, vcc_lo
	s_cbranch_execz .LBB1_18
; %bb.17:
	v_mov_b32_e32 v0, 0
	ds_load_b32 v1, v0
	s_waitcnt lgkmcnt(0)
	global_store_b32 v0, v1, s[0:1]
.LBB1_18:
	s_nop 0
	s_sendmsg sendmsg(MSG_DEALLOC_VGPRS)
	s_endpgm
	.section	.rodata,"a",@progbits
	.p2align	6, 0x0
	.amdhsa_kernel _ZN9rocsparseL25csrgemm_max_row_nnz_part2ILj256EiEEvPT0_
		.amdhsa_group_segment_fixed_size 1024
		.amdhsa_private_segment_fixed_size 0
		.amdhsa_kernarg_size 8
		.amdhsa_user_sgpr_count 15
		.amdhsa_user_sgpr_dispatch_ptr 0
		.amdhsa_user_sgpr_queue_ptr 0
		.amdhsa_user_sgpr_kernarg_segment_ptr 1
		.amdhsa_user_sgpr_dispatch_id 0
		.amdhsa_user_sgpr_private_segment_size 0
		.amdhsa_wavefront_size32 1
		.amdhsa_uses_dynamic_stack 0
		.amdhsa_enable_private_segment 0
		.amdhsa_system_sgpr_workgroup_id_x 1
		.amdhsa_system_sgpr_workgroup_id_y 0
		.amdhsa_system_sgpr_workgroup_id_z 0
		.amdhsa_system_sgpr_workgroup_info 0
		.amdhsa_system_vgpr_workitem_id 0
		.amdhsa_next_free_vgpr 4
		.amdhsa_next_free_sgpr 3
		.amdhsa_reserve_vcc 1
		.amdhsa_float_round_mode_32 0
		.amdhsa_float_round_mode_16_64 0
		.amdhsa_float_denorm_mode_32 3
		.amdhsa_float_denorm_mode_16_64 3
		.amdhsa_dx10_clamp 1
		.amdhsa_ieee_mode 1
		.amdhsa_fp16_overflow 0
		.amdhsa_workgroup_processor_mode 1
		.amdhsa_memory_ordered 1
		.amdhsa_forward_progress 0
		.amdhsa_shared_vgpr_count 0
		.amdhsa_exception_fp_ieee_invalid_op 0
		.amdhsa_exception_fp_denorm_src 0
		.amdhsa_exception_fp_ieee_div_zero 0
		.amdhsa_exception_fp_ieee_overflow 0
		.amdhsa_exception_fp_ieee_underflow 0
		.amdhsa_exception_fp_ieee_inexact 0
		.amdhsa_exception_int_div_zero 0
	.end_amdhsa_kernel
	.section	.text._ZN9rocsparseL25csrgemm_max_row_nnz_part2ILj256EiEEvPT0_,"axG",@progbits,_ZN9rocsparseL25csrgemm_max_row_nnz_part2ILj256EiEEvPT0_,comdat
.Lfunc_end1:
	.size	_ZN9rocsparseL25csrgemm_max_row_nnz_part2ILj256EiEEvPT0_, .Lfunc_end1-_ZN9rocsparseL25csrgemm_max_row_nnz_part2ILj256EiEEvPT0_
                                        ; -- End function
	.section	.AMDGPU.csdata,"",@progbits
; Kernel info:
; codeLenInByte = 576
; NumSgprs: 5
; NumVgprs: 4
; ScratchSize: 0
; MemoryBound: 0
; FloatMode: 240
; IeeeMode: 1
; LDSByteSize: 1024 bytes/workgroup (compile time only)
; SGPRBlocks: 0
; VGPRBlocks: 0
; NumSGPRsForWavesPerEU: 5
; NumVGPRsForWavesPerEU: 4
; Occupancy: 16
; WaveLimiterHint : 0
; COMPUTE_PGM_RSRC2:SCRATCH_EN: 0
; COMPUTE_PGM_RSRC2:USER_SGPR: 15
; COMPUTE_PGM_RSRC2:TRAP_HANDLER: 0
; COMPUTE_PGM_RSRC2:TGID_X_EN: 1
; COMPUTE_PGM_RSRC2:TGID_Y_EN: 0
; COMPUTE_PGM_RSRC2:TGID_Z_EN: 0
; COMPUTE_PGM_RSRC2:TIDIG_COMP_CNT: 0
	.section	.text._ZN9rocsparseL26bsrgemm_group_reduce_part2ILj256ELj8ELj2EfiiEEvT4_PKT3_PS1_Pi,"axG",@progbits,_ZN9rocsparseL26bsrgemm_group_reduce_part2ILj256ELj8ELj2EfiiEEvT4_PKT3_PS1_Pi,comdat
	.globl	_ZN9rocsparseL26bsrgemm_group_reduce_part2ILj256ELj8ELj2EfiiEEvT4_PKT3_PS1_Pi ; -- Begin function _ZN9rocsparseL26bsrgemm_group_reduce_part2ILj256ELj8ELj2EfiiEEvT4_PKT3_PS1_Pi
	.p2align	8
	.type	_ZN9rocsparseL26bsrgemm_group_reduce_part2ILj256ELj8ELj2EfiiEEvT4_PKT3_PS1_Pi,@function
_ZN9rocsparseL26bsrgemm_group_reduce_part2ILj256ELj8ELj2EfiiEEvT4_PKT3_PS1_Pi: ; @_ZN9rocsparseL26bsrgemm_group_reduce_part2ILj256ELj8ELj2EfiiEEvT4_PKT3_PS1_Pi
; %bb.0:
	s_clause 0x1
	s_load_b32 s10, s[0:1], 0x0
	s_load_b64 s[2:3], s[0:1], 0x10
	s_mov_b32 s4, 0
	v_lshl_or_b32 v1, s15, 8, v0
	s_mov_b32 s7, s4
	s_mov_b32 s5, s4
	;; [unrolled: 1-line block ×3, first 2 shown]
	v_dual_mov_b32 v8, s7 :: v_dual_mov_b32 v5, s4
	v_dual_mov_b32 v7, s6 :: v_dual_lshlrev_b32 v4, 5, v0
	v_mov_b32_e32 v6, s5
	s_mov_b32 s5, exec_lo
	ds_store_b128 v4, v[5:8]
	ds_store_b128 v4, v[5:8] offset:16
	s_waitcnt lgkmcnt(0)
	buffer_gl0_inv
	v_cmpx_gt_i32_e64 s10, v1
	s_cbranch_execz .LBB2_31
; %bb.1:
	s_clause 0x2
	s_load_b32 s11, s[0:1], 0x20
	s_load_b64 s[6:7], s[0:1], 0x8
	s_load_b64 s[8:9], s[0:1], 0x18
	v_dual_mov_b32 v5, 7 :: v_dual_mov_b32 v6, 6
	v_dual_mov_b32 v7, 5 :: v_dual_mov_b32 v8, 4
	;; [unrolled: 1-line block ×4, first 2 shown]
	s_waitcnt lgkmcnt(0)
	s_lshl_b32 s1, s11, 8
	s_branch .LBB2_3
.LBB2_2:                                ;   in Loop: Header=BB2_3 Depth=1
	s_or_b32 exec_lo, exec_lo, s0
	v_add_nc_u32_e32 v1, s1, v1
	s_delay_alu instid0(VALU_DEP_1) | instskip(SKIP_1) | instid1(SALU_CYCLE_1)
	v_cmp_le_i32_e32 vcc_lo, s10, v1
	s_or_b32 s4, vcc_lo, s4
	s_and_not1_b32 exec_lo, exec_lo, s4
	s_cbranch_execz .LBB2_31
.LBB2_3:                                ; =>This Inner Loop Header: Depth=1
	v_ashrrev_i32_e32 v2, 31, v1
	s_mov_b32 s0, exec_lo
	s_delay_alu instid0(VALU_DEP_1) | instskip(NEXT) | instid1(VALU_DEP_1)
	v_lshlrev_b64 v[2:3], 2, v[1:2]
	v_add_co_u32 v13, vcc_lo, s6, v2
	s_delay_alu instid0(VALU_DEP_2) | instskip(SKIP_3) | instid1(VALU_DEP_1)
	v_add_co_ci_u32_e32 v14, vcc_lo, s7, v3, vcc_lo
	global_load_b64 v[13:14], v[13:14], off
	s_waitcnt vmcnt(0)
	v_sub_nc_u32_e32 v13, v14, v13
	v_cmpx_lt_i32_e32 8, v13
	s_xor_b32 s11, exec_lo, s0
	s_cbranch_execz .LBB2_29
; %bb.4:                                ;   in Loop: Header=BB2_3 Depth=1
	s_mov_b32 s0, exec_lo
	v_cmpx_lt_u32_e32 16, v13
	s_xor_b32 s12, exec_lo, s0
	s_cbranch_execz .LBB2_26
; %bb.5:                                ;   in Loop: Header=BB2_3 Depth=1
	s_mov_b32 s0, exec_lo
	v_cmpx_lt_u32_e32 32, v13
	;; [unrolled: 5-line block ×5, first 2 shown]
	s_xor_b32 s17, exec_lo, s0
	s_cbranch_execz .LBB2_14
; %bb.9:                                ;   in Loop: Header=BB2_3 Depth=1
	v_add_co_u32 v2, s0, s8, v2
	s_delay_alu instid0(VALU_DEP_1)
	v_add_co_ci_u32_e64 v3, s0, s9, v3, s0
	s_mov_b32 s0, exec_lo
	v_cmpx_lt_u32_e32 0x200, v13
	s_xor_b32 s0, exec_lo, s0
	s_cbranch_execz .LBB2_11
; %bb.10:                               ;   in Loop: Header=BB2_3 Depth=1
	ds_load_b32 v13, v4 offset:28
	global_store_b32 v[2:3], v5, off
                                        ; implicit-def: $vgpr2_vgpr3
	s_waitcnt lgkmcnt(0)
	v_add_nc_u32_e32 v13, 1, v13
	ds_store_b32 v4, v13 offset:28
.LBB2_11:                               ;   in Loop: Header=BB2_3 Depth=1
	s_and_not1_saveexec_b32 s0, s0
	s_cbranch_execz .LBB2_13
; %bb.12:                               ;   in Loop: Header=BB2_3 Depth=1
	ds_load_b32 v13, v4 offset:24
	global_store_b32 v[2:3], v6, off
	s_waitcnt lgkmcnt(0)
	v_add_nc_u32_e32 v13, 1, v13
	ds_store_b32 v4, v13 offset:24
.LBB2_13:                               ;   in Loop: Header=BB2_3 Depth=1
	s_or_b32 exec_lo, exec_lo, s0
                                        ; implicit-def: $vgpr2_vgpr3
.LBB2_14:                               ;   in Loop: Header=BB2_3 Depth=1
	s_and_not1_saveexec_b32 s0, s17
	s_cbranch_execz .LBB2_16
; %bb.15:                               ;   in Loop: Header=BB2_3 Depth=1
	ds_load_b32 v13, v4 offset:20
	v_add_co_u32 v2, vcc_lo, s8, v2
	v_add_co_ci_u32_e32 v3, vcc_lo, s9, v3, vcc_lo
	global_store_b32 v[2:3], v7, off
	s_waitcnt lgkmcnt(0)
	v_add_nc_u32_e32 v13, 1, v13
	ds_store_b32 v4, v13 offset:20
.LBB2_16:                               ;   in Loop: Header=BB2_3 Depth=1
	s_or_b32 exec_lo, exec_lo, s0
                                        ; implicit-def: $vgpr2_vgpr3
.LBB2_17:                               ;   in Loop: Header=BB2_3 Depth=1
	s_and_not1_saveexec_b32 s0, s16
	s_cbranch_execz .LBB2_19
; %bb.18:                               ;   in Loop: Header=BB2_3 Depth=1
	ds_load_b32 v13, v4 offset:16
	v_add_co_u32 v2, vcc_lo, s8, v2
	v_add_co_ci_u32_e32 v3, vcc_lo, s9, v3, vcc_lo
	global_store_b32 v[2:3], v8, off
	s_waitcnt lgkmcnt(0)
	v_add_nc_u32_e32 v13, 1, v13
	ds_store_b32 v4, v13 offset:16
.LBB2_19:                               ;   in Loop: Header=BB2_3 Depth=1
	s_or_b32 exec_lo, exec_lo, s0
                                        ; implicit-def: $vgpr2_vgpr3
.LBB2_20:                               ;   in Loop: Header=BB2_3 Depth=1
	s_and_not1_saveexec_b32 s0, s14
	s_cbranch_execz .LBB2_22
; %bb.21:                               ;   in Loop: Header=BB2_3 Depth=1
	ds_load_b32 v13, v4 offset:12
	v_add_co_u32 v2, vcc_lo, s8, v2
	v_add_co_ci_u32_e32 v3, vcc_lo, s9, v3, vcc_lo
	global_store_b32 v[2:3], v9, off
	s_waitcnt lgkmcnt(0)
	v_add_nc_u32_e32 v13, 1, v13
	ds_store_b32 v4, v13 offset:12
.LBB2_22:                               ;   in Loop: Header=BB2_3 Depth=1
	s_or_b32 exec_lo, exec_lo, s0
                                        ; implicit-def: $vgpr2_vgpr3
.LBB2_23:                               ;   in Loop: Header=BB2_3 Depth=1
	s_and_not1_saveexec_b32 s0, s13
	s_cbranch_execz .LBB2_25
; %bb.24:                               ;   in Loop: Header=BB2_3 Depth=1
	ds_load_b32 v13, v4 offset:8
	v_add_co_u32 v2, vcc_lo, s8, v2
	v_add_co_ci_u32_e32 v3, vcc_lo, s9, v3, vcc_lo
	global_store_b32 v[2:3], v10, off
	s_waitcnt lgkmcnt(0)
	v_add_nc_u32_e32 v13, 1, v13
	ds_store_b32 v4, v13 offset:8
.LBB2_25:                               ;   in Loop: Header=BB2_3 Depth=1
	s_or_b32 exec_lo, exec_lo, s0
                                        ; implicit-def: $vgpr2_vgpr3
.LBB2_26:                               ;   in Loop: Header=BB2_3 Depth=1
	s_and_not1_saveexec_b32 s0, s12
	s_cbranch_execz .LBB2_28
; %bb.27:                               ;   in Loop: Header=BB2_3 Depth=1
	ds_load_b32 v13, v4 offset:4
	v_add_co_u32 v2, vcc_lo, s8, v2
	v_add_co_ci_u32_e32 v3, vcc_lo, s9, v3, vcc_lo
	global_store_b32 v[2:3], v11, off
	s_waitcnt lgkmcnt(0)
	v_add_nc_u32_e32 v13, 1, v13
	ds_store_b32 v4, v13 offset:4
.LBB2_28:                               ;   in Loop: Header=BB2_3 Depth=1
	s_or_b32 exec_lo, exec_lo, s0
                                        ; implicit-def: $vgpr2_vgpr3
.LBB2_29:                               ;   in Loop: Header=BB2_3 Depth=1
	s_and_not1_saveexec_b32 s0, s11
	s_cbranch_execz .LBB2_2
; %bb.30:                               ;   in Loop: Header=BB2_3 Depth=1
	ds_load_b32 v13, v4
	v_add_co_u32 v2, vcc_lo, s8, v2
	v_add_co_ci_u32_e32 v3, vcc_lo, s9, v3, vcc_lo
	global_store_b32 v[2:3], v12, off
	s_waitcnt lgkmcnt(0)
	v_add_nc_u32_e32 v13, 1, v13
	ds_store_b32 v4, v13
	s_branch .LBB2_2
.LBB2_31:
	s_or_b32 exec_lo, exec_lo, s5
	s_delay_alu instid0(SALU_CYCLE_1)
	s_mov_b32 s0, exec_lo
	s_waitcnt lgkmcnt(0)
	s_waitcnt_vscnt null, 0x0
	s_barrier
	buffer_gl0_inv
	s_barrier
	buffer_gl0_inv
	s_barrier
	buffer_gl0_inv
	v_cmpx_gt_u32_e32 0x80, v0
	s_cbranch_execz .LBB2_33
; %bb.32:
	ds_load_b128 v[5:8], v4 offset:4096
	ds_load_b128 v[9:12], v4
	ds_load_b128 v[13:16], v4 offset:16
	ds_load_b128 v[17:20], v4 offset:4112
	s_waitcnt lgkmcnt(2)
	v_add_nc_u32_e32 v5, v9, v5
	v_add_nc_u32_e32 v6, v10, v6
	v_add_nc_u32_e32 v7, v11, v7
	v_add_nc_u32_e32 v8, v12, v8
	s_waitcnt lgkmcnt(0)
	v_add_nc_u32_e32 v9, v13, v17
	v_add_nc_u32_e32 v10, v14, v18
	v_add_nc_u32_e32 v11, v15, v19
	v_add_nc_u32_e32 v12, v16, v20
	ds_store_b128 v4, v[5:8]
	ds_store_b128 v4, v[9:12] offset:16
.LBB2_33:
	s_or_b32 exec_lo, exec_lo, s0
	s_delay_alu instid0(SALU_CYCLE_1)
	s_mov_b32 s0, exec_lo
	s_waitcnt lgkmcnt(0)
	s_barrier
	buffer_gl0_inv
	v_cmpx_gt_u32_e32 64, v0
	s_cbranch_execz .LBB2_35
; %bb.34:
	ds_load_b128 v[5:8], v4 offset:2048
	ds_load_b128 v[9:12], v4
	ds_load_b128 v[13:16], v4 offset:16
	ds_load_b128 v[17:20], v4 offset:2064
	s_waitcnt lgkmcnt(2)
	v_add_nc_u32_e32 v5, v9, v5
	v_add_nc_u32_e32 v6, v10, v6
	v_add_nc_u32_e32 v7, v11, v7
	v_add_nc_u32_e32 v8, v12, v8
	s_waitcnt lgkmcnt(0)
	v_add_nc_u32_e32 v9, v13, v17
	v_add_nc_u32_e32 v10, v14, v18
	v_add_nc_u32_e32 v11, v15, v19
	v_add_nc_u32_e32 v12, v16, v20
	ds_store_b128 v4, v[5:8]
	ds_store_b128 v4, v[9:12] offset:16
.LBB2_35:
	s_or_b32 exec_lo, exec_lo, s0
	s_delay_alu instid0(SALU_CYCLE_1)
	s_mov_b32 s0, exec_lo
	s_waitcnt lgkmcnt(0)
	s_barrier
	buffer_gl0_inv
	;; [unrolled: 26-line block ×3, first 2 shown]
	v_cmpx_gt_u32_e32 16, v0
	s_cbranch_execz .LBB2_39
; %bb.38:
	ds_load_b128 v[5:8], v4 offset:512
	ds_load_b128 v[9:12], v4
	ds_load_b128 v[13:16], v4 offset:16
	ds_load_b128 v[17:20], v4 offset:528
	s_waitcnt lgkmcnt(2)
	v_add_nc_u32_e32 v5, v9, v5
	v_add_nc_u32_e32 v6, v10, v6
	;; [unrolled: 1-line block ×4, first 2 shown]
	s_waitcnt lgkmcnt(0)
	v_add_nc_u32_e32 v9, v13, v17
	v_add_nc_u32_e32 v10, v14, v18
	;; [unrolled: 1-line block ×4, first 2 shown]
	ds_store_b128 v4, v[5:8]
	ds_store_b128 v4, v[9:12] offset:16
.LBB2_39:
	s_or_b32 exec_lo, exec_lo, s0
	v_cmp_gt_u32_e32 vcc_lo, 8, v0
	s_waitcnt lgkmcnt(0)
	s_barrier
	buffer_gl0_inv
	s_and_saveexec_b32 s0, vcc_lo
	s_cbranch_execz .LBB2_41
; %bb.40:
	ds_load_b128 v[5:8], v4 offset:256
	ds_load_b128 v[9:12], v4
	ds_load_b128 v[13:16], v4 offset:16
	ds_load_b128 v[17:20], v4 offset:272
	s_waitcnt lgkmcnt(2)
	v_add_nc_u32_e32 v5, v9, v5
	v_add_nc_u32_e32 v6, v10, v6
	;; [unrolled: 1-line block ×4, first 2 shown]
	s_waitcnt lgkmcnt(0)
	v_add_nc_u32_e32 v9, v13, v17
	v_add_nc_u32_e32 v10, v14, v18
	;; [unrolled: 1-line block ×4, first 2 shown]
	ds_store_b128 v4, v[5:8]
	ds_store_b128 v4, v[9:12] offset:16
.LBB2_41:
	s_or_b32 exec_lo, exec_lo, s0
	s_delay_alu instid0(SALU_CYCLE_1)
	s_mov_b32 s1, exec_lo
	s_waitcnt lgkmcnt(0)
	s_barrier
	buffer_gl0_inv
	v_cmpx_gt_u32_e32 4, v0
	s_cbranch_execz .LBB2_43
; %bb.42:
	ds_load_b128 v[5:8], v4 offset:128
	ds_load_b128 v[9:12], v4
	ds_load_b128 v[13:16], v4 offset:16
	ds_load_b128 v[17:20], v4 offset:144
	s_waitcnt lgkmcnt(2)
	v_add_nc_u32_e32 v5, v9, v5
	v_add_nc_u32_e32 v6, v10, v6
	;; [unrolled: 1-line block ×4, first 2 shown]
	s_waitcnt lgkmcnt(0)
	v_add_nc_u32_e32 v9, v13, v17
	v_add_nc_u32_e32 v10, v14, v18
	;; [unrolled: 1-line block ×4, first 2 shown]
	ds_store_b128 v4, v[5:8]
	ds_store_b128 v4, v[9:12] offset:16
.LBB2_43:
	s_or_b32 exec_lo, exec_lo, s1
	s_delay_alu instid0(SALU_CYCLE_1)
	s_mov_b32 s1, exec_lo
	s_waitcnt lgkmcnt(0)
	s_barrier
	buffer_gl0_inv
	v_cmpx_gt_u32_e32 2, v0
	s_cbranch_execz .LBB2_45
; %bb.44:
	ds_load_b128 v[5:8], v4 offset:64
	ds_load_b128 v[9:12], v4
	ds_load_b128 v[13:16], v4 offset:16
	ds_load_b128 v[17:20], v4 offset:80
	s_waitcnt lgkmcnt(2)
	v_add_nc_u32_e32 v5, v9, v5
	v_add_nc_u32_e32 v6, v10, v6
	;; [unrolled: 1-line block ×4, first 2 shown]
	s_waitcnt lgkmcnt(0)
	v_add_nc_u32_e32 v9, v13, v17
	v_add_nc_u32_e32 v10, v14, v18
	;; [unrolled: 1-line block ×4, first 2 shown]
	ds_store_b128 v4, v[5:8]
	ds_store_b128 v4, v[9:12] offset:16
.LBB2_45:
	s_or_b32 exec_lo, exec_lo, s1
	s_delay_alu instid0(SALU_CYCLE_1)
	s_mov_b32 s1, exec_lo
	s_waitcnt lgkmcnt(0)
	s_barrier
	buffer_gl0_inv
	v_cmpx_eq_u32_e32 0, v0
	s_cbranch_execz .LBB2_47
; %bb.46:
	v_mov_b32_e32 v17, 0
	ds_load_b128 v[1:4], v17 offset:32
	ds_load_b128 v[5:8], v17
	ds_load_b128 v[9:12], v17 offset:16
	ds_load_b128 v[13:16], v17 offset:48
	s_waitcnt lgkmcnt(2)
	v_add_nc_u32_e32 v2, v6, v2
	v_add_nc_u32_e32 v1, v5, v1
	v_add_nc_u32_e32 v3, v7, v3
	v_add_nc_u32_e32 v4, v8, v4
	s_waitcnt lgkmcnt(0)
	v_add_nc_u32_e32 v5, v9, v13
	v_add_nc_u32_e32 v6, v10, v14
	;; [unrolled: 1-line block ×4, first 2 shown]
	ds_store_b128 v17, v[1:4]
	ds_store_b128 v17, v[5:8] offset:16
.LBB2_47:
	s_or_b32 exec_lo, exec_lo, s1
	s_waitcnt lgkmcnt(0)
	s_barrier
	buffer_gl0_inv
	s_and_saveexec_b32 s0, vcc_lo
	s_cbranch_execz .LBB2_49
; %bb.48:
	v_lshlrev_b32_e32 v1, 2, v0
	v_lshl_or_b32 v0, s15, 3, v0
	ds_load_b32 v2, v1
	v_mov_b32_e32 v1, 0
	s_delay_alu instid0(VALU_DEP_1) | instskip(NEXT) | instid1(VALU_DEP_1)
	v_lshlrev_b64 v[0:1], 2, v[0:1]
	v_add_co_u32 v0, vcc_lo, s2, v0
	s_delay_alu instid0(VALU_DEP_2)
	v_add_co_ci_u32_e32 v1, vcc_lo, s3, v1, vcc_lo
	s_waitcnt lgkmcnt(0)
	global_store_b32 v[0:1], v2, off
.LBB2_49:
	s_nop 0
	s_sendmsg sendmsg(MSG_DEALLOC_VGPRS)
	s_endpgm
	.section	.rodata,"a",@progbits
	.p2align	6, 0x0
	.amdhsa_kernel _ZN9rocsparseL26bsrgemm_group_reduce_part2ILj256ELj8ELj2EfiiEEvT4_PKT3_PS1_Pi
		.amdhsa_group_segment_fixed_size 8192
		.amdhsa_private_segment_fixed_size 0
		.amdhsa_kernarg_size 288
		.amdhsa_user_sgpr_count 15
		.amdhsa_user_sgpr_dispatch_ptr 0
		.amdhsa_user_sgpr_queue_ptr 0
		.amdhsa_user_sgpr_kernarg_segment_ptr 1
		.amdhsa_user_sgpr_dispatch_id 0
		.amdhsa_user_sgpr_private_segment_size 0
		.amdhsa_wavefront_size32 1
		.amdhsa_uses_dynamic_stack 0
		.amdhsa_enable_private_segment 0
		.amdhsa_system_sgpr_workgroup_id_x 1
		.amdhsa_system_sgpr_workgroup_id_y 0
		.amdhsa_system_sgpr_workgroup_id_z 0
		.amdhsa_system_sgpr_workgroup_info 0
		.amdhsa_system_vgpr_workitem_id 0
		.amdhsa_next_free_vgpr 21
		.amdhsa_next_free_sgpr 18
		.amdhsa_reserve_vcc 1
		.amdhsa_float_round_mode_32 0
		.amdhsa_float_round_mode_16_64 0
		.amdhsa_float_denorm_mode_32 3
		.amdhsa_float_denorm_mode_16_64 3
		.amdhsa_dx10_clamp 1
		.amdhsa_ieee_mode 1
		.amdhsa_fp16_overflow 0
		.amdhsa_workgroup_processor_mode 1
		.amdhsa_memory_ordered 1
		.amdhsa_forward_progress 0
		.amdhsa_shared_vgpr_count 0
		.amdhsa_exception_fp_ieee_invalid_op 0
		.amdhsa_exception_fp_denorm_src 0
		.amdhsa_exception_fp_ieee_div_zero 0
		.amdhsa_exception_fp_ieee_overflow 0
		.amdhsa_exception_fp_ieee_underflow 0
		.amdhsa_exception_fp_ieee_inexact 0
		.amdhsa_exception_int_div_zero 0
	.end_amdhsa_kernel
	.section	.text._ZN9rocsparseL26bsrgemm_group_reduce_part2ILj256ELj8ELj2EfiiEEvT4_PKT3_PS1_Pi,"axG",@progbits,_ZN9rocsparseL26bsrgemm_group_reduce_part2ILj256ELj8ELj2EfiiEEvT4_PKT3_PS1_Pi,comdat
.Lfunc_end2:
	.size	_ZN9rocsparseL26bsrgemm_group_reduce_part2ILj256ELj8ELj2EfiiEEvT4_PKT3_PS1_Pi, .Lfunc_end2-_ZN9rocsparseL26bsrgemm_group_reduce_part2ILj256ELj8ELj2EfiiEEvT4_PKT3_PS1_Pi
                                        ; -- End function
	.section	.AMDGPU.csdata,"",@progbits
; Kernel info:
; codeLenInByte = 1940
; NumSgprs: 20
; NumVgprs: 21
; ScratchSize: 0
; MemoryBound: 0
; FloatMode: 240
; IeeeMode: 1
; LDSByteSize: 8192 bytes/workgroup (compile time only)
; SGPRBlocks: 2
; VGPRBlocks: 2
; NumSGPRsForWavesPerEU: 20
; NumVGPRsForWavesPerEU: 21
; Occupancy: 16
; WaveLimiterHint : 0
; COMPUTE_PGM_RSRC2:SCRATCH_EN: 0
; COMPUTE_PGM_RSRC2:USER_SGPR: 15
; COMPUTE_PGM_RSRC2:TRAP_HANDLER: 0
; COMPUTE_PGM_RSRC2:TGID_X_EN: 1
; COMPUTE_PGM_RSRC2:TGID_Y_EN: 0
; COMPUTE_PGM_RSRC2:TGID_Z_EN: 0
; COMPUTE_PGM_RSRC2:TIDIG_COMP_CNT: 0
	.section	.text._ZN9rocsparseL26bsrgemm_group_reduce_part2ILj256ELj8ELj8EfiiEEvT4_PKT3_PS1_Pi,"axG",@progbits,_ZN9rocsparseL26bsrgemm_group_reduce_part2ILj256ELj8ELj8EfiiEEvT4_PKT3_PS1_Pi,comdat
	.globl	_ZN9rocsparseL26bsrgemm_group_reduce_part2ILj256ELj8ELj8EfiiEEvT4_PKT3_PS1_Pi ; -- Begin function _ZN9rocsparseL26bsrgemm_group_reduce_part2ILj256ELj8ELj8EfiiEEvT4_PKT3_PS1_Pi
	.p2align	8
	.type	_ZN9rocsparseL26bsrgemm_group_reduce_part2ILj256ELj8ELj8EfiiEEvT4_PKT3_PS1_Pi,@function
_ZN9rocsparseL26bsrgemm_group_reduce_part2ILj256ELj8ELj8EfiiEEvT4_PKT3_PS1_Pi: ; @_ZN9rocsparseL26bsrgemm_group_reduce_part2ILj256ELj8ELj8EfiiEEvT4_PKT3_PS1_Pi
; %bb.0:
	s_clause 0x1
	s_load_b32 s10, s[0:1], 0x0
	s_load_b64 s[2:3], s[0:1], 0x10
	s_mov_b32 s4, 0
	v_lshl_or_b32 v1, s15, 8, v0
	s_mov_b32 s7, s4
	s_mov_b32 s5, s4
	;; [unrolled: 1-line block ×3, first 2 shown]
	v_dual_mov_b32 v8, s7 :: v_dual_mov_b32 v5, s4
	v_dual_mov_b32 v7, s6 :: v_dual_lshlrev_b32 v4, 5, v0
	v_mov_b32_e32 v6, s5
	s_mov_b32 s5, exec_lo
	ds_store_b128 v4, v[5:8]
	ds_store_b128 v4, v[5:8] offset:16
	s_waitcnt lgkmcnt(0)
	buffer_gl0_inv
	v_cmpx_gt_i32_e64 s10, v1
	s_cbranch_execz .LBB3_31
; %bb.1:
	s_clause 0x2
	s_load_b32 s11, s[0:1], 0x20
	s_load_b64 s[6:7], s[0:1], 0x8
	s_load_b64 s[8:9], s[0:1], 0x18
	v_dual_mov_b32 v5, 7 :: v_dual_mov_b32 v6, 6
	v_dual_mov_b32 v7, 5 :: v_dual_mov_b32 v8, 4
	;; [unrolled: 1-line block ×4, first 2 shown]
	s_waitcnt lgkmcnt(0)
	s_lshl_b32 s1, s11, 8
	s_branch .LBB3_3
.LBB3_2:                                ;   in Loop: Header=BB3_3 Depth=1
	s_or_b32 exec_lo, exec_lo, s0
	v_add_nc_u32_e32 v1, s1, v1
	s_delay_alu instid0(VALU_DEP_1) | instskip(SKIP_1) | instid1(SALU_CYCLE_1)
	v_cmp_le_i32_e32 vcc_lo, s10, v1
	s_or_b32 s4, vcc_lo, s4
	s_and_not1_b32 exec_lo, exec_lo, s4
	s_cbranch_execz .LBB3_31
.LBB3_3:                                ; =>This Inner Loop Header: Depth=1
	v_ashrrev_i32_e32 v2, 31, v1
	s_mov_b32 s0, exec_lo
	s_delay_alu instid0(VALU_DEP_1) | instskip(NEXT) | instid1(VALU_DEP_1)
	v_lshlrev_b64 v[2:3], 2, v[1:2]
	v_add_co_u32 v13, vcc_lo, s6, v2
	s_delay_alu instid0(VALU_DEP_2) | instskip(SKIP_3) | instid1(VALU_DEP_1)
	v_add_co_ci_u32_e32 v14, vcc_lo, s7, v3, vcc_lo
	global_load_b64 v[13:14], v[13:14], off
	s_waitcnt vmcnt(0)
	v_sub_nc_u32_e32 v13, v14, v13
	v_cmpx_lt_i32_e32 8, v13
	s_xor_b32 s11, exec_lo, s0
	s_cbranch_execz .LBB3_29
; %bb.4:                                ;   in Loop: Header=BB3_3 Depth=1
	s_mov_b32 s0, exec_lo
	v_cmpx_lt_u32_e32 16, v13
	s_xor_b32 s12, exec_lo, s0
	s_cbranch_execz .LBB3_26
; %bb.5:                                ;   in Loop: Header=BB3_3 Depth=1
	s_mov_b32 s0, exec_lo
	v_cmpx_lt_u32_e32 32, v13
	;; [unrolled: 5-line block ×5, first 2 shown]
	s_xor_b32 s17, exec_lo, s0
	s_cbranch_execz .LBB3_14
; %bb.9:                                ;   in Loop: Header=BB3_3 Depth=1
	v_add_co_u32 v2, s0, s8, v2
	s_delay_alu instid0(VALU_DEP_1)
	v_add_co_ci_u32_e64 v3, s0, s9, v3, s0
	s_mov_b32 s0, exec_lo
	v_cmpx_lt_u32_e32 0x200, v13
	s_xor_b32 s0, exec_lo, s0
	s_cbranch_execz .LBB3_11
; %bb.10:                               ;   in Loop: Header=BB3_3 Depth=1
	ds_load_b32 v13, v4 offset:28
	global_store_b32 v[2:3], v5, off
                                        ; implicit-def: $vgpr2_vgpr3
	s_waitcnt lgkmcnt(0)
	v_add_nc_u32_e32 v13, 1, v13
	ds_store_b32 v4, v13 offset:28
.LBB3_11:                               ;   in Loop: Header=BB3_3 Depth=1
	s_and_not1_saveexec_b32 s0, s0
	s_cbranch_execz .LBB3_13
; %bb.12:                               ;   in Loop: Header=BB3_3 Depth=1
	ds_load_b32 v13, v4 offset:24
	global_store_b32 v[2:3], v6, off
	s_waitcnt lgkmcnt(0)
	v_add_nc_u32_e32 v13, 1, v13
	ds_store_b32 v4, v13 offset:24
.LBB3_13:                               ;   in Loop: Header=BB3_3 Depth=1
	s_or_b32 exec_lo, exec_lo, s0
                                        ; implicit-def: $vgpr2_vgpr3
.LBB3_14:                               ;   in Loop: Header=BB3_3 Depth=1
	s_and_not1_saveexec_b32 s0, s17
	s_cbranch_execz .LBB3_16
; %bb.15:                               ;   in Loop: Header=BB3_3 Depth=1
	ds_load_b32 v13, v4 offset:20
	v_add_co_u32 v2, vcc_lo, s8, v2
	v_add_co_ci_u32_e32 v3, vcc_lo, s9, v3, vcc_lo
	global_store_b32 v[2:3], v7, off
	s_waitcnt lgkmcnt(0)
	v_add_nc_u32_e32 v13, 1, v13
	ds_store_b32 v4, v13 offset:20
.LBB3_16:                               ;   in Loop: Header=BB3_3 Depth=1
	s_or_b32 exec_lo, exec_lo, s0
                                        ; implicit-def: $vgpr2_vgpr3
.LBB3_17:                               ;   in Loop: Header=BB3_3 Depth=1
	s_and_not1_saveexec_b32 s0, s16
	s_cbranch_execz .LBB3_19
; %bb.18:                               ;   in Loop: Header=BB3_3 Depth=1
	ds_load_b32 v13, v4 offset:16
	v_add_co_u32 v2, vcc_lo, s8, v2
	v_add_co_ci_u32_e32 v3, vcc_lo, s9, v3, vcc_lo
	global_store_b32 v[2:3], v8, off
	s_waitcnt lgkmcnt(0)
	v_add_nc_u32_e32 v13, 1, v13
	ds_store_b32 v4, v13 offset:16
.LBB3_19:                               ;   in Loop: Header=BB3_3 Depth=1
	s_or_b32 exec_lo, exec_lo, s0
                                        ; implicit-def: $vgpr2_vgpr3
.LBB3_20:                               ;   in Loop: Header=BB3_3 Depth=1
	s_and_not1_saveexec_b32 s0, s14
	s_cbranch_execz .LBB3_22
; %bb.21:                               ;   in Loop: Header=BB3_3 Depth=1
	ds_load_b32 v13, v4 offset:12
	v_add_co_u32 v2, vcc_lo, s8, v2
	v_add_co_ci_u32_e32 v3, vcc_lo, s9, v3, vcc_lo
	global_store_b32 v[2:3], v9, off
	s_waitcnt lgkmcnt(0)
	v_add_nc_u32_e32 v13, 1, v13
	ds_store_b32 v4, v13 offset:12
.LBB3_22:                               ;   in Loop: Header=BB3_3 Depth=1
	s_or_b32 exec_lo, exec_lo, s0
                                        ; implicit-def: $vgpr2_vgpr3
.LBB3_23:                               ;   in Loop: Header=BB3_3 Depth=1
	s_and_not1_saveexec_b32 s0, s13
	s_cbranch_execz .LBB3_25
; %bb.24:                               ;   in Loop: Header=BB3_3 Depth=1
	ds_load_b32 v13, v4 offset:8
	v_add_co_u32 v2, vcc_lo, s8, v2
	v_add_co_ci_u32_e32 v3, vcc_lo, s9, v3, vcc_lo
	global_store_b32 v[2:3], v10, off
	s_waitcnt lgkmcnt(0)
	v_add_nc_u32_e32 v13, 1, v13
	ds_store_b32 v4, v13 offset:8
.LBB3_25:                               ;   in Loop: Header=BB3_3 Depth=1
	s_or_b32 exec_lo, exec_lo, s0
                                        ; implicit-def: $vgpr2_vgpr3
.LBB3_26:                               ;   in Loop: Header=BB3_3 Depth=1
	s_and_not1_saveexec_b32 s0, s12
	s_cbranch_execz .LBB3_28
; %bb.27:                               ;   in Loop: Header=BB3_3 Depth=1
	ds_load_b32 v13, v4 offset:4
	v_add_co_u32 v2, vcc_lo, s8, v2
	v_add_co_ci_u32_e32 v3, vcc_lo, s9, v3, vcc_lo
	global_store_b32 v[2:3], v11, off
	s_waitcnt lgkmcnt(0)
	v_add_nc_u32_e32 v13, 1, v13
	ds_store_b32 v4, v13 offset:4
.LBB3_28:                               ;   in Loop: Header=BB3_3 Depth=1
	s_or_b32 exec_lo, exec_lo, s0
                                        ; implicit-def: $vgpr2_vgpr3
.LBB3_29:                               ;   in Loop: Header=BB3_3 Depth=1
	s_and_not1_saveexec_b32 s0, s11
	s_cbranch_execz .LBB3_2
; %bb.30:                               ;   in Loop: Header=BB3_3 Depth=1
	ds_load_b32 v13, v4
	v_add_co_u32 v2, vcc_lo, s8, v2
	v_add_co_ci_u32_e32 v3, vcc_lo, s9, v3, vcc_lo
	global_store_b32 v[2:3], v12, off
	s_waitcnt lgkmcnt(0)
	v_add_nc_u32_e32 v13, 1, v13
	ds_store_b32 v4, v13
	s_branch .LBB3_2
.LBB3_31:
	s_or_b32 exec_lo, exec_lo, s5
	s_delay_alu instid0(SALU_CYCLE_1)
	s_mov_b32 s0, exec_lo
	s_waitcnt lgkmcnt(0)
	s_waitcnt_vscnt null, 0x0
	s_barrier
	buffer_gl0_inv
	s_barrier
	buffer_gl0_inv
	;; [unrolled: 2-line block ×3, first 2 shown]
	v_cmpx_gt_u32_e32 0x80, v0
	s_cbranch_execz .LBB3_33
; %bb.32:
	ds_load_b128 v[5:8], v4 offset:4096
	ds_load_b128 v[9:12], v4
	ds_load_b128 v[13:16], v4 offset:16
	ds_load_b128 v[17:20], v4 offset:4112
	s_waitcnt lgkmcnt(2)
	v_add_nc_u32_e32 v5, v9, v5
	v_add_nc_u32_e32 v6, v10, v6
	v_add_nc_u32_e32 v7, v11, v7
	v_add_nc_u32_e32 v8, v12, v8
	s_waitcnt lgkmcnt(0)
	v_add_nc_u32_e32 v9, v13, v17
	v_add_nc_u32_e32 v10, v14, v18
	v_add_nc_u32_e32 v11, v15, v19
	v_add_nc_u32_e32 v12, v16, v20
	ds_store_b128 v4, v[5:8]
	ds_store_b128 v4, v[9:12] offset:16
.LBB3_33:
	s_or_b32 exec_lo, exec_lo, s0
	s_delay_alu instid0(SALU_CYCLE_1)
	s_mov_b32 s0, exec_lo
	s_waitcnt lgkmcnt(0)
	s_barrier
	buffer_gl0_inv
	v_cmpx_gt_u32_e32 64, v0
	s_cbranch_execz .LBB3_35
; %bb.34:
	ds_load_b128 v[5:8], v4 offset:2048
	ds_load_b128 v[9:12], v4
	ds_load_b128 v[13:16], v4 offset:16
	ds_load_b128 v[17:20], v4 offset:2064
	s_waitcnt lgkmcnt(2)
	v_add_nc_u32_e32 v5, v9, v5
	v_add_nc_u32_e32 v6, v10, v6
	v_add_nc_u32_e32 v7, v11, v7
	v_add_nc_u32_e32 v8, v12, v8
	s_waitcnt lgkmcnt(0)
	v_add_nc_u32_e32 v9, v13, v17
	v_add_nc_u32_e32 v10, v14, v18
	v_add_nc_u32_e32 v11, v15, v19
	v_add_nc_u32_e32 v12, v16, v20
	ds_store_b128 v4, v[5:8]
	ds_store_b128 v4, v[9:12] offset:16
.LBB3_35:
	s_or_b32 exec_lo, exec_lo, s0
	s_delay_alu instid0(SALU_CYCLE_1)
	s_mov_b32 s0, exec_lo
	s_waitcnt lgkmcnt(0)
	s_barrier
	buffer_gl0_inv
	;; [unrolled: 26-line block ×3, first 2 shown]
	v_cmpx_gt_u32_e32 16, v0
	s_cbranch_execz .LBB3_39
; %bb.38:
	ds_load_b128 v[5:8], v4 offset:512
	ds_load_b128 v[9:12], v4
	ds_load_b128 v[13:16], v4 offset:16
	ds_load_b128 v[17:20], v4 offset:528
	s_waitcnt lgkmcnt(2)
	v_add_nc_u32_e32 v5, v9, v5
	v_add_nc_u32_e32 v6, v10, v6
	;; [unrolled: 1-line block ×4, first 2 shown]
	s_waitcnt lgkmcnt(0)
	v_add_nc_u32_e32 v9, v13, v17
	v_add_nc_u32_e32 v10, v14, v18
	;; [unrolled: 1-line block ×4, first 2 shown]
	ds_store_b128 v4, v[5:8]
	ds_store_b128 v4, v[9:12] offset:16
.LBB3_39:
	s_or_b32 exec_lo, exec_lo, s0
	v_cmp_gt_u32_e32 vcc_lo, 8, v0
	s_waitcnt lgkmcnt(0)
	s_barrier
	buffer_gl0_inv
	s_and_saveexec_b32 s0, vcc_lo
	s_cbranch_execz .LBB3_41
; %bb.40:
	ds_load_b128 v[5:8], v4 offset:256
	ds_load_b128 v[9:12], v4
	ds_load_b128 v[13:16], v4 offset:16
	ds_load_b128 v[17:20], v4 offset:272
	s_waitcnt lgkmcnt(2)
	v_add_nc_u32_e32 v5, v9, v5
	v_add_nc_u32_e32 v6, v10, v6
	;; [unrolled: 1-line block ×4, first 2 shown]
	s_waitcnt lgkmcnt(0)
	v_add_nc_u32_e32 v9, v13, v17
	v_add_nc_u32_e32 v10, v14, v18
	;; [unrolled: 1-line block ×4, first 2 shown]
	ds_store_b128 v4, v[5:8]
	ds_store_b128 v4, v[9:12] offset:16
.LBB3_41:
	s_or_b32 exec_lo, exec_lo, s0
	s_delay_alu instid0(SALU_CYCLE_1)
	s_mov_b32 s1, exec_lo
	s_waitcnt lgkmcnt(0)
	s_barrier
	buffer_gl0_inv
	v_cmpx_gt_u32_e32 4, v0
	s_cbranch_execz .LBB3_43
; %bb.42:
	ds_load_b128 v[5:8], v4 offset:128
	ds_load_b128 v[9:12], v4
	ds_load_b128 v[13:16], v4 offset:16
	ds_load_b128 v[17:20], v4 offset:144
	s_waitcnt lgkmcnt(2)
	v_add_nc_u32_e32 v5, v9, v5
	v_add_nc_u32_e32 v6, v10, v6
	;; [unrolled: 1-line block ×4, first 2 shown]
	s_waitcnt lgkmcnt(0)
	v_add_nc_u32_e32 v9, v13, v17
	v_add_nc_u32_e32 v10, v14, v18
	;; [unrolled: 1-line block ×4, first 2 shown]
	ds_store_b128 v4, v[5:8]
	ds_store_b128 v4, v[9:12] offset:16
.LBB3_43:
	s_or_b32 exec_lo, exec_lo, s1
	s_delay_alu instid0(SALU_CYCLE_1)
	s_mov_b32 s1, exec_lo
	s_waitcnt lgkmcnt(0)
	s_barrier
	buffer_gl0_inv
	v_cmpx_gt_u32_e32 2, v0
	s_cbranch_execz .LBB3_45
; %bb.44:
	ds_load_b128 v[5:8], v4 offset:64
	ds_load_b128 v[9:12], v4
	ds_load_b128 v[13:16], v4 offset:16
	ds_load_b128 v[17:20], v4 offset:80
	s_waitcnt lgkmcnt(2)
	v_add_nc_u32_e32 v5, v9, v5
	v_add_nc_u32_e32 v6, v10, v6
	;; [unrolled: 1-line block ×4, first 2 shown]
	s_waitcnt lgkmcnt(0)
	v_add_nc_u32_e32 v9, v13, v17
	v_add_nc_u32_e32 v10, v14, v18
	;; [unrolled: 1-line block ×4, first 2 shown]
	ds_store_b128 v4, v[5:8]
	ds_store_b128 v4, v[9:12] offset:16
.LBB3_45:
	s_or_b32 exec_lo, exec_lo, s1
	s_delay_alu instid0(SALU_CYCLE_1)
	s_mov_b32 s1, exec_lo
	s_waitcnt lgkmcnt(0)
	s_barrier
	buffer_gl0_inv
	v_cmpx_eq_u32_e32 0, v0
	s_cbranch_execz .LBB3_47
; %bb.46:
	v_mov_b32_e32 v17, 0
	ds_load_b128 v[1:4], v17 offset:32
	ds_load_b128 v[5:8], v17
	ds_load_b128 v[9:12], v17 offset:16
	ds_load_b128 v[13:16], v17 offset:48
	s_waitcnt lgkmcnt(2)
	v_add_nc_u32_e32 v2, v6, v2
	v_add_nc_u32_e32 v1, v5, v1
	;; [unrolled: 1-line block ×4, first 2 shown]
	s_waitcnt lgkmcnt(0)
	v_add_nc_u32_e32 v5, v9, v13
	v_add_nc_u32_e32 v6, v10, v14
	;; [unrolled: 1-line block ×4, first 2 shown]
	ds_store_b128 v17, v[1:4]
	ds_store_b128 v17, v[5:8] offset:16
.LBB3_47:
	s_or_b32 exec_lo, exec_lo, s1
	s_waitcnt lgkmcnt(0)
	s_barrier
	buffer_gl0_inv
	s_and_saveexec_b32 s0, vcc_lo
	s_cbranch_execz .LBB3_49
; %bb.48:
	v_lshlrev_b32_e32 v1, 2, v0
	v_lshl_or_b32 v0, s15, 3, v0
	ds_load_b32 v2, v1
	v_mov_b32_e32 v1, 0
	s_delay_alu instid0(VALU_DEP_1) | instskip(NEXT) | instid1(VALU_DEP_1)
	v_lshlrev_b64 v[0:1], 2, v[0:1]
	v_add_co_u32 v0, vcc_lo, s2, v0
	s_delay_alu instid0(VALU_DEP_2)
	v_add_co_ci_u32_e32 v1, vcc_lo, s3, v1, vcc_lo
	s_waitcnt lgkmcnt(0)
	global_store_b32 v[0:1], v2, off
.LBB3_49:
	s_nop 0
	s_sendmsg sendmsg(MSG_DEALLOC_VGPRS)
	s_endpgm
	.section	.rodata,"a",@progbits
	.p2align	6, 0x0
	.amdhsa_kernel _ZN9rocsparseL26bsrgemm_group_reduce_part2ILj256ELj8ELj8EfiiEEvT4_PKT3_PS1_Pi
		.amdhsa_group_segment_fixed_size 8192
		.amdhsa_private_segment_fixed_size 0
		.amdhsa_kernarg_size 288
		.amdhsa_user_sgpr_count 15
		.amdhsa_user_sgpr_dispatch_ptr 0
		.amdhsa_user_sgpr_queue_ptr 0
		.amdhsa_user_sgpr_kernarg_segment_ptr 1
		.amdhsa_user_sgpr_dispatch_id 0
		.amdhsa_user_sgpr_private_segment_size 0
		.amdhsa_wavefront_size32 1
		.amdhsa_uses_dynamic_stack 0
		.amdhsa_enable_private_segment 0
		.amdhsa_system_sgpr_workgroup_id_x 1
		.amdhsa_system_sgpr_workgroup_id_y 0
		.amdhsa_system_sgpr_workgroup_id_z 0
		.amdhsa_system_sgpr_workgroup_info 0
		.amdhsa_system_vgpr_workitem_id 0
		.amdhsa_next_free_vgpr 21
		.amdhsa_next_free_sgpr 18
		.amdhsa_reserve_vcc 1
		.amdhsa_float_round_mode_32 0
		.amdhsa_float_round_mode_16_64 0
		.amdhsa_float_denorm_mode_32 3
		.amdhsa_float_denorm_mode_16_64 3
		.amdhsa_dx10_clamp 1
		.amdhsa_ieee_mode 1
		.amdhsa_fp16_overflow 0
		.amdhsa_workgroup_processor_mode 1
		.amdhsa_memory_ordered 1
		.amdhsa_forward_progress 0
		.amdhsa_shared_vgpr_count 0
		.amdhsa_exception_fp_ieee_invalid_op 0
		.amdhsa_exception_fp_denorm_src 0
		.amdhsa_exception_fp_ieee_div_zero 0
		.amdhsa_exception_fp_ieee_overflow 0
		.amdhsa_exception_fp_ieee_underflow 0
		.amdhsa_exception_fp_ieee_inexact 0
		.amdhsa_exception_int_div_zero 0
	.end_amdhsa_kernel
	.section	.text._ZN9rocsparseL26bsrgemm_group_reduce_part2ILj256ELj8ELj8EfiiEEvT4_PKT3_PS1_Pi,"axG",@progbits,_ZN9rocsparseL26bsrgemm_group_reduce_part2ILj256ELj8ELj8EfiiEEvT4_PKT3_PS1_Pi,comdat
.Lfunc_end3:
	.size	_ZN9rocsparseL26bsrgemm_group_reduce_part2ILj256ELj8ELj8EfiiEEvT4_PKT3_PS1_Pi, .Lfunc_end3-_ZN9rocsparseL26bsrgemm_group_reduce_part2ILj256ELj8ELj8EfiiEEvT4_PKT3_PS1_Pi
                                        ; -- End function
	.section	.AMDGPU.csdata,"",@progbits
; Kernel info:
; codeLenInByte = 1940
; NumSgprs: 20
; NumVgprs: 21
; ScratchSize: 0
; MemoryBound: 0
; FloatMode: 240
; IeeeMode: 1
; LDSByteSize: 8192 bytes/workgroup (compile time only)
; SGPRBlocks: 2
; VGPRBlocks: 2
; NumSGPRsForWavesPerEU: 20
; NumVGPRsForWavesPerEU: 21
; Occupancy: 16
; WaveLimiterHint : 0
; COMPUTE_PGM_RSRC2:SCRATCH_EN: 0
; COMPUTE_PGM_RSRC2:USER_SGPR: 15
; COMPUTE_PGM_RSRC2:TRAP_HANDLER: 0
; COMPUTE_PGM_RSRC2:TGID_X_EN: 1
; COMPUTE_PGM_RSRC2:TGID_Y_EN: 0
; COMPUTE_PGM_RSRC2:TGID_Z_EN: 0
; COMPUTE_PGM_RSRC2:TIDIG_COMP_CNT: 0
	.section	.text._ZN9rocsparseL26bsrgemm_group_reduce_part3ILj256ELj8EiEEvPT1_,"axG",@progbits,_ZN9rocsparseL26bsrgemm_group_reduce_part3ILj256ELj8EiEEvPT1_,comdat
	.globl	_ZN9rocsparseL26bsrgemm_group_reduce_part3ILj256ELj8EiEEvPT1_ ; -- Begin function _ZN9rocsparseL26bsrgemm_group_reduce_part3ILj256ELj8EiEEvPT1_
	.p2align	8
	.type	_ZN9rocsparseL26bsrgemm_group_reduce_part3ILj256ELj8EiEEvPT1_,@function
_ZN9rocsparseL26bsrgemm_group_reduce_part3ILj256ELj8EiEEvPT1_: ; @_ZN9rocsparseL26bsrgemm_group_reduce_part3ILj256ELj8EiEEvPT1_
; %bb.0:
	s_load_b64 s[0:1], s[0:1], 0x0
	v_or_b32_e32 v1, 0x400, v0
	v_lshlrev_b32_e32 v5, 2, v0
	s_delay_alu instid0(VALU_DEP_2)
	v_lshlrev_b32_e32 v2, 2, v1
	v_cmp_gt_u32_e32 vcc_lo, 0x700, v1
	s_waitcnt lgkmcnt(0)
	s_clause 0x4
	global_load_b32 v3, v5, s[0:1]
	global_load_b32 v4, v5, s[0:1] offset:1024
	global_load_b32 v6, v5, s[0:1] offset:2048
	;; [unrolled: 1-line block ×3, first 2 shown]
	global_load_b32 v8, v2, s[0:1]
	v_add_co_u32 v1, s2, s0, v5
	s_delay_alu instid0(VALU_DEP_1)
	v_add_co_ci_u32_e64 v2, null, s1, 0, s2
	s_waitcnt vmcnt(3)
	ds_store_2addr_stride64_b32 v5, v3, v4 offset1:4
	s_waitcnt vmcnt(1)
	ds_store_2addr_stride64_b32 v5, v6, v7 offset0:8 offset1:12
	s_waitcnt vmcnt(0)
	ds_store_b32 v5, v8 offset:4096
	s_and_saveexec_b32 s2, vcc_lo
	s_cbranch_execz .LBB4_4
; %bb.1:
	v_add_co_u32 v3, vcc_lo, 0x1000, v1
	v_add_co_ci_u32_e32 v4, vcc_lo, 0, v2, vcc_lo
	s_mov_b32 s3, exec_lo
	global_load_b32 v6, v[3:4], off offset:1024
	s_waitcnt vmcnt(0)
	ds_store_b32 v5, v6 offset:5120
	v_cmpx_gt_u32_e32 0x200, v0
	s_xor_b32 s3, exec_lo, s3
	s_cbranch_execz .LBB4_4
; %bb.2:
	v_lshl_or_b32 v6, v0, 2, 0x1800
	global_load_b32 v6, v6, s[0:1]
	s_mov_b32 s0, exec_lo
	s_waitcnt vmcnt(0)
	ds_store_b32 v5, v6 offset:6144
	v_cmpx_gt_u32_e32 0x100, v0
	s_xor_b32 s0, exec_lo, s0
	s_cbranch_execz .LBB4_4
; %bb.3:
	global_load_b32 v3, v[3:4], off offset:3072
	s_waitcnt vmcnt(0)
	ds_store_b32 v5, v3 offset:7168
.LBB4_4:
	s_or_b32 exec_lo, exec_lo, s2
	s_delay_alu instid0(SALU_CYCLE_1)
	s_mov_b32 s0, exec_lo
	s_waitcnt lgkmcnt(0)
	s_barrier
	buffer_gl0_inv
	s_barrier
	buffer_gl0_inv
	;; [unrolled: 2-line block ×3, first 2 shown]
	v_cmpx_gt_u32_e32 0x80, v0
	s_cbranch_execz .LBB4_6
; %bb.5:
	v_mad_u32_u24 v3, v0, 28, v5
	ds_load_b128 v[6:9], v3 offset:4096
	ds_load_b128 v[10:13], v3
	ds_load_b128 v[14:17], v3 offset:16
	ds_load_b128 v[18:21], v3 offset:4112
	s_waitcnt lgkmcnt(2)
	v_add_nc_u32_e32 v6, v10, v6
	v_add_nc_u32_e32 v7, v11, v7
	v_add_nc_u32_e32 v8, v12, v8
	v_add_nc_u32_e32 v9, v13, v9
	s_waitcnt lgkmcnt(0)
	v_add_nc_u32_e32 v10, v14, v18
	v_add_nc_u32_e32 v11, v15, v19
	;; [unrolled: 1-line block ×4, first 2 shown]
	ds_store_b128 v3, v[6:9]
	ds_store_b128 v3, v[10:13] offset:16
.LBB4_6:
	s_or_b32 exec_lo, exec_lo, s0
	v_lshlrev_b32_e32 v3, 5, v0
	s_mov_b32 s0, exec_lo
	s_waitcnt lgkmcnt(0)
	s_barrier
	buffer_gl0_inv
	v_cmpx_gt_u32_e32 64, v0
	s_cbranch_execz .LBB4_8
; %bb.7:
	ds_load_b128 v[6:9], v3 offset:2048
	ds_load_b128 v[10:13], v3
	ds_load_b128 v[14:17], v3 offset:16
	ds_load_b128 v[18:21], v3 offset:2064
	s_waitcnt lgkmcnt(2)
	v_add_nc_u32_e32 v6, v10, v6
	v_add_nc_u32_e32 v7, v11, v7
	;; [unrolled: 1-line block ×4, first 2 shown]
	s_waitcnt lgkmcnt(0)
	v_add_nc_u32_e32 v10, v14, v18
	v_add_nc_u32_e32 v11, v15, v19
	;; [unrolled: 1-line block ×4, first 2 shown]
	ds_store_b128 v3, v[6:9]
	ds_store_b128 v3, v[10:13] offset:16
.LBB4_8:
	s_or_b32 exec_lo, exec_lo, s0
	s_delay_alu instid0(SALU_CYCLE_1)
	s_mov_b32 s0, exec_lo
	s_waitcnt lgkmcnt(0)
	s_barrier
	buffer_gl0_inv
	v_cmpx_gt_u32_e32 32, v0
	s_cbranch_execz .LBB4_10
; %bb.9:
	ds_load_b128 v[6:9], v3 offset:1024
	ds_load_b128 v[10:13], v3
	ds_load_b128 v[14:17], v3 offset:16
	ds_load_b128 v[18:21], v3 offset:1040
	s_waitcnt lgkmcnt(2)
	v_add_nc_u32_e32 v6, v10, v6
	v_add_nc_u32_e32 v7, v11, v7
	;; [unrolled: 1-line block ×4, first 2 shown]
	s_waitcnt lgkmcnt(0)
	v_add_nc_u32_e32 v10, v14, v18
	v_add_nc_u32_e32 v11, v15, v19
	v_add_nc_u32_e32 v12, v16, v20
	v_add_nc_u32_e32 v13, v17, v21
	ds_store_b128 v3, v[6:9]
	ds_store_b128 v3, v[10:13] offset:16
.LBB4_10:
	s_or_b32 exec_lo, exec_lo, s0
	s_delay_alu instid0(SALU_CYCLE_1)
	s_mov_b32 s0, exec_lo
	s_waitcnt lgkmcnt(0)
	s_barrier
	buffer_gl0_inv
	v_cmpx_gt_u32_e32 16, v0
	s_cbranch_execz .LBB4_12
; %bb.11:
	ds_load_b128 v[6:9], v3 offset:512
	ds_load_b128 v[10:13], v3
	ds_load_b128 v[14:17], v3 offset:16
	ds_load_b128 v[18:21], v3 offset:528
	s_waitcnt lgkmcnt(2)
	v_add_nc_u32_e32 v6, v10, v6
	v_add_nc_u32_e32 v7, v11, v7
	v_add_nc_u32_e32 v8, v12, v8
	v_add_nc_u32_e32 v9, v13, v9
	s_waitcnt lgkmcnt(0)
	v_add_nc_u32_e32 v10, v14, v18
	v_add_nc_u32_e32 v11, v15, v19
	;; [unrolled: 1-line block ×4, first 2 shown]
	ds_store_b128 v3, v[6:9]
	ds_store_b128 v3, v[10:13] offset:16
.LBB4_12:
	s_or_b32 exec_lo, exec_lo, s0
	v_cmp_gt_u32_e32 vcc_lo, 8, v0
	s_waitcnt lgkmcnt(0)
	s_barrier
	buffer_gl0_inv
	s_and_saveexec_b32 s0, vcc_lo
	s_cbranch_execz .LBB4_14
; %bb.13:
	ds_load_b128 v[6:9], v3 offset:256
	ds_load_b128 v[10:13], v3
	ds_load_b128 v[14:17], v3 offset:16
	ds_load_b128 v[18:21], v3 offset:272
	s_waitcnt lgkmcnt(2)
	v_add_nc_u32_e32 v6, v10, v6
	v_add_nc_u32_e32 v7, v11, v7
	;; [unrolled: 1-line block ×4, first 2 shown]
	s_waitcnt lgkmcnt(0)
	v_add_nc_u32_e32 v10, v14, v18
	v_add_nc_u32_e32 v11, v15, v19
	;; [unrolled: 1-line block ×4, first 2 shown]
	ds_store_b128 v3, v[6:9]
	ds_store_b128 v3, v[10:13] offset:16
.LBB4_14:
	s_or_b32 exec_lo, exec_lo, s0
	s_delay_alu instid0(SALU_CYCLE_1)
	s_mov_b32 s1, exec_lo
	s_waitcnt lgkmcnt(0)
	s_barrier
	buffer_gl0_inv
	v_cmpx_gt_u32_e32 4, v0
	s_cbranch_execz .LBB4_16
; %bb.15:
	ds_load_b128 v[6:9], v3 offset:128
	ds_load_b128 v[10:13], v3
	ds_load_b128 v[14:17], v3 offset:16
	ds_load_b128 v[18:21], v3 offset:144
	s_waitcnt lgkmcnt(2)
	v_add_nc_u32_e32 v6, v10, v6
	v_add_nc_u32_e32 v7, v11, v7
	v_add_nc_u32_e32 v8, v12, v8
	v_add_nc_u32_e32 v9, v13, v9
	s_waitcnt lgkmcnt(0)
	v_add_nc_u32_e32 v10, v14, v18
	v_add_nc_u32_e32 v11, v15, v19
	;; [unrolled: 1-line block ×4, first 2 shown]
	ds_store_b128 v3, v[6:9]
	ds_store_b128 v3, v[10:13] offset:16
.LBB4_16:
	s_or_b32 exec_lo, exec_lo, s1
	s_delay_alu instid0(SALU_CYCLE_1)
	s_mov_b32 s1, exec_lo
	s_waitcnt lgkmcnt(0)
	s_barrier
	buffer_gl0_inv
	v_cmpx_gt_u32_e32 2, v0
	s_cbranch_execz .LBB4_18
; %bb.17:
	ds_load_b128 v[6:9], v3 offset:64
	ds_load_b128 v[10:13], v3
	ds_load_b128 v[14:17], v3 offset:16
	ds_load_b128 v[18:21], v3 offset:80
	s_waitcnt lgkmcnt(2)
	v_add_nc_u32_e32 v6, v10, v6
	v_add_nc_u32_e32 v7, v11, v7
	;; [unrolled: 1-line block ×4, first 2 shown]
	s_waitcnt lgkmcnt(0)
	v_add_nc_u32_e32 v10, v14, v18
	v_add_nc_u32_e32 v11, v15, v19
	;; [unrolled: 1-line block ×4, first 2 shown]
	ds_store_b128 v3, v[6:9]
	ds_store_b128 v3, v[10:13] offset:16
.LBB4_18:
	s_or_b32 exec_lo, exec_lo, s1
	s_delay_alu instid0(SALU_CYCLE_1)
	s_mov_b32 s1, exec_lo
	s_waitcnt lgkmcnt(0)
	s_barrier
	buffer_gl0_inv
	v_cmpx_eq_u32_e32 0, v0
	s_cbranch_execz .LBB4_20
; %bb.19:
	v_mov_b32_e32 v0, 0
	ds_load_b128 v[6:9], v0 offset:32
	ds_load_b128 v[10:13], v0
	ds_load_b128 v[14:17], v0 offset:16
	ds_load_b128 v[18:21], v0 offset:48
	s_waitcnt lgkmcnt(2)
	v_add_nc_u32_e32 v7, v11, v7
	v_add_nc_u32_e32 v6, v10, v6
	;; [unrolled: 1-line block ×4, first 2 shown]
	s_waitcnt lgkmcnt(0)
	v_add_nc_u32_e32 v10, v14, v18
	v_add_nc_u32_e32 v11, v15, v19
	;; [unrolled: 1-line block ×4, first 2 shown]
	ds_store_b128 v0, v[6:9]
	ds_store_b128 v0, v[10:13] offset:16
.LBB4_20:
	s_or_b32 exec_lo, exec_lo, s1
	s_waitcnt lgkmcnt(0)
	s_barrier
	buffer_gl0_inv
	s_and_saveexec_b32 s0, vcc_lo
	s_cbranch_execz .LBB4_22
; %bb.21:
	ds_load_b32 v0, v5
	s_waitcnt lgkmcnt(0)
	global_store_b32 v[1:2], v0, off
.LBB4_22:
	s_nop 0
	s_sendmsg sendmsg(MSG_DEALLOC_VGPRS)
	s_endpgm
	.section	.rodata,"a",@progbits
	.p2align	6, 0x0
	.amdhsa_kernel _ZN9rocsparseL26bsrgemm_group_reduce_part3ILj256ELj8EiEEvPT1_
		.amdhsa_group_segment_fixed_size 8192
		.amdhsa_private_segment_fixed_size 0
		.amdhsa_kernarg_size 8
		.amdhsa_user_sgpr_count 15
		.amdhsa_user_sgpr_dispatch_ptr 0
		.amdhsa_user_sgpr_queue_ptr 0
		.amdhsa_user_sgpr_kernarg_segment_ptr 1
		.amdhsa_user_sgpr_dispatch_id 0
		.amdhsa_user_sgpr_private_segment_size 0
		.amdhsa_wavefront_size32 1
		.amdhsa_uses_dynamic_stack 0
		.amdhsa_enable_private_segment 0
		.amdhsa_system_sgpr_workgroup_id_x 1
		.amdhsa_system_sgpr_workgroup_id_y 0
		.amdhsa_system_sgpr_workgroup_id_z 0
		.amdhsa_system_sgpr_workgroup_info 0
		.amdhsa_system_vgpr_workitem_id 0
		.amdhsa_next_free_vgpr 22
		.amdhsa_next_free_sgpr 4
		.amdhsa_reserve_vcc 1
		.amdhsa_float_round_mode_32 0
		.amdhsa_float_round_mode_16_64 0
		.amdhsa_float_denorm_mode_32 3
		.amdhsa_float_denorm_mode_16_64 3
		.amdhsa_dx10_clamp 1
		.amdhsa_ieee_mode 1
		.amdhsa_fp16_overflow 0
		.amdhsa_workgroup_processor_mode 1
		.amdhsa_memory_ordered 1
		.amdhsa_forward_progress 0
		.amdhsa_shared_vgpr_count 0
		.amdhsa_exception_fp_ieee_invalid_op 0
		.amdhsa_exception_fp_denorm_src 0
		.amdhsa_exception_fp_ieee_div_zero 0
		.amdhsa_exception_fp_ieee_overflow 0
		.amdhsa_exception_fp_ieee_underflow 0
		.amdhsa_exception_fp_ieee_inexact 0
		.amdhsa_exception_int_div_zero 0
	.end_amdhsa_kernel
	.section	.text._ZN9rocsparseL26bsrgemm_group_reduce_part3ILj256ELj8EiEEvPT1_,"axG",@progbits,_ZN9rocsparseL26bsrgemm_group_reduce_part3ILj256ELj8EiEEvPT1_,comdat
.Lfunc_end4:
	.size	_ZN9rocsparseL26bsrgemm_group_reduce_part3ILj256ELj8EiEEvPT1_, .Lfunc_end4-_ZN9rocsparseL26bsrgemm_group_reduce_part3ILj256ELj8EiEEvPT1_
                                        ; -- End function
	.section	.AMDGPU.csdata,"",@progbits
; Kernel info:
; codeLenInByte = 1364
; NumSgprs: 6
; NumVgprs: 22
; ScratchSize: 0
; MemoryBound: 0
; FloatMode: 240
; IeeeMode: 1
; LDSByteSize: 8192 bytes/workgroup (compile time only)
; SGPRBlocks: 0
; VGPRBlocks: 2
; NumSGPRsForWavesPerEU: 6
; NumVGPRsForWavesPerEU: 22
; Occupancy: 16
; WaveLimiterHint : 1
; COMPUTE_PGM_RSRC2:SCRATCH_EN: 0
; COMPUTE_PGM_RSRC2:USER_SGPR: 15
; COMPUTE_PGM_RSRC2:TRAP_HANDLER: 0
; COMPUTE_PGM_RSRC2:TGID_X_EN: 1
; COMPUTE_PGM_RSRC2:TGID_Y_EN: 0
; COMPUTE_PGM_RSRC2:TGID_Z_EN: 0
; COMPUTE_PGM_RSRC2:TIDIG_COMP_CNT: 0
	.section	.text._ZN9rocsparseL27bsrgemm_fill_wf_per_row_2x2ILj256ELj16ELj8ELj137EiifEEv20rocsparse_direction_T4_S2_PKS2_S4_NS_24const_host_device_scalarIT5_EEPKT3_S4_PKS6_SA_S4_SC_S7_SA_S4_SC_SA_PS2_PS6_21rocsparse_index_base_SF_SF_SF_bbb,"axG",@progbits,_ZN9rocsparseL27bsrgemm_fill_wf_per_row_2x2ILj256ELj16ELj8ELj137EiifEEv20rocsparse_direction_T4_S2_PKS2_S4_NS_24const_host_device_scalarIT5_EEPKT3_S4_PKS6_SA_S4_SC_S7_SA_S4_SC_SA_PS2_PS6_21rocsparse_index_base_SF_SF_SF_bbb,comdat
	.globl	_ZN9rocsparseL27bsrgemm_fill_wf_per_row_2x2ILj256ELj16ELj8ELj137EiifEEv20rocsparse_direction_T4_S2_PKS2_S4_NS_24const_host_device_scalarIT5_EEPKT3_S4_PKS6_SA_S4_SC_S7_SA_S4_SC_SA_PS2_PS6_21rocsparse_index_base_SF_SF_SF_bbb ; -- Begin function _ZN9rocsparseL27bsrgemm_fill_wf_per_row_2x2ILj256ELj16ELj8ELj137EiifEEv20rocsparse_direction_T4_S2_PKS2_S4_NS_24const_host_device_scalarIT5_EEPKT3_S4_PKS6_SA_S4_SC_S7_SA_S4_SC_SA_PS2_PS6_21rocsparse_index_base_SF_SF_SF_bbb
	.p2align	8
	.type	_ZN9rocsparseL27bsrgemm_fill_wf_per_row_2x2ILj256ELj16ELj8ELj137EiifEEv20rocsparse_direction_T4_S2_PKS2_S4_NS_24const_host_device_scalarIT5_EEPKT3_S4_PKS6_SA_S4_SC_S7_SA_S4_SC_SA_PS2_PS6_21rocsparse_index_base_SF_SF_SF_bbb,@function
_ZN9rocsparseL27bsrgemm_fill_wf_per_row_2x2ILj256ELj16ELj8ELj137EiifEEv20rocsparse_direction_T4_S2_PKS2_S4_NS_24const_host_device_scalarIT5_EEPKT3_S4_PKS6_SA_S4_SC_S7_SA_S4_SC_SA_PS2_PS6_21rocsparse_index_base_SF_SF_SF_bbb: ; @_ZN9rocsparseL27bsrgemm_fill_wf_per_row_2x2ILj256ELj16ELj8ELj137EiifEEv20rocsparse_direction_T4_S2_PKS2_S4_NS_24const_host_device_scalarIT5_EEPKT3_S4_PKS6_SA_S4_SC_S7_SA_S4_SC_SA_PS2_PS6_21rocsparse_index_base_SF_SF_SF_bbb
; %bb.0:
	s_clause 0x2
	s_load_b32 s6, s[0:1], 0xa0
	s_load_b64 s[4:5], s[0:1], 0x20
	s_load_b64 s[2:3], s[0:1], 0x58
	s_waitcnt lgkmcnt(0)
	s_bitcmp1_b32 s6, 0
	s_cselect_b32 s13, -1, 0
	s_bitcmp1_b32 s6, 16
	s_cselect_b32 s7, -1, 0
	s_xor_b32 s8, s13, -1
	s_delay_alu instid0(SALU_CYCLE_1) | instskip(NEXT) | instid1(SALU_CYCLE_1)
	s_or_b32 s8, s8, s7
	s_and_b32 vcc_lo, exec_lo, s8
	s_cbranch_vccnz .LBB5_2
; %bb.1:
	s_load_b32 s4, s[4:5], 0x0
	s_waitcnt lgkmcnt(0)
	v_mov_b32_e32 v10, s4
	s_branch .LBB5_3
.LBB5_2:
	v_cndmask_b32_e64 v10, 0, s4, s13
.LBB5_3:
	s_load_b128 s[36:39], s[0:1], 0x90
	s_bitcmp1_b32 s6, 8
	s_cselect_b32 s12, -1, 0
	s_delay_alu instid0(SALU_CYCLE_1) | instskip(NEXT) | instid1(SALU_CYCLE_1)
	s_xor_b32 s4, s12, -1
	s_or_b32 s4, s4, s7
	s_delay_alu instid0(SALU_CYCLE_1)
	s_and_b32 vcc_lo, exec_lo, s4
	s_cbranch_vccnz .LBB5_5
; %bb.4:
	s_load_b32 s2, s[2:3], 0x0
	s_waitcnt lgkmcnt(0)
	v_mov_b32_e32 v6, s2
	s_branch .LBB5_6
.LBB5_5:
	v_cndmask_b32_e64 v6, 0, s2, s12
.LBB5_6:
	s_clause 0x4
	s_load_b128 s[40:43], s[0:1], 0x80
	s_load_b256 s[16:23], s[0:1], 0x60
	s_load_b128 s[44:47], s[0:1], 0x48
	s_load_b256 s[4:11], s[0:1], 0x0
	s_load_b256 s[24:31], s[0:1], 0x28
	v_lshrrev_b32_e32 v1, 4, v0
	v_and_b32_e32 v8, 15, v0
	s_delay_alu instid0(VALU_DEP_2) | instskip(NEXT) | instid1(VALU_DEP_2)
	v_lshl_or_b32 v7, v1, 5, 0x800
	v_cmp_gt_u32_e64 s0, 8, v8
	s_delay_alu instid0(VALU_DEP_1)
	s_and_saveexec_b32 s1, s0
	s_cbranch_execz .LBB5_8
; %bb.7:
	s_delay_alu instid0(VALU_DEP_2)
	v_lshl_add_u32 v0, v8, 2, v7
	s_waitcnt lgkmcnt(0)
	v_mov_b32_e32 v2, s6
	ds_store_b32 v0, v2
.LBB5_8:
	s_or_b32 exec_lo, exec_lo, s1
	v_lshlrev_b32_e32 v5, 2, v8
	v_or_b32_e32 v0, -16, v8
	v_mov_b32_e32 v3, 0
	s_mov_b32 s1, 0
	s_delay_alu instid0(VALU_DEP_3)
	v_lshl_or_b32 v2, v1, 7, v5
.LBB5_9:                                ; =>This Inner Loop Header: Depth=1
	s_delay_alu instid0(VALU_DEP_3) | instskip(NEXT) | instid1(VALU_DEP_1)
	v_add_co_u32 v0, s2, v0, 16
	s_xor_b32 s2, s2, -1
	ds_store_b32 v2, v3
	v_add_nc_u32_e32 v2, 64, v2
	s_and_b32 s2, exec_lo, s2
	s_delay_alu instid0(SALU_CYCLE_1) | instskip(NEXT) | instid1(SALU_CYCLE_1)
	s_or_b32 s1, s2, s1
	s_and_not1_b32 exec_lo, exec_lo, s1
	s_cbranch_execnz .LBB5_9
; %bb.10:
	s_or_b32 exec_lo, exec_lo, s1
	v_lshl_or_b32 v0, s15, 4, v1
	s_waitcnt lgkmcnt(0)
	s_barrier
	buffer_gl0_inv
	s_mov_b32 s1, exec_lo
	v_cmpx_gt_i32_e64 s5, v0
	s_cbranch_execz .LBB5_16
; %bb.11:
	s_cmp_eq_u64 s[10:11], 0
	s_cbranch_scc1 .LBB5_13
; %bb.12:
	s_load_b32 s1, s[8:9], 0x0
	s_waitcnt lgkmcnt(0)
	v_add_nc_u32_e32 v2, s1, v0
	s_delay_alu instid0(VALU_DEP_1) | instskip(NEXT) | instid1(VALU_DEP_1)
	v_ashrrev_i32_e32 v3, 31, v2
	v_lshlrev_b64 v[2:3], 2, v[2:3]
	s_delay_alu instid0(VALU_DEP_1) | instskip(NEXT) | instid1(VALU_DEP_2)
	v_add_co_u32 v2, vcc_lo, s10, v2
	v_add_co_ci_u32_e32 v3, vcc_lo, s11, v3, vcc_lo
	global_load_b32 v0, v[2:3], off
.LBB5_13:
	v_lshlrev_b32_e32 v9, 7, v1
	s_waitcnt vmcnt(0)
	v_ashrrev_i32_e32 v1, 31, v0
	s_and_not1_b32 vcc_lo, exec_lo, s13
	s_cbranch_vccz .LBB5_17
; %bb.14:
	s_and_not1_b32 vcc_lo, exec_lo, s12
	buffer_gl0_inv
	s_cbranch_vccz .LBB5_72
.LBB5_15:
	buffer_gl0_inv
	s_and_b32 exec_lo, exec_lo, s0
	s_cbranch_execnz .LBB5_124
.LBB5_16:
	s_endpgm
.LBB5_17:
	s_delay_alu instid0(VALU_DEP_1) | instskip(SKIP_2) | instid1(VALU_DEP_2)
	v_lshlrev_b64 v[2:3], 2, v[0:1]
	v_subrev_nc_u32_e32 v4, s36, v8
	s_mov_b32 s1, exec_lo
	v_add_co_u32 v2, vcc_lo, s24, v2
	s_delay_alu instid0(VALU_DEP_3) | instskip(SKIP_4) | instid1(VALU_DEP_1)
	v_add_co_ci_u32_e32 v3, vcc_lo, s25, v3, vcc_lo
	global_load_b64 v[2:3], v[2:3], off
	s_waitcnt vmcnt(0)
	v_subrev_nc_u32_e32 v11, s36, v3
	v_add_nc_u32_e32 v2, v2, v4
	v_cmpx_lt_i32_e64 v2, v11
	s_cbranch_execz .LBB5_71
; %bb.18:
	v_add_nc_u32_e32 v12, 4, v9
	v_add_nc_u32_e32 v13, 8, v9
	;; [unrolled: 1-line block ×3, first 2 shown]
	s_cmp_eq_u32 s4, 0
	s_mov_b32 s2, 0
	s_cselect_b32 s3, 1, 2
	s_cselect_b32 s5, 2, 1
	s_branch .LBB5_20
.LBB5_19:                               ;   in Loop: Header=BB5_20 Depth=1
	s_or_b32 exec_lo, exec_lo, s7
	v_add_nc_u32_e32 v2, 16, v2
	s_delay_alu instid0(VALU_DEP_1) | instskip(SKIP_1) | instid1(SALU_CYCLE_1)
	v_cmp_ge_i32_e32 vcc_lo, v2, v11
	s_or_b32 s2, vcc_lo, s2
	s_and_not1_b32 exec_lo, exec_lo, s2
	s_cbranch_execz .LBB5_71
.LBB5_20:                               ; =>This Loop Header: Depth=1
                                        ;     Child Loop BB5_23 Depth 2
                                        ;       Child Loop BB5_25 Depth 3
                                        ;       Child Loop BB5_37 Depth 3
	;; [unrolled: 1-line block ×4, first 2 shown]
	v_ashrrev_i32_e32 v3, 31, v2
	s_mov_b32 s7, exec_lo
	s_delay_alu instid0(VALU_DEP_1) | instskip(NEXT) | instid1(VALU_DEP_1)
	v_lshlrev_b64 v[3:4], 2, v[2:3]
	v_add_co_u32 v3, vcc_lo, s26, v3
	s_delay_alu instid0(VALU_DEP_2) | instskip(SKIP_3) | instid1(VALU_DEP_1)
	v_add_co_ci_u32_e32 v4, vcc_lo, s27, v4, vcc_lo
	global_load_b32 v3, v[3:4], off
	s_waitcnt vmcnt(0)
	v_subrev_nc_u32_e32 v3, s36, v3
	v_ashrrev_i32_e32 v4, 31, v3
	s_delay_alu instid0(VALU_DEP_1) | instskip(NEXT) | instid1(VALU_DEP_1)
	v_lshlrev_b64 v[3:4], 2, v[3:4]
	v_add_co_u32 v3, vcc_lo, s30, v3
	s_delay_alu instid0(VALU_DEP_2)
	v_add_co_ci_u32_e32 v4, vcc_lo, s31, v4, vcc_lo
	global_load_b64 v[3:4], v[3:4], off
	s_waitcnt vmcnt(0)
	v_cmpx_lt_i32_e64 v3, v4
	s_cbranch_execz .LBB5_19
; %bb.21:                               ;   in Loop: Header=BB5_20 Depth=1
	v_lshlrev_b32_e32 v15, 2, v2
	v_subrev_nc_u32_e32 v3, s37, v3
	s_mov_b32 s8, 0
	s_delay_alu instid0(VALU_DEP_2) | instskip(SKIP_2) | instid1(VALU_DEP_3)
	v_or_b32_e32 v17, s5, v15
	v_ashrrev_i32_e32 v16, 31, v15
	v_or_b32_e32 v19, s3, v15
	v_ashrrev_i32_e32 v18, 31, v17
	s_delay_alu instid0(VALU_DEP_3) | instskip(NEXT) | instid1(VALU_DEP_3)
	v_lshlrev_b64 v[15:16], 2, v[15:16]
	v_ashrrev_i32_e32 v20, 31, v19
	s_delay_alu instid0(VALU_DEP_3) | instskip(NEXT) | instid1(VALU_DEP_2)
	v_lshlrev_b64 v[17:18], 2, v[17:18]
	v_lshlrev_b64 v[19:20], 2, v[19:20]
	s_delay_alu instid0(VALU_DEP_4) | instskip(SKIP_1) | instid1(VALU_DEP_4)
	v_add_co_u32 v15, vcc_lo, s28, v15
	v_add_co_ci_u32_e32 v16, vcc_lo, s29, v16, vcc_lo
	v_add_co_u32 v17, vcc_lo, s28, v17
	v_add_co_ci_u32_e32 v18, vcc_lo, s29, v18, vcc_lo
	;; [unrolled: 2-line block ×3, first 2 shown]
	s_clause 0x3
	global_load_b32 v21, v[15:16], off offset:12
	global_load_b32 v17, v[17:18], off
	global_load_b32 v19, v[19:20], off
	;; [unrolled: 1-line block ×3, first 2 shown]
	v_subrev_nc_u32_e32 v15, s37, v4
	s_waitcnt vmcnt(3)
	v_mul_f32_e32 v16, v10, v21
	s_waitcnt vmcnt(2)
	v_mul_f32_e32 v17, v10, v17
	;; [unrolled: 2-line block ×4, first 2 shown]
	s_branch .LBB5_23
.LBB5_22:                               ;   in Loop: Header=BB5_23 Depth=2
	s_or_b32 exec_lo, exec_lo, s9
	v_add_nc_u32_e32 v3, 1, v3
	s_delay_alu instid0(VALU_DEP_1) | instskip(SKIP_1) | instid1(SALU_CYCLE_1)
	v_cmp_ge_i32_e32 vcc_lo, v3, v15
	s_or_b32 s8, vcc_lo, s8
	s_and_not1_b32 exec_lo, exec_lo, s8
	s_cbranch_execz .LBB5_19
.LBB5_23:                               ;   Parent Loop BB5_20 Depth=1
                                        ; =>  This Loop Header: Depth=2
                                        ;       Child Loop BB5_25 Depth 3
                                        ;       Child Loop BB5_37 Depth 3
	;; [unrolled: 1-line block ×4, first 2 shown]
	v_lshlrev_b32_e32 v20, 2, v3
	v_ashrrev_i32_e32 v4, 31, v3
	s_mov_b32 s9, 0
	s_delay_alu instid0(VALU_DEP_2) | instskip(NEXT) | instid1(VALU_DEP_2)
	v_or_b32_e32 v24, s5, v20
	v_lshlrev_b64 v[26:27], 2, v[3:4]
	v_or_b32_e32 v22, s3, v20
	v_ashrrev_i32_e32 v21, 31, v20
	s_delay_alu instid0(VALU_DEP_4) | instskip(NEXT) | instid1(VALU_DEP_3)
	v_ashrrev_i32_e32 v25, 31, v24
	v_ashrrev_i32_e32 v23, 31, v22
	v_add_co_u32 v26, vcc_lo, s44, v26
	s_delay_alu instid0(VALU_DEP_3)
	v_lshlrev_b64 v[24:25], 2, v[24:25]
	v_add_co_ci_u32_e32 v27, vcc_lo, s45, v27, vcc_lo
	v_lshlrev_b64 v[20:21], 2, v[20:21]
	v_lshlrev_b64 v[28:29], 2, v[22:23]
	global_load_b32 v4, v[26:27], off
	v_add_co_u32 v22, vcc_lo, s46, v24
	v_add_co_ci_u32_e32 v23, vcc_lo, s47, v25, vcc_lo
	v_add_co_u32 v25, vcc_lo, s46, v20
	v_add_co_ci_u32_e32 v26, vcc_lo, s47, v21, vcc_lo
	global_load_b32 v23, v[22:23], off
	v_add_co_u32 v20, vcc_lo, s46, v28
	v_add_co_ci_u32_e32 v21, vcc_lo, s47, v29, vcc_lo
	s_clause 0x2
	global_load_b32 v24, v[25:26], off
	global_load_b32 v21, v[20:21], off
	global_load_b32 v22, v[25:26], off offset:12
	s_waitcnt vmcnt(4)
	v_subrev_nc_u32_e32 v4, s37, v4
	s_waitcnt vmcnt(3)
	s_delay_alu instid0(VALU_DEP_1) | instskip(SKIP_1) | instid1(VALU_DEP_1)
	v_dual_mul_f32 v25, v19, v23 :: v_dual_and_b32 v20, 7, v4
	s_waitcnt vmcnt(2)
	v_dual_mov_b32 v26, v20 :: v_dual_fmac_f32 v25, v18, v24
	s_branch .LBB5_25
.LBB5_24:                               ;   in Loop: Header=BB5_25 Depth=3
	s_or_b32 exec_lo, exec_lo, s10
	s_xor_b32 s10, s11, -1
	s_delay_alu instid0(SALU_CYCLE_1) | instskip(NEXT) | instid1(SALU_CYCLE_1)
	s_and_b32 s10, exec_lo, s10
	s_or_b32 s9, s10, s9
	s_delay_alu instid0(SALU_CYCLE_1)
	s_and_not1_b32 exec_lo, exec_lo, s9
	s_cbranch_execz .LBB5_35
.LBB5_25:                               ;   Parent Loop BB5_20 Depth=1
                                        ;     Parent Loop BB5_23 Depth=2
                                        ; =>    This Inner Loop Header: Depth=3
	s_delay_alu instid0(VALU_DEP_1)
	v_lshl_add_u32 v27, v26, 2, v7
	s_mov_b32 s10, exec_lo
                                        ; implicit-def: $sgpr11
	ds_load_b32 v28, v27
	s_waitcnt lgkmcnt(0)
	v_cmpx_ne_u32_e64 v28, v4
	s_xor_b32 s10, exec_lo, s10
	s_cbranch_execz .LBB5_33
; %bb.26:                               ;   in Loop: Header=BB5_25 Depth=3
	s_mov_b32 s13, exec_lo
                                        ; implicit-def: $sgpr11
	v_cmpx_ne_u32_e64 s6, v28
	s_xor_b32 s13, exec_lo, s13
; %bb.27:                               ;   in Loop: Header=BB5_25 Depth=3
	v_add_nc_u32_e32 v26, 1, v26
	s_mov_b32 s11, -1
                                        ; implicit-def: $vgpr27
	s_delay_alu instid0(VALU_DEP_1)
	v_and_b32_e32 v26, 7, v26
; %bb.28:                               ;   in Loop: Header=BB5_25 Depth=3
	s_and_not1_saveexec_b32 s13, s13
	s_cbranch_execz .LBB5_32
; %bb.29:                               ;   in Loop: Header=BB5_25 Depth=3
	v_mov_b32_e32 v28, s6
	s_mov_b32 s14, -1
	s_mov_b32 s15, exec_lo
	ds_cmpstore_rtn_b32 v27, v27, v4, v28
	s_waitcnt lgkmcnt(0)
	v_cmpx_eq_u32_e64 s6, v27
	s_cbranch_execz .LBB5_31
; %bb.30:                               ;   in Loop: Header=BB5_25 Depth=3
	v_lshl_add_u32 v27, v26, 4, v9
	s_xor_b32 s14, exec_lo, -1
	ds_add_f32 v27, v25
.LBB5_31:                               ;   in Loop: Header=BB5_25 Depth=3
	s_or_b32 exec_lo, exec_lo, s15
	s_delay_alu instid0(SALU_CYCLE_1) | instskip(SKIP_1) | instid1(SALU_CYCLE_1)
	s_and_not1_b32 s11, s11, exec_lo
	s_and_b32 s14, s14, exec_lo
	s_or_b32 s11, s11, s14
.LBB5_32:                               ;   in Loop: Header=BB5_25 Depth=3
	s_or_b32 exec_lo, exec_lo, s13
	s_delay_alu instid0(SALU_CYCLE_1)
	s_and_b32 s11, s11, exec_lo
.LBB5_33:                               ;   in Loop: Header=BB5_25 Depth=3
	s_and_not1_saveexec_b32 s10, s10
	s_cbranch_execz .LBB5_24
; %bb.34:                               ;   in Loop: Header=BB5_25 Depth=3
	v_lshl_add_u32 v27, v26, 4, v9
	s_and_not1_b32 s11, s11, exec_lo
	ds_add_f32 v27, v25
	s_branch .LBB5_24
.LBB5_35:                               ;   in Loop: Header=BB5_23 Depth=2
	s_or_b32 exec_lo, exec_lo, s9
	s_waitcnt vmcnt(0)
	v_dual_mul_f32 v25, v19, v22 :: v_dual_mov_b32 v26, v20
	s_mov_b32 s9, 0
	s_delay_alu instid0(VALU_DEP_1)
	v_fmac_f32_e32 v25, v18, v21
	s_branch .LBB5_37
.LBB5_36:                               ;   in Loop: Header=BB5_37 Depth=3
	s_or_b32 exec_lo, exec_lo, s10
	s_xor_b32 s10, s11, -1
	s_delay_alu instid0(SALU_CYCLE_1) | instskip(NEXT) | instid1(SALU_CYCLE_1)
	s_and_b32 s10, exec_lo, s10
	s_or_b32 s9, s10, s9
	s_delay_alu instid0(SALU_CYCLE_1)
	s_and_not1_b32 exec_lo, exec_lo, s9
	s_cbranch_execz .LBB5_47
.LBB5_37:                               ;   Parent Loop BB5_20 Depth=1
                                        ;     Parent Loop BB5_23 Depth=2
                                        ; =>    This Inner Loop Header: Depth=3
	s_delay_alu instid0(VALU_DEP_2)
	v_lshl_add_u32 v27, v26, 2, v7
	s_mov_b32 s10, exec_lo
                                        ; implicit-def: $sgpr11
	ds_load_b32 v28, v27
	s_waitcnt lgkmcnt(0)
	v_cmpx_ne_u32_e64 v28, v4
	s_xor_b32 s10, exec_lo, s10
	s_cbranch_execz .LBB5_45
; %bb.38:                               ;   in Loop: Header=BB5_37 Depth=3
	s_mov_b32 s13, exec_lo
                                        ; implicit-def: $sgpr11
	v_cmpx_ne_u32_e64 s6, v28
	s_xor_b32 s13, exec_lo, s13
; %bb.39:                               ;   in Loop: Header=BB5_37 Depth=3
	v_add_nc_u32_e32 v26, 1, v26
	s_mov_b32 s11, -1
                                        ; implicit-def: $vgpr27
	s_delay_alu instid0(VALU_DEP_1)
	v_and_b32_e32 v26, 7, v26
; %bb.40:                               ;   in Loop: Header=BB5_37 Depth=3
	s_and_not1_saveexec_b32 s13, s13
	s_cbranch_execz .LBB5_44
; %bb.41:                               ;   in Loop: Header=BB5_37 Depth=3
	v_mov_b32_e32 v28, s6
	s_mov_b32 s14, -1
	s_mov_b32 s15, exec_lo
	ds_cmpstore_rtn_b32 v27, v27, v4, v28
	s_waitcnt lgkmcnt(0)
	v_cmpx_eq_u32_e64 s6, v27
	s_cbranch_execz .LBB5_43
; %bb.42:                               ;   in Loop: Header=BB5_37 Depth=3
	v_lshl_add_u32 v27, v26, 4, v12
	s_xor_b32 s14, exec_lo, -1
	ds_add_f32 v27, v25
.LBB5_43:                               ;   in Loop: Header=BB5_37 Depth=3
	s_or_b32 exec_lo, exec_lo, s15
	s_delay_alu instid0(SALU_CYCLE_1) | instskip(SKIP_1) | instid1(SALU_CYCLE_1)
	s_and_not1_b32 s11, s11, exec_lo
	s_and_b32 s14, s14, exec_lo
	s_or_b32 s11, s11, s14
.LBB5_44:                               ;   in Loop: Header=BB5_37 Depth=3
	s_or_b32 exec_lo, exec_lo, s13
	s_delay_alu instid0(SALU_CYCLE_1)
	s_and_b32 s11, s11, exec_lo
.LBB5_45:                               ;   in Loop: Header=BB5_37 Depth=3
	s_and_not1_saveexec_b32 s10, s10
	s_cbranch_execz .LBB5_36
; %bb.46:                               ;   in Loop: Header=BB5_37 Depth=3
	v_lshl_add_u32 v27, v26, 4, v12
	s_and_not1_b32 s11, s11, exec_lo
	ds_add_f32 v27, v25
	s_branch .LBB5_36
.LBB5_47:                               ;   in Loop: Header=BB5_23 Depth=2
	s_or_b32 exec_lo, exec_lo, s9
	v_mul_f32_e32 v23, v16, v23
	s_mov_b32 s9, 0
	s_delay_alu instid0(VALU_DEP_1)
	v_dual_fmac_f32 v23, v17, v24 :: v_dual_mov_b32 v24, v20
	s_branch .LBB5_49
.LBB5_48:                               ;   in Loop: Header=BB5_49 Depth=3
	s_or_b32 exec_lo, exec_lo, s10
	s_xor_b32 s10, s11, -1
	s_delay_alu instid0(SALU_CYCLE_1) | instskip(NEXT) | instid1(SALU_CYCLE_1)
	s_and_b32 s10, exec_lo, s10
	s_or_b32 s9, s10, s9
	s_delay_alu instid0(SALU_CYCLE_1)
	s_and_not1_b32 exec_lo, exec_lo, s9
	s_cbranch_execz .LBB5_59
.LBB5_49:                               ;   Parent Loop BB5_20 Depth=1
                                        ;     Parent Loop BB5_23 Depth=2
                                        ; =>    This Inner Loop Header: Depth=3
	s_delay_alu instid0(VALU_DEP_1)
	v_lshl_add_u32 v25, v24, 2, v7
	s_mov_b32 s10, exec_lo
                                        ; implicit-def: $sgpr11
	ds_load_b32 v26, v25
	s_waitcnt lgkmcnt(0)
	v_cmpx_ne_u32_e64 v26, v4
	s_xor_b32 s10, exec_lo, s10
	s_cbranch_execz .LBB5_57
; %bb.50:                               ;   in Loop: Header=BB5_49 Depth=3
	s_mov_b32 s13, exec_lo
                                        ; implicit-def: $sgpr11
	v_cmpx_ne_u32_e64 s6, v26
	s_xor_b32 s13, exec_lo, s13
; %bb.51:                               ;   in Loop: Header=BB5_49 Depth=3
	v_add_nc_u32_e32 v24, 1, v24
	s_mov_b32 s11, -1
                                        ; implicit-def: $vgpr25
	s_delay_alu instid0(VALU_DEP_1)
	v_and_b32_e32 v24, 7, v24
; %bb.52:                               ;   in Loop: Header=BB5_49 Depth=3
	s_and_not1_saveexec_b32 s13, s13
	s_cbranch_execz .LBB5_56
; %bb.53:                               ;   in Loop: Header=BB5_49 Depth=3
	v_mov_b32_e32 v26, s6
	s_mov_b32 s14, -1
	s_mov_b32 s15, exec_lo
	ds_cmpstore_rtn_b32 v25, v25, v4, v26
	s_waitcnt lgkmcnt(0)
	v_cmpx_eq_u32_e64 s6, v25
	s_cbranch_execz .LBB5_55
; %bb.54:                               ;   in Loop: Header=BB5_49 Depth=3
	v_lshl_add_u32 v25, v24, 4, v13
	s_xor_b32 s14, exec_lo, -1
	ds_add_f32 v25, v23
.LBB5_55:                               ;   in Loop: Header=BB5_49 Depth=3
	s_or_b32 exec_lo, exec_lo, s15
	s_delay_alu instid0(SALU_CYCLE_1) | instskip(SKIP_1) | instid1(SALU_CYCLE_1)
	s_and_not1_b32 s11, s11, exec_lo
	s_and_b32 s14, s14, exec_lo
	s_or_b32 s11, s11, s14
.LBB5_56:                               ;   in Loop: Header=BB5_49 Depth=3
	s_or_b32 exec_lo, exec_lo, s13
	s_delay_alu instid0(SALU_CYCLE_1)
	s_and_b32 s11, s11, exec_lo
.LBB5_57:                               ;   in Loop: Header=BB5_49 Depth=3
	s_and_not1_saveexec_b32 s10, s10
	s_cbranch_execz .LBB5_48
; %bb.58:                               ;   in Loop: Header=BB5_49 Depth=3
	v_lshl_add_u32 v25, v24, 4, v13
	s_and_not1_b32 s11, s11, exec_lo
	ds_add_f32 v25, v23
	s_branch .LBB5_48
.LBB5_59:                               ;   in Loop: Header=BB5_23 Depth=2
	s_or_b32 exec_lo, exec_lo, s9
	v_mul_f32_e32 v22, v16, v22
	s_mov_b32 s9, 0
	s_delay_alu instid0(VALU_DEP_1)
	v_fmac_f32_e32 v22, v17, v21
	s_branch .LBB5_61
.LBB5_60:                               ;   in Loop: Header=BB5_61 Depth=3
	s_or_b32 exec_lo, exec_lo, s10
	s_xor_b32 s10, s11, -1
	s_delay_alu instid0(SALU_CYCLE_1) | instskip(NEXT) | instid1(SALU_CYCLE_1)
	s_and_b32 s10, exec_lo, s10
	s_or_b32 s9, s10, s9
	s_delay_alu instid0(SALU_CYCLE_1)
	s_and_not1_b32 exec_lo, exec_lo, s9
	s_cbranch_execz .LBB5_22
.LBB5_61:                               ;   Parent Loop BB5_20 Depth=1
                                        ;     Parent Loop BB5_23 Depth=2
                                        ; =>    This Inner Loop Header: Depth=3
	v_lshl_add_u32 v21, v20, 2, v7
	s_mov_b32 s10, exec_lo
                                        ; implicit-def: $sgpr11
	ds_load_b32 v23, v21
	s_waitcnt lgkmcnt(0)
	v_cmpx_ne_u32_e64 v23, v4
	s_xor_b32 s10, exec_lo, s10
	s_cbranch_execz .LBB5_69
; %bb.62:                               ;   in Loop: Header=BB5_61 Depth=3
	s_mov_b32 s13, exec_lo
                                        ; implicit-def: $sgpr11
	v_cmpx_ne_u32_e64 s6, v23
	s_xor_b32 s13, exec_lo, s13
; %bb.63:                               ;   in Loop: Header=BB5_61 Depth=3
	v_add_nc_u32_e32 v20, 1, v20
	s_mov_b32 s11, -1
                                        ; implicit-def: $vgpr21
	s_delay_alu instid0(VALU_DEP_1)
	v_and_b32_e32 v20, 7, v20
; %bb.64:                               ;   in Loop: Header=BB5_61 Depth=3
	s_and_not1_saveexec_b32 s13, s13
	s_cbranch_execz .LBB5_68
; %bb.65:                               ;   in Loop: Header=BB5_61 Depth=3
	v_mov_b32_e32 v23, s6
	s_mov_b32 s14, -1
	s_mov_b32 s15, exec_lo
	ds_cmpstore_rtn_b32 v21, v21, v4, v23
	s_waitcnt lgkmcnt(0)
	v_cmpx_eq_u32_e64 s6, v21
	s_cbranch_execz .LBB5_67
; %bb.66:                               ;   in Loop: Header=BB5_61 Depth=3
	v_lshl_add_u32 v21, v20, 4, v14
	s_xor_b32 s14, exec_lo, -1
	ds_add_f32 v21, v22
.LBB5_67:                               ;   in Loop: Header=BB5_61 Depth=3
	s_or_b32 exec_lo, exec_lo, s15
	s_delay_alu instid0(SALU_CYCLE_1) | instskip(SKIP_1) | instid1(SALU_CYCLE_1)
	s_and_not1_b32 s11, s11, exec_lo
	s_and_b32 s14, s14, exec_lo
	s_or_b32 s11, s11, s14
.LBB5_68:                               ;   in Loop: Header=BB5_61 Depth=3
	s_or_b32 exec_lo, exec_lo, s13
	s_delay_alu instid0(SALU_CYCLE_1)
	s_and_b32 s11, s11, exec_lo
.LBB5_69:                               ;   in Loop: Header=BB5_61 Depth=3
	s_and_not1_saveexec_b32 s10, s10
	s_cbranch_execz .LBB5_60
; %bb.70:                               ;   in Loop: Header=BB5_61 Depth=3
	v_lshl_add_u32 v21, v20, 4, v14
	s_and_not1_b32 s11, s11, exec_lo
	ds_add_f32 v21, v22
	s_branch .LBB5_60
.LBB5_71:
	s_or_b32 exec_lo, exec_lo, s1
	s_delay_alu instid0(SALU_CYCLE_1)
	s_and_not1_b32 vcc_lo, exec_lo, s12
	s_waitcnt lgkmcnt(0)
	buffer_gl0_inv
	s_cbranch_vccnz .LBB5_15
.LBB5_72:
	v_lshlrev_b64 v[2:3], 2, v[0:1]
	v_subrev_nc_u32_e32 v10, s39, v8
	s_mov_b32 s1, exec_lo
	s_delay_alu instid0(VALU_DEP_2) | instskip(NEXT) | instid1(VALU_DEP_3)
	v_add_co_u32 v2, vcc_lo, s16, v2
	v_add_co_ci_u32_e32 v3, vcc_lo, s17, v3, vcc_lo
	global_load_b64 v[2:3], v[2:3], off
	s_waitcnt vmcnt(0)
	v_subrev_nc_u32_e32 v4, s39, v3
	v_add_nc_u32_e32 v2, v2, v10
	s_delay_alu instid0(VALU_DEP_1)
	v_cmpx_lt_i32_e64 v2, v4
	s_cbranch_execz .LBB5_123
; %bb.73:
	v_add_nc_u32_e32 v10, 4, v9
	v_add_nc_u32_e32 v11, 8, v9
	;; [unrolled: 1-line block ×3, first 2 shown]
	s_cmp_eq_u32 s4, 0
	s_mov_b32 s2, 0
	s_cselect_b32 s3, 1, 2
	s_cselect_b32 s5, 2, 1
	s_branch .LBB5_75
.LBB5_74:                               ;   in Loop: Header=BB5_75 Depth=1
	s_or_b32 exec_lo, exec_lo, s7
	v_add_nc_u32_e32 v2, 16, v2
	s_delay_alu instid0(VALU_DEP_1) | instskip(SKIP_1) | instid1(SALU_CYCLE_1)
	v_cmp_ge_i32_e32 vcc_lo, v2, v4
	s_or_b32 s2, vcc_lo, s2
	s_and_not1_b32 exec_lo, exec_lo, s2
	s_cbranch_execz .LBB5_123
.LBB5_75:                               ; =>This Loop Header: Depth=1
                                        ;     Child Loop BB5_77 Depth 2
                                        ;     Child Loop BB5_89 Depth 2
	;; [unrolled: 1-line block ×4, first 2 shown]
	v_lshlrev_b32_e32 v13, 2, v2
	v_ashrrev_i32_e32 v3, 31, v2
	s_mov_b32 s7, 0
	s_delay_alu instid0(VALU_DEP_2) | instskip(NEXT) | instid1(VALU_DEP_2)
	v_ashrrev_i32_e32 v14, 31, v13
	v_lshlrev_b64 v[19:20], 2, v[2:3]
	v_or_b32_e32 v15, s3, v13
	v_or_b32_e32 v17, s5, v13
	s_delay_alu instid0(VALU_DEP_4) | instskip(NEXT) | instid1(VALU_DEP_4)
	v_lshlrev_b64 v[13:14], 2, v[13:14]
	v_add_co_u32 v19, vcc_lo, s18, v19
	s_delay_alu instid0(VALU_DEP_3) | instskip(SKIP_1) | instid1(VALU_DEP_4)
	v_ashrrev_i32_e32 v18, 31, v17
	v_add_co_ci_u32_e32 v20, vcc_lo, s19, v20, vcc_lo
	v_add_co_u32 v13, vcc_lo, s20, v13
	v_ashrrev_i32_e32 v16, 31, v15
	v_add_co_ci_u32_e32 v14, vcc_lo, s21, v14, vcc_lo
	v_lshlrev_b64 v[17:18], 2, v[17:18]
	global_load_b32 v3, v[19:20], off
	global_load_b32 v21, v[13:14], off
	v_lshlrev_b64 v[15:16], 2, v[15:16]
	v_add_co_u32 v17, vcc_lo, s20, v17
	v_add_co_ci_u32_e32 v18, vcc_lo, s21, v18, vcc_lo
	s_delay_alu instid0(VALU_DEP_3) | instskip(NEXT) | instid1(VALU_DEP_4)
	v_add_co_u32 v19, vcc_lo, s20, v15
	v_add_co_ci_u32_e32 v20, vcc_lo, s21, v16, vcc_lo
	s_clause 0x2
	global_load_b32 v15, v[17:18], off
	global_load_b32 v16, v[19:20], off
	global_load_b32 v14, v[13:14], off offset:12
	s_waitcnt vmcnt(4)
	v_subrev_nc_u32_e32 v3, s39, v3
	s_delay_alu instid0(VALU_DEP_1) | instskip(SKIP_1) | instid1(VALU_DEP_1)
	v_and_b32_e32 v13, 7, v3
	s_waitcnt vmcnt(3)
	v_dual_mul_f32 v17, v6, v21 :: v_dual_mov_b32 v18, v13
	s_branch .LBB5_77
.LBB5_76:                               ;   in Loop: Header=BB5_77 Depth=2
	s_or_b32 exec_lo, exec_lo, s8
	s_xor_b32 s8, s9, -1
	s_delay_alu instid0(SALU_CYCLE_1) | instskip(NEXT) | instid1(SALU_CYCLE_1)
	s_and_b32 s8, exec_lo, s8
	s_or_b32 s7, s8, s7
	s_delay_alu instid0(SALU_CYCLE_1)
	s_and_not1_b32 exec_lo, exec_lo, s7
	s_cbranch_execz .LBB5_87
.LBB5_77:                               ;   Parent Loop BB5_75 Depth=1
                                        ; =>  This Inner Loop Header: Depth=2
	s_delay_alu instid0(VALU_DEP_1)
	v_lshl_add_u32 v19, v18, 2, v7
	s_mov_b32 s8, exec_lo
                                        ; implicit-def: $sgpr9
	ds_load_b32 v20, v19
	s_waitcnt lgkmcnt(0)
	v_cmpx_ne_u32_e64 v20, v3
	s_xor_b32 s8, exec_lo, s8
	s_cbranch_execz .LBB5_85
; %bb.78:                               ;   in Loop: Header=BB5_77 Depth=2
	s_mov_b32 s10, exec_lo
                                        ; implicit-def: $sgpr9
	v_cmpx_ne_u32_e64 s6, v20
	s_xor_b32 s10, exec_lo, s10
; %bb.79:                               ;   in Loop: Header=BB5_77 Depth=2
	v_add_nc_u32_e32 v18, 1, v18
	s_mov_b32 s9, -1
                                        ; implicit-def: $vgpr19
	s_delay_alu instid0(VALU_DEP_1)
	v_and_b32_e32 v18, 7, v18
; %bb.80:                               ;   in Loop: Header=BB5_77 Depth=2
	s_and_not1_saveexec_b32 s10, s10
	s_cbranch_execz .LBB5_84
; %bb.81:                               ;   in Loop: Header=BB5_77 Depth=2
	v_mov_b32_e32 v20, s6
	s_mov_b32 s11, -1
	s_mov_b32 s12, exec_lo
	ds_cmpstore_rtn_b32 v19, v19, v3, v20
	s_waitcnt lgkmcnt(0)
	v_cmpx_eq_u32_e64 s6, v19
	s_cbranch_execz .LBB5_83
; %bb.82:                               ;   in Loop: Header=BB5_77 Depth=2
	v_lshl_add_u32 v19, v18, 4, v9
	s_xor_b32 s11, exec_lo, -1
	ds_add_f32 v19, v17
.LBB5_83:                               ;   in Loop: Header=BB5_77 Depth=2
	s_or_b32 exec_lo, exec_lo, s12
	s_delay_alu instid0(SALU_CYCLE_1) | instskip(SKIP_1) | instid1(SALU_CYCLE_1)
	s_and_not1_b32 s9, s9, exec_lo
	s_and_b32 s11, s11, exec_lo
	s_or_b32 s9, s9, s11
.LBB5_84:                               ;   in Loop: Header=BB5_77 Depth=2
	s_or_b32 exec_lo, exec_lo, s10
	s_delay_alu instid0(SALU_CYCLE_1)
	s_and_b32 s9, s9, exec_lo
.LBB5_85:                               ;   in Loop: Header=BB5_77 Depth=2
	s_and_not1_saveexec_b32 s8, s8
	s_cbranch_execz .LBB5_76
; %bb.86:                               ;   in Loop: Header=BB5_77 Depth=2
	v_lshl_add_u32 v19, v18, 4, v9
	s_and_not1_b32 s9, s9, exec_lo
	ds_add_f32 v19, v17
	s_branch .LBB5_76
.LBB5_87:                               ;   in Loop: Header=BB5_75 Depth=1
	s_or_b32 exec_lo, exec_lo, s7
	s_waitcnt vmcnt(1)
	v_dual_mul_f32 v16, v6, v16 :: v_dual_mov_b32 v17, v13
	s_mov_b32 s7, 0
	s_branch .LBB5_89
.LBB5_88:                               ;   in Loop: Header=BB5_89 Depth=2
	s_or_b32 exec_lo, exec_lo, s8
	s_xor_b32 s8, s9, -1
	s_delay_alu instid0(SALU_CYCLE_1) | instskip(NEXT) | instid1(SALU_CYCLE_1)
	s_and_b32 s8, exec_lo, s8
	s_or_b32 s7, s8, s7
	s_delay_alu instid0(SALU_CYCLE_1)
	s_and_not1_b32 exec_lo, exec_lo, s7
	s_cbranch_execz .LBB5_99
.LBB5_89:                               ;   Parent Loop BB5_75 Depth=1
                                        ; =>  This Inner Loop Header: Depth=2
	s_delay_alu instid0(VALU_DEP_1)
	v_lshl_add_u32 v18, v17, 2, v7
	s_mov_b32 s8, exec_lo
                                        ; implicit-def: $sgpr9
	ds_load_b32 v19, v18
	s_waitcnt lgkmcnt(0)
	v_cmpx_ne_u32_e64 v19, v3
	s_xor_b32 s8, exec_lo, s8
	s_cbranch_execz .LBB5_97
; %bb.90:                               ;   in Loop: Header=BB5_89 Depth=2
	s_mov_b32 s10, exec_lo
                                        ; implicit-def: $sgpr9
	v_cmpx_ne_u32_e64 s6, v19
	s_xor_b32 s10, exec_lo, s10
; %bb.91:                               ;   in Loop: Header=BB5_89 Depth=2
	v_add_nc_u32_e32 v17, 1, v17
	s_mov_b32 s9, -1
                                        ; implicit-def: $vgpr18
	s_delay_alu instid0(VALU_DEP_1)
	v_and_b32_e32 v17, 7, v17
; %bb.92:                               ;   in Loop: Header=BB5_89 Depth=2
	s_and_not1_saveexec_b32 s10, s10
	s_cbranch_execz .LBB5_96
; %bb.93:                               ;   in Loop: Header=BB5_89 Depth=2
	v_mov_b32_e32 v19, s6
	s_mov_b32 s11, -1
	s_mov_b32 s12, exec_lo
	ds_cmpstore_rtn_b32 v18, v18, v3, v19
	s_waitcnt lgkmcnt(0)
	v_cmpx_eq_u32_e64 s6, v18
	s_cbranch_execz .LBB5_95
; %bb.94:                               ;   in Loop: Header=BB5_89 Depth=2
	v_lshl_add_u32 v18, v17, 4, v10
	s_xor_b32 s11, exec_lo, -1
	ds_add_f32 v18, v16
.LBB5_95:                               ;   in Loop: Header=BB5_89 Depth=2
	s_or_b32 exec_lo, exec_lo, s12
	s_delay_alu instid0(SALU_CYCLE_1) | instskip(SKIP_1) | instid1(SALU_CYCLE_1)
	s_and_not1_b32 s9, s9, exec_lo
	s_and_b32 s11, s11, exec_lo
	s_or_b32 s9, s9, s11
.LBB5_96:                               ;   in Loop: Header=BB5_89 Depth=2
	s_or_b32 exec_lo, exec_lo, s10
	s_delay_alu instid0(SALU_CYCLE_1)
	s_and_b32 s9, s9, exec_lo
.LBB5_97:                               ;   in Loop: Header=BB5_89 Depth=2
	s_and_not1_saveexec_b32 s8, s8
	s_cbranch_execz .LBB5_88
; %bb.98:                               ;   in Loop: Header=BB5_89 Depth=2
	v_lshl_add_u32 v18, v17, 4, v10
	s_and_not1_b32 s9, s9, exec_lo
	ds_add_f32 v18, v16
	s_branch .LBB5_88
.LBB5_99:                               ;   in Loop: Header=BB5_75 Depth=1
	s_or_b32 exec_lo, exec_lo, s7
	v_dual_mul_f32 v15, v6, v15 :: v_dual_mov_b32 v16, v13
	s_mov_b32 s7, 0
	s_branch .LBB5_101
.LBB5_100:                              ;   in Loop: Header=BB5_101 Depth=2
	s_or_b32 exec_lo, exec_lo, s8
	s_xor_b32 s8, s9, -1
	s_delay_alu instid0(SALU_CYCLE_1) | instskip(NEXT) | instid1(SALU_CYCLE_1)
	s_and_b32 s8, exec_lo, s8
	s_or_b32 s7, s8, s7
	s_delay_alu instid0(SALU_CYCLE_1)
	s_and_not1_b32 exec_lo, exec_lo, s7
	s_cbranch_execz .LBB5_111
.LBB5_101:                              ;   Parent Loop BB5_75 Depth=1
                                        ; =>  This Inner Loop Header: Depth=2
	s_delay_alu instid0(VALU_DEP_1)
	v_lshl_add_u32 v17, v16, 2, v7
	s_mov_b32 s8, exec_lo
                                        ; implicit-def: $sgpr9
	ds_load_b32 v18, v17
	s_waitcnt lgkmcnt(0)
	v_cmpx_ne_u32_e64 v18, v3
	s_xor_b32 s8, exec_lo, s8
	s_cbranch_execz .LBB5_109
; %bb.102:                              ;   in Loop: Header=BB5_101 Depth=2
	s_mov_b32 s10, exec_lo
                                        ; implicit-def: $sgpr9
	v_cmpx_ne_u32_e64 s6, v18
	s_xor_b32 s10, exec_lo, s10
; %bb.103:                              ;   in Loop: Header=BB5_101 Depth=2
	v_add_nc_u32_e32 v16, 1, v16
	s_mov_b32 s9, -1
                                        ; implicit-def: $vgpr17
	s_delay_alu instid0(VALU_DEP_1)
	v_and_b32_e32 v16, 7, v16
; %bb.104:                              ;   in Loop: Header=BB5_101 Depth=2
	s_and_not1_saveexec_b32 s10, s10
	s_cbranch_execz .LBB5_108
; %bb.105:                              ;   in Loop: Header=BB5_101 Depth=2
	v_mov_b32_e32 v18, s6
	s_mov_b32 s11, -1
	s_mov_b32 s12, exec_lo
	ds_cmpstore_rtn_b32 v17, v17, v3, v18
	s_waitcnt lgkmcnt(0)
	v_cmpx_eq_u32_e64 s6, v17
	s_cbranch_execz .LBB5_107
; %bb.106:                              ;   in Loop: Header=BB5_101 Depth=2
	v_lshl_add_u32 v17, v16, 4, v11
	s_xor_b32 s11, exec_lo, -1
	ds_add_f32 v17, v15
.LBB5_107:                              ;   in Loop: Header=BB5_101 Depth=2
	s_or_b32 exec_lo, exec_lo, s12
	s_delay_alu instid0(SALU_CYCLE_1) | instskip(SKIP_1) | instid1(SALU_CYCLE_1)
	s_and_not1_b32 s9, s9, exec_lo
	s_and_b32 s11, s11, exec_lo
	s_or_b32 s9, s9, s11
.LBB5_108:                              ;   in Loop: Header=BB5_101 Depth=2
	s_or_b32 exec_lo, exec_lo, s10
	s_delay_alu instid0(SALU_CYCLE_1)
	s_and_b32 s9, s9, exec_lo
.LBB5_109:                              ;   in Loop: Header=BB5_101 Depth=2
	s_and_not1_saveexec_b32 s8, s8
	s_cbranch_execz .LBB5_100
; %bb.110:                              ;   in Loop: Header=BB5_101 Depth=2
	v_lshl_add_u32 v17, v16, 4, v11
	s_and_not1_b32 s9, s9, exec_lo
	ds_add_f32 v17, v15
	s_branch .LBB5_100
.LBB5_111:                              ;   in Loop: Header=BB5_75 Depth=1
	s_or_b32 exec_lo, exec_lo, s7
	s_waitcnt vmcnt(0)
	v_mul_f32_e32 v14, v6, v14
	s_mov_b32 s7, 0
	s_branch .LBB5_113
.LBB5_112:                              ;   in Loop: Header=BB5_113 Depth=2
	s_or_b32 exec_lo, exec_lo, s8
	s_xor_b32 s8, s9, -1
	s_delay_alu instid0(SALU_CYCLE_1) | instskip(NEXT) | instid1(SALU_CYCLE_1)
	s_and_b32 s8, exec_lo, s8
	s_or_b32 s7, s8, s7
	s_delay_alu instid0(SALU_CYCLE_1)
	s_and_not1_b32 exec_lo, exec_lo, s7
	s_cbranch_execz .LBB5_74
.LBB5_113:                              ;   Parent Loop BB5_75 Depth=1
                                        ; =>  This Inner Loop Header: Depth=2
	v_lshl_add_u32 v15, v13, 2, v7
	s_mov_b32 s8, exec_lo
                                        ; implicit-def: $sgpr9
	ds_load_b32 v16, v15
	s_waitcnt lgkmcnt(0)
	v_cmpx_ne_u32_e64 v16, v3
	s_xor_b32 s8, exec_lo, s8
	s_cbranch_execz .LBB5_121
; %bb.114:                              ;   in Loop: Header=BB5_113 Depth=2
	s_mov_b32 s10, exec_lo
                                        ; implicit-def: $sgpr9
	v_cmpx_ne_u32_e64 s6, v16
	s_xor_b32 s10, exec_lo, s10
; %bb.115:                              ;   in Loop: Header=BB5_113 Depth=2
	v_add_nc_u32_e32 v13, 1, v13
	s_mov_b32 s9, -1
                                        ; implicit-def: $vgpr15
	s_delay_alu instid0(VALU_DEP_1)
	v_and_b32_e32 v13, 7, v13
; %bb.116:                              ;   in Loop: Header=BB5_113 Depth=2
	s_and_not1_saveexec_b32 s10, s10
	s_cbranch_execz .LBB5_120
; %bb.117:                              ;   in Loop: Header=BB5_113 Depth=2
	v_mov_b32_e32 v16, s6
	s_mov_b32 s11, -1
	s_mov_b32 s12, exec_lo
	ds_cmpstore_rtn_b32 v15, v15, v3, v16
	s_waitcnt lgkmcnt(0)
	v_cmpx_eq_u32_e64 s6, v15
	s_cbranch_execz .LBB5_119
; %bb.118:                              ;   in Loop: Header=BB5_113 Depth=2
	v_lshl_add_u32 v15, v13, 4, v12
	s_xor_b32 s11, exec_lo, -1
	ds_add_f32 v15, v14
.LBB5_119:                              ;   in Loop: Header=BB5_113 Depth=2
	s_or_b32 exec_lo, exec_lo, s12
	s_delay_alu instid0(SALU_CYCLE_1) | instskip(SKIP_1) | instid1(SALU_CYCLE_1)
	s_and_not1_b32 s9, s9, exec_lo
	s_and_b32 s11, s11, exec_lo
	s_or_b32 s9, s9, s11
.LBB5_120:                              ;   in Loop: Header=BB5_113 Depth=2
	s_or_b32 exec_lo, exec_lo, s10
	s_delay_alu instid0(SALU_CYCLE_1)
	s_and_b32 s9, s9, exec_lo
.LBB5_121:                              ;   in Loop: Header=BB5_113 Depth=2
	s_and_not1_saveexec_b32 s8, s8
	s_cbranch_execz .LBB5_112
; %bb.122:                              ;   in Loop: Header=BB5_113 Depth=2
	v_lshl_add_u32 v15, v13, 4, v12
	s_and_not1_b32 s9, s9, exec_lo
	ds_add_f32 v15, v14
	s_branch .LBB5_112
.LBB5_123:
	s_or_b32 exec_lo, exec_lo, s1
	s_waitcnt lgkmcnt(0)
	buffer_gl0_inv
	s_and_b32 exec_lo, exec_lo, s0
	s_cbranch_execz .LBB5_16
.LBB5_124:
	v_lshl_add_u32 v2, v8, 2, v7
	ds_load_b32 v2, v2
	s_waitcnt lgkmcnt(0)
	v_cmp_gt_i32_e32 vcc_lo, s6, v2
	s_and_b32 exec_lo, exec_lo, vcc_lo
	s_cbranch_execz .LBB5_16
; %bb.125:
	v_lshlrev_b64 v[0:1], 2, v[0:1]
	s_cmp_eq_u32 s4, 0
	s_cselect_b32 s0, 1, 2
	s_cselect_b32 s1, 2, 1
	s_delay_alu instid0(VALU_DEP_1) | instskip(NEXT) | instid1(VALU_DEP_2)
	v_add_co_u32 v0, vcc_lo, s22, v0
	v_add_co_ci_u32_e32 v1, vcc_lo, s23, v1, vcc_lo
	global_load_b32 v3, v[0:1], off
	ds_load_b128 v[10:13], v7
	ds_load_b128 v[14:17], v7 offset:16
	v_lshl_add_u32 v0, v5, 2, v9
	v_or_b32_e32 v7, s1, v5
	ds_load_2addr_b32 v[0:1], v0 offset1:3
	s_waitcnt lgkmcnt(2)
	v_cmp_gt_i32_e32 vcc_lo, v2, v10
	v_cndmask_b32_e64 v4, 0, 1, vcc_lo
	v_cmp_gt_i32_e32 vcc_lo, v2, v12
	v_cndmask_b32_e64 v6, 0, 1, vcc_lo
	v_cmp_gt_i32_e32 vcc_lo, v2, v11
	v_add_nc_u32_e32 v11, s38, v2
	s_waitcnt vmcnt(0)
	v_subrev_nc_u32_e32 v3, s38, v3
	s_delay_alu instid0(VALU_DEP_1)
	v_add_co_ci_u32_e32 v3, vcc_lo, v3, v4, vcc_lo
	s_waitcnt lgkmcnt(1)
	v_cmp_gt_i32_e32 vcc_lo, v2, v14
	v_cndmask_b32_e64 v4, 0, 1, vcc_lo
	v_cmp_gt_i32_e32 vcc_lo, v2, v13
	v_add_co_ci_u32_e32 v3, vcc_lo, v3, v6, vcc_lo
	v_cmp_gt_i32_e32 vcc_lo, v2, v16
	v_cndmask_b32_e64 v6, 0, 1, vcc_lo
	v_cmp_gt_i32_e32 vcc_lo, v2, v15
	s_delay_alu instid0(VALU_DEP_4)
	v_add_co_ci_u32_e32 v3, vcc_lo, v3, v4, vcc_lo
	v_cmp_gt_i32_e32 vcc_lo, v2, v17
	v_or_b32_e32 v4, s0, v5
	s_waitcnt lgkmcnt(0)
	v_mov_b32_e32 v2, v0
	v_add_co_ci_u32_e32 v5, vcc_lo, v3, v6, vcc_lo
	s_delay_alu instid0(VALU_DEP_3)
	v_lshl_add_u32 v3, v4, 2, v9
	v_lshl_add_u32 v4, v7, 2, v9
	ds_load_b32 v3, v3
	ds_load_b32 v4, v4
	v_lshlrev_b32_e32 v7, 2, v5
	v_ashrrev_i32_e32 v6, 31, v5
	s_delay_alu instid0(VALU_DEP_2) | instskip(NEXT) | instid1(VALU_DEP_2)
	v_ashrrev_i32_e32 v8, 31, v7
	v_lshlrev_b64 v[5:6], 2, v[5:6]
	s_delay_alu instid0(VALU_DEP_2) | instskip(NEXT) | instid1(VALU_DEP_2)
	v_lshlrev_b64 v[7:8], 2, v[7:8]
	v_add_co_u32 v9, vcc_lo, s40, v5
	s_delay_alu instid0(VALU_DEP_3) | instskip(NEXT) | instid1(VALU_DEP_3)
	v_add_co_ci_u32_e32 v10, vcc_lo, s41, v6, vcc_lo
	v_add_co_u32 v6, vcc_lo, s42, v7
	s_delay_alu instid0(VALU_DEP_4)
	v_add_co_ci_u32_e32 v7, vcc_lo, s43, v8, vcc_lo
	v_mov_b32_e32 v5, v1
	global_store_b32 v[9:10], v11, off
	s_waitcnt lgkmcnt(0)
	global_store_b128 v[6:7], v[2:5], off
	s_nop 0
	s_sendmsg sendmsg(MSG_DEALLOC_VGPRS)
	s_endpgm
	.section	.rodata,"a",@progbits
	.p2align	6, 0x0
	.amdhsa_kernel _ZN9rocsparseL27bsrgemm_fill_wf_per_row_2x2ILj256ELj16ELj8ELj137EiifEEv20rocsparse_direction_T4_S2_PKS2_S4_NS_24const_host_device_scalarIT5_EEPKT3_S4_PKS6_SA_S4_SC_S7_SA_S4_SC_SA_PS2_PS6_21rocsparse_index_base_SF_SF_SF_bbb
		.amdhsa_group_segment_fixed_size 2560
		.amdhsa_private_segment_fixed_size 0
		.amdhsa_kernarg_size 164
		.amdhsa_user_sgpr_count 15
		.amdhsa_user_sgpr_dispatch_ptr 0
		.amdhsa_user_sgpr_queue_ptr 0
		.amdhsa_user_sgpr_kernarg_segment_ptr 1
		.amdhsa_user_sgpr_dispatch_id 0
		.amdhsa_user_sgpr_private_segment_size 0
		.amdhsa_wavefront_size32 1
		.amdhsa_uses_dynamic_stack 0
		.amdhsa_enable_private_segment 0
		.amdhsa_system_sgpr_workgroup_id_x 1
		.amdhsa_system_sgpr_workgroup_id_y 0
		.amdhsa_system_sgpr_workgroup_id_z 0
		.amdhsa_system_sgpr_workgroup_info 0
		.amdhsa_system_vgpr_workitem_id 0
		.amdhsa_next_free_vgpr 30
		.amdhsa_next_free_sgpr 48
		.amdhsa_reserve_vcc 1
		.amdhsa_float_round_mode_32 0
		.amdhsa_float_round_mode_16_64 0
		.amdhsa_float_denorm_mode_32 3
		.amdhsa_float_denorm_mode_16_64 3
		.amdhsa_dx10_clamp 1
		.amdhsa_ieee_mode 1
		.amdhsa_fp16_overflow 0
		.amdhsa_workgroup_processor_mode 1
		.amdhsa_memory_ordered 1
		.amdhsa_forward_progress 0
		.amdhsa_shared_vgpr_count 0
		.amdhsa_exception_fp_ieee_invalid_op 0
		.amdhsa_exception_fp_denorm_src 0
		.amdhsa_exception_fp_ieee_div_zero 0
		.amdhsa_exception_fp_ieee_overflow 0
		.amdhsa_exception_fp_ieee_underflow 0
		.amdhsa_exception_fp_ieee_inexact 0
		.amdhsa_exception_int_div_zero 0
	.end_amdhsa_kernel
	.section	.text._ZN9rocsparseL27bsrgemm_fill_wf_per_row_2x2ILj256ELj16ELj8ELj137EiifEEv20rocsparse_direction_T4_S2_PKS2_S4_NS_24const_host_device_scalarIT5_EEPKT3_S4_PKS6_SA_S4_SC_S7_SA_S4_SC_SA_PS2_PS6_21rocsparse_index_base_SF_SF_SF_bbb,"axG",@progbits,_ZN9rocsparseL27bsrgemm_fill_wf_per_row_2x2ILj256ELj16ELj8ELj137EiifEEv20rocsparse_direction_T4_S2_PKS2_S4_NS_24const_host_device_scalarIT5_EEPKT3_S4_PKS6_SA_S4_SC_S7_SA_S4_SC_SA_PS2_PS6_21rocsparse_index_base_SF_SF_SF_bbb,comdat
.Lfunc_end5:
	.size	_ZN9rocsparseL27bsrgemm_fill_wf_per_row_2x2ILj256ELj16ELj8ELj137EiifEEv20rocsparse_direction_T4_S2_PKS2_S4_NS_24const_host_device_scalarIT5_EEPKT3_S4_PKS6_SA_S4_SC_S7_SA_S4_SC_SA_PS2_PS6_21rocsparse_index_base_SF_SF_SF_bbb, .Lfunc_end5-_ZN9rocsparseL27bsrgemm_fill_wf_per_row_2x2ILj256ELj16ELj8ELj137EiifEEv20rocsparse_direction_T4_S2_PKS2_S4_NS_24const_host_device_scalarIT5_EEPKT3_S4_PKS6_SA_S4_SC_S7_SA_S4_SC_SA_PS2_PS6_21rocsparse_index_base_SF_SF_SF_bbb
                                        ; -- End function
	.section	.AMDGPU.csdata,"",@progbits
; Kernel info:
; codeLenInByte = 3964
; NumSgprs: 50
; NumVgprs: 30
; ScratchSize: 0
; MemoryBound: 0
; FloatMode: 240
; IeeeMode: 1
; LDSByteSize: 2560 bytes/workgroup (compile time only)
; SGPRBlocks: 6
; VGPRBlocks: 3
; NumSGPRsForWavesPerEU: 50
; NumVGPRsForWavesPerEU: 30
; Occupancy: 16
; WaveLimiterHint : 1
; COMPUTE_PGM_RSRC2:SCRATCH_EN: 0
; COMPUTE_PGM_RSRC2:USER_SGPR: 15
; COMPUTE_PGM_RSRC2:TRAP_HANDLER: 0
; COMPUTE_PGM_RSRC2:TGID_X_EN: 1
; COMPUTE_PGM_RSRC2:TGID_Y_EN: 0
; COMPUTE_PGM_RSRC2:TGID_Z_EN: 0
; COMPUTE_PGM_RSRC2:TIDIG_COMP_CNT: 0
	.section	.text._ZN9rocsparseL27bsrgemm_fill_wf_per_row_2x2ILj256ELj16ELj16ELj137EiifEEv20rocsparse_direction_T4_S2_PKS2_S4_NS_24const_host_device_scalarIT5_EEPKT3_S4_PKS6_SA_S4_SC_S7_SA_S4_SC_SA_PS2_PS6_21rocsparse_index_base_SF_SF_SF_bbb,"axG",@progbits,_ZN9rocsparseL27bsrgemm_fill_wf_per_row_2x2ILj256ELj16ELj16ELj137EiifEEv20rocsparse_direction_T4_S2_PKS2_S4_NS_24const_host_device_scalarIT5_EEPKT3_S4_PKS6_SA_S4_SC_S7_SA_S4_SC_SA_PS2_PS6_21rocsparse_index_base_SF_SF_SF_bbb,comdat
	.globl	_ZN9rocsparseL27bsrgemm_fill_wf_per_row_2x2ILj256ELj16ELj16ELj137EiifEEv20rocsparse_direction_T4_S2_PKS2_S4_NS_24const_host_device_scalarIT5_EEPKT3_S4_PKS6_SA_S4_SC_S7_SA_S4_SC_SA_PS2_PS6_21rocsparse_index_base_SF_SF_SF_bbb ; -- Begin function _ZN9rocsparseL27bsrgemm_fill_wf_per_row_2x2ILj256ELj16ELj16ELj137EiifEEv20rocsparse_direction_T4_S2_PKS2_S4_NS_24const_host_device_scalarIT5_EEPKT3_S4_PKS6_SA_S4_SC_S7_SA_S4_SC_SA_PS2_PS6_21rocsparse_index_base_SF_SF_SF_bbb
	.p2align	8
	.type	_ZN9rocsparseL27bsrgemm_fill_wf_per_row_2x2ILj256ELj16ELj16ELj137EiifEEv20rocsparse_direction_T4_S2_PKS2_S4_NS_24const_host_device_scalarIT5_EEPKT3_S4_PKS6_SA_S4_SC_S7_SA_S4_SC_SA_PS2_PS6_21rocsparse_index_base_SF_SF_SF_bbb,@function
_ZN9rocsparseL27bsrgemm_fill_wf_per_row_2x2ILj256ELj16ELj16ELj137EiifEEv20rocsparse_direction_T4_S2_PKS2_S4_NS_24const_host_device_scalarIT5_EEPKT3_S4_PKS6_SA_S4_SC_S7_SA_S4_SC_SA_PS2_PS6_21rocsparse_index_base_SF_SF_SF_bbb: ; @_ZN9rocsparseL27bsrgemm_fill_wf_per_row_2x2ILj256ELj16ELj16ELj137EiifEEv20rocsparse_direction_T4_S2_PKS2_S4_NS_24const_host_device_scalarIT5_EEPKT3_S4_PKS6_SA_S4_SC_S7_SA_S4_SC_SA_PS2_PS6_21rocsparse_index_base_SF_SF_SF_bbb
; %bb.0:
	s_clause 0x3
	s_load_b32 s12, s[0:1], 0xa0
	s_load_b128 s[24:27], s[0:1], 0x90
	s_load_b64 s[4:5], s[0:1], 0x20
	s_load_b64 s[2:3], s[0:1], 0x58
	s_waitcnt lgkmcnt(0)
	s_bitcmp1_b32 s12, 0
	s_cselect_b32 s13, -1, 0
	s_bitcmp1_b32 s12, 16
	s_cselect_b32 s14, -1, 0
	s_xor_b32 s6, s13, -1
	s_delay_alu instid0(SALU_CYCLE_1) | instskip(NEXT) | instid1(SALU_CYCLE_1)
	s_or_b32 s6, s6, s14
	s_and_b32 vcc_lo, exec_lo, s6
	s_cbranch_vccnz .LBB6_2
; %bb.1:
	s_load_b32 s4, s[4:5], 0x0
	s_waitcnt lgkmcnt(0)
	v_mov_b32_e32 v10, s4
	s_branch .LBB6_3
.LBB6_2:
	v_cndmask_b32_e64 v10, 0, s4, s13
.LBB6_3:
	s_clause 0x4
	s_load_b128 s[28:31], s[0:1], 0x80
	s_load_b256 s[4:11], s[0:1], 0x60
	s_load_b128 s[36:39], s[0:1], 0x48
	s_load_b128 s[40:43], s[0:1], 0x10
	s_load_b256 s[16:23], s[0:1], 0x28
	s_bitcmp1_b32 s12, 8
	s_cselect_b32 s12, -1, 0
	s_delay_alu instid0(SALU_CYCLE_1) | instskip(NEXT) | instid1(SALU_CYCLE_1)
	s_xor_b32 s33, s12, -1
	s_or_b32 s14, s33, s14
	s_delay_alu instid0(SALU_CYCLE_1)
	s_and_b32 vcc_lo, exec_lo, s14
	s_cbranch_vccnz .LBB6_5
; %bb.4:
	s_load_b32 s2, s[2:3], 0x0
	s_waitcnt lgkmcnt(0)
	v_mov_b32_e32 v8, s2
	s_branch .LBB6_6
.LBB6_5:
	v_cndmask_b32_e64 v8, 0, s2, s12
.LBB6_6:
	s_load_b128 s[0:3], s[0:1], 0x0
	v_and_b32_e32 v1, 0xf0, v0
	v_and_b32_e32 v11, 15, v0
	v_lshrrev_b32_e32 v2, 4, v0
	v_mov_b32_e32 v3, 0
	s_waitcnt lgkmcnt(0)
	s_mov_b32 s3, 0
	v_lshlrev_b32_e32 v5, 2, v11
	v_or_b32_e32 v0, -16, v11
	v_mov_b32_e32 v4, s2
	v_lshl_or_b32 v6, v1, 2, 0x1000
	s_delay_alu instid0(VALU_DEP_4) | instskip(NEXT) | instid1(VALU_DEP_2)
	v_lshl_or_b32 v1, v2, 8, v5
	v_or_b32_e32 v9, v6, v5
	ds_store_b32 v9, v4
.LBB6_7:                                ; =>This Inner Loop Header: Depth=1
	v_add_nc_u32_e32 v0, 16, v0
	ds_store_b32 v1, v3
	v_add_nc_u32_e32 v1, 64, v1
	v_cmp_lt_u32_e32 vcc_lo, 47, v0
	s_or_b32 s3, vcc_lo, s3
	s_delay_alu instid0(SALU_CYCLE_1)
	s_and_not1_b32 exec_lo, exec_lo, s3
	s_cbranch_execnz .LBB6_7
; %bb.8:
	s_or_b32 exec_lo, exec_lo, s3
	v_lshl_or_b32 v0, s15, 4, v2
	s_waitcnt lgkmcnt(0)
	s_barrier
	buffer_gl0_inv
	v_cmp_gt_i32_e32 vcc_lo, s1, v0
	s_and_saveexec_b32 s1, vcc_lo
	s_cbranch_execz .LBB6_122
; %bb.9:
	s_cmp_eq_u64 s[42:43], 0
	s_cbranch_scc1 .LBB6_11
; %bb.10:
	s_load_b32 s1, s[40:41], 0x0
	s_waitcnt lgkmcnt(0)
	v_add_nc_u32_e32 v0, s1, v0
	s_delay_alu instid0(VALU_DEP_1) | instskip(NEXT) | instid1(VALU_DEP_1)
	v_ashrrev_i32_e32 v1, 31, v0
	v_lshlrev_b64 v[0:1], 2, v[0:1]
	s_delay_alu instid0(VALU_DEP_1) | instskip(NEXT) | instid1(VALU_DEP_2)
	v_add_co_u32 v0, vcc_lo, s42, v0
	v_add_co_ci_u32_e32 v1, vcc_lo, s43, v1, vcc_lo
	global_load_b32 v0, v[0:1], off
.LBB6_11:
	s_waitcnt vmcnt(0)
	v_ashrrev_i32_e32 v1, 31, v0
	v_lshlrev_b32_e32 v7, 8, v2
	s_and_not1_b32 vcc_lo, exec_lo, s13
	s_delay_alu instid0(VALU_DEP_2)
	v_lshlrev_b64 v[0:1], 2, v[0:1]
	s_cbranch_vccnz .LBB6_67
; %bb.12:
	s_delay_alu instid0(VALU_DEP_1) | instskip(NEXT) | instid1(VALU_DEP_2)
	v_add_co_u32 v2, vcc_lo, s16, v0
	v_add_co_ci_u32_e32 v3, vcc_lo, s17, v1, vcc_lo
	v_subrev_nc_u32_e32 v4, s24, v11
	s_mov_b32 s1, exec_lo
	global_load_b64 v[2:3], v[2:3], off
	s_waitcnt vmcnt(0)
	v_subrev_nc_u32_e32 v12, s24, v3
	v_add_nc_u32_e32 v2, v2, v4
	s_delay_alu instid0(VALU_DEP_1)
	v_cmpx_lt_i32_e64 v2, v12
	s_cbranch_execz .LBB6_66
; %bb.13:
	v_add_nc_u32_e32 v13, 4, v7
	v_add_nc_u32_e32 v14, 8, v7
	;; [unrolled: 1-line block ×3, first 2 shown]
	s_cmp_eq_u32 s0, 0
	s_mov_b32 s3, 0
	s_cselect_b32 s13, 1, 2
	s_cselect_b32 s14, 2, 1
	s_branch .LBB6_15
.LBB6_14:                               ;   in Loop: Header=BB6_15 Depth=1
	s_or_b32 exec_lo, exec_lo, s15
	v_add_nc_u32_e32 v2, 16, v2
	s_delay_alu instid0(VALU_DEP_1) | instskip(SKIP_1) | instid1(SALU_CYCLE_1)
	v_cmp_ge_i32_e32 vcc_lo, v2, v12
	s_or_b32 s3, vcc_lo, s3
	s_and_not1_b32 exec_lo, exec_lo, s3
	s_cbranch_execz .LBB6_66
.LBB6_15:                               ; =>This Loop Header: Depth=1
                                        ;     Child Loop BB6_18 Depth 2
                                        ;       Child Loop BB6_20 Depth 3
                                        ;       Child Loop BB6_32 Depth 3
                                        ;       Child Loop BB6_44 Depth 3
                                        ;       Child Loop BB6_56 Depth 3
	v_ashrrev_i32_e32 v3, 31, v2
	s_mov_b32 s15, exec_lo
	s_delay_alu instid0(VALU_DEP_1) | instskip(NEXT) | instid1(VALU_DEP_1)
	v_lshlrev_b64 v[3:4], 2, v[2:3]
	v_add_co_u32 v3, vcc_lo, s18, v3
	s_delay_alu instid0(VALU_DEP_2) | instskip(SKIP_3) | instid1(VALU_DEP_1)
	v_add_co_ci_u32_e32 v4, vcc_lo, s19, v4, vcc_lo
	global_load_b32 v3, v[3:4], off
	s_waitcnt vmcnt(0)
	v_subrev_nc_u32_e32 v3, s24, v3
	v_ashrrev_i32_e32 v4, 31, v3
	s_delay_alu instid0(VALU_DEP_1) | instskip(NEXT) | instid1(VALU_DEP_1)
	v_lshlrev_b64 v[3:4], 2, v[3:4]
	v_add_co_u32 v3, vcc_lo, s22, v3
	s_delay_alu instid0(VALU_DEP_2)
	v_add_co_ci_u32_e32 v4, vcc_lo, s23, v4, vcc_lo
	global_load_b64 v[3:4], v[3:4], off
	s_waitcnt vmcnt(0)
	v_cmpx_lt_i32_e64 v3, v4
	s_cbranch_execz .LBB6_14
; %bb.16:                               ;   in Loop: Header=BB6_15 Depth=1
	v_lshlrev_b32_e32 v16, 2, v2
	v_subrev_nc_u32_e32 v3, s25, v3
	s_mov_b32 s16, 0
	s_delay_alu instid0(VALU_DEP_2) | instskip(SKIP_2) | instid1(VALU_DEP_3)
	v_or_b32_e32 v18, s14, v16
	v_ashrrev_i32_e32 v17, 31, v16
	v_or_b32_e32 v20, s13, v16
	v_ashrrev_i32_e32 v19, 31, v18
	s_delay_alu instid0(VALU_DEP_3) | instskip(NEXT) | instid1(VALU_DEP_3)
	v_lshlrev_b64 v[16:17], 2, v[16:17]
	v_ashrrev_i32_e32 v21, 31, v20
	s_delay_alu instid0(VALU_DEP_3) | instskip(NEXT) | instid1(VALU_DEP_2)
	v_lshlrev_b64 v[18:19], 2, v[18:19]
	v_lshlrev_b64 v[20:21], 2, v[20:21]
	s_delay_alu instid0(VALU_DEP_4) | instskip(SKIP_1) | instid1(VALU_DEP_4)
	v_add_co_u32 v16, vcc_lo, s20, v16
	v_add_co_ci_u32_e32 v17, vcc_lo, s21, v17, vcc_lo
	v_add_co_u32 v18, vcc_lo, s20, v18
	v_add_co_ci_u32_e32 v19, vcc_lo, s21, v19, vcc_lo
	;; [unrolled: 2-line block ×3, first 2 shown]
	s_clause 0x3
	global_load_b32 v22, v[16:17], off offset:12
	global_load_b32 v18, v[18:19], off
	global_load_b32 v20, v[20:21], off
	;; [unrolled: 1-line block ×3, first 2 shown]
	v_subrev_nc_u32_e32 v16, s25, v4
	s_waitcnt vmcnt(3)
	v_mul_f32_e32 v17, v10, v22
	s_waitcnt vmcnt(2)
	v_mul_f32_e32 v18, v10, v18
	;; [unrolled: 2-line block ×4, first 2 shown]
	s_branch .LBB6_18
.LBB6_17:                               ;   in Loop: Header=BB6_18 Depth=2
	s_or_b32 exec_lo, exec_lo, s17
	v_add_nc_u32_e32 v3, 1, v3
	s_delay_alu instid0(VALU_DEP_1) | instskip(SKIP_1) | instid1(SALU_CYCLE_1)
	v_cmp_ge_i32_e32 vcc_lo, v3, v16
	s_or_b32 s16, vcc_lo, s16
	s_and_not1_b32 exec_lo, exec_lo, s16
	s_cbranch_execz .LBB6_14
.LBB6_18:                               ;   Parent Loop BB6_15 Depth=1
                                        ; =>  This Loop Header: Depth=2
                                        ;       Child Loop BB6_20 Depth 3
                                        ;       Child Loop BB6_32 Depth 3
	;; [unrolled: 1-line block ×4, first 2 shown]
	v_lshlrev_b32_e32 v21, 2, v3
	v_ashrrev_i32_e32 v4, 31, v3
	s_mov_b32 s17, 0
	s_delay_alu instid0(VALU_DEP_2) | instskip(NEXT) | instid1(VALU_DEP_2)
	v_or_b32_e32 v25, s14, v21
	v_lshlrev_b64 v[27:28], 2, v[3:4]
	v_or_b32_e32 v23, s13, v21
	v_ashrrev_i32_e32 v22, 31, v21
	s_delay_alu instid0(VALU_DEP_4) | instskip(NEXT) | instid1(VALU_DEP_4)
	v_ashrrev_i32_e32 v26, 31, v25
	v_add_co_u32 v27, vcc_lo, s36, v27
	v_add_co_ci_u32_e32 v28, vcc_lo, s37, v28, vcc_lo
	s_delay_alu instid0(VALU_DEP_3)
	v_lshlrev_b64 v[25:26], 2, v[25:26]
	v_ashrrev_i32_e32 v24, 31, v23
	v_lshlrev_b64 v[21:22], 2, v[21:22]
	global_load_b32 v4, v[27:28], off
	v_lshlrev_b64 v[29:30], 2, v[23:24]
	v_add_co_u32 v23, vcc_lo, s38, v25
	v_add_co_ci_u32_e32 v24, vcc_lo, s39, v26, vcc_lo
	v_add_co_u32 v26, vcc_lo, s38, v21
	v_add_co_ci_u32_e32 v27, vcc_lo, s39, v22, vcc_lo
	global_load_b32 v24, v[23:24], off
	v_add_co_u32 v21, vcc_lo, s38, v29
	v_add_co_ci_u32_e32 v22, vcc_lo, s39, v30, vcc_lo
	s_clause 0x2
	global_load_b32 v25, v[26:27], off
	global_load_b32 v22, v[21:22], off
	global_load_b32 v23, v[26:27], off offset:12
	s_waitcnt vmcnt(4)
	v_subrev_nc_u32_e32 v4, s25, v4
	s_delay_alu instid0(VALU_DEP_1) | instskip(SKIP_1) | instid1(VALU_DEP_1)
	v_lshl_add_u32 v21, v4, 3, v4
	s_waitcnt vmcnt(3)
	v_dual_mul_f32 v26, v20, v24 :: v_dual_and_b32 v21, 15, v21
	s_waitcnt vmcnt(2)
	s_delay_alu instid0(VALU_DEP_1)
	v_dual_mov_b32 v27, v21 :: v_dual_fmac_f32 v26, v19, v25
	s_branch .LBB6_20
.LBB6_19:                               ;   in Loop: Header=BB6_20 Depth=3
	s_or_b32 exec_lo, exec_lo, s33
	s_xor_b32 s33, s34, -1
	s_delay_alu instid0(SALU_CYCLE_1) | instskip(NEXT) | instid1(SALU_CYCLE_1)
	s_and_b32 s33, exec_lo, s33
	s_or_b32 s17, s33, s17
	s_delay_alu instid0(SALU_CYCLE_1)
	s_and_not1_b32 exec_lo, exec_lo, s17
	s_cbranch_execz .LBB6_30
.LBB6_20:                               ;   Parent Loop BB6_15 Depth=1
                                        ;     Parent Loop BB6_18 Depth=2
                                        ; =>    This Inner Loop Header: Depth=3
	s_delay_alu instid0(VALU_DEP_1)
	v_lshl_add_u32 v28, v27, 2, v6
	s_mov_b32 s33, exec_lo
                                        ; implicit-def: $sgpr34
	ds_load_b32 v29, v28
	s_waitcnt lgkmcnt(0)
	v_cmpx_ne_u32_e64 v29, v4
	s_xor_b32 s33, exec_lo, s33
	s_cbranch_execz .LBB6_28
; %bb.21:                               ;   in Loop: Header=BB6_20 Depth=3
	s_mov_b32 s35, exec_lo
                                        ; implicit-def: $sgpr34
	v_cmpx_ne_u32_e64 s2, v29
	s_xor_b32 s35, exec_lo, s35
; %bb.22:                               ;   in Loop: Header=BB6_20 Depth=3
	v_add_nc_u32_e32 v27, 1, v27
	s_mov_b32 s34, -1
                                        ; implicit-def: $vgpr28
	s_delay_alu instid0(VALU_DEP_1)
	v_and_b32_e32 v27, 15, v27
; %bb.23:                               ;   in Loop: Header=BB6_20 Depth=3
	s_and_not1_saveexec_b32 s35, s35
	s_cbranch_execz .LBB6_27
; %bb.24:                               ;   in Loop: Header=BB6_20 Depth=3
	v_mov_b32_e32 v29, s2
	s_mov_b32 s40, -1
	s_mov_b32 s41, exec_lo
	ds_cmpstore_rtn_b32 v28, v28, v4, v29
	s_waitcnt lgkmcnt(0)
	v_cmpx_eq_u32_e64 s2, v28
	s_cbranch_execz .LBB6_26
; %bb.25:                               ;   in Loop: Header=BB6_20 Depth=3
	v_lshl_add_u32 v28, v27, 4, v7
	s_xor_b32 s40, exec_lo, -1
	ds_add_f32 v28, v26
.LBB6_26:                               ;   in Loop: Header=BB6_20 Depth=3
	s_or_b32 exec_lo, exec_lo, s41
	s_delay_alu instid0(SALU_CYCLE_1) | instskip(SKIP_1) | instid1(SALU_CYCLE_1)
	s_and_not1_b32 s34, s34, exec_lo
	s_and_b32 s40, s40, exec_lo
	s_or_b32 s34, s34, s40
.LBB6_27:                               ;   in Loop: Header=BB6_20 Depth=3
	s_or_b32 exec_lo, exec_lo, s35
	s_delay_alu instid0(SALU_CYCLE_1)
	s_and_b32 s34, s34, exec_lo
.LBB6_28:                               ;   in Loop: Header=BB6_20 Depth=3
	s_and_not1_saveexec_b32 s33, s33
	s_cbranch_execz .LBB6_19
; %bb.29:                               ;   in Loop: Header=BB6_20 Depth=3
	v_lshl_add_u32 v28, v27, 4, v7
	s_and_not1_b32 s34, s34, exec_lo
	ds_add_f32 v28, v26
	s_branch .LBB6_19
.LBB6_30:                               ;   in Loop: Header=BB6_18 Depth=2
	s_or_b32 exec_lo, exec_lo, s17
	s_waitcnt vmcnt(0)
	v_dual_mul_f32 v26, v20, v23 :: v_dual_mov_b32 v27, v21
	s_mov_b32 s17, 0
	s_delay_alu instid0(VALU_DEP_1)
	v_fmac_f32_e32 v26, v19, v22
	s_branch .LBB6_32
.LBB6_31:                               ;   in Loop: Header=BB6_32 Depth=3
	s_or_b32 exec_lo, exec_lo, s33
	s_xor_b32 s33, s34, -1
	s_delay_alu instid0(SALU_CYCLE_1) | instskip(NEXT) | instid1(SALU_CYCLE_1)
	s_and_b32 s33, exec_lo, s33
	s_or_b32 s17, s33, s17
	s_delay_alu instid0(SALU_CYCLE_1)
	s_and_not1_b32 exec_lo, exec_lo, s17
	s_cbranch_execz .LBB6_42
.LBB6_32:                               ;   Parent Loop BB6_15 Depth=1
                                        ;     Parent Loop BB6_18 Depth=2
                                        ; =>    This Inner Loop Header: Depth=3
	s_delay_alu instid0(VALU_DEP_2)
	v_lshl_add_u32 v28, v27, 2, v6
	s_mov_b32 s33, exec_lo
                                        ; implicit-def: $sgpr34
	ds_load_b32 v29, v28
	s_waitcnt lgkmcnt(0)
	v_cmpx_ne_u32_e64 v29, v4
	s_xor_b32 s33, exec_lo, s33
	s_cbranch_execz .LBB6_40
; %bb.33:                               ;   in Loop: Header=BB6_32 Depth=3
	s_mov_b32 s35, exec_lo
                                        ; implicit-def: $sgpr34
	v_cmpx_ne_u32_e64 s2, v29
	s_xor_b32 s35, exec_lo, s35
; %bb.34:                               ;   in Loop: Header=BB6_32 Depth=3
	v_add_nc_u32_e32 v27, 1, v27
	s_mov_b32 s34, -1
                                        ; implicit-def: $vgpr28
	s_delay_alu instid0(VALU_DEP_1)
	v_and_b32_e32 v27, 15, v27
; %bb.35:                               ;   in Loop: Header=BB6_32 Depth=3
	s_and_not1_saveexec_b32 s35, s35
	s_cbranch_execz .LBB6_39
; %bb.36:                               ;   in Loop: Header=BB6_32 Depth=3
	v_mov_b32_e32 v29, s2
	s_mov_b32 s40, -1
	s_mov_b32 s41, exec_lo
	ds_cmpstore_rtn_b32 v28, v28, v4, v29
	s_waitcnt lgkmcnt(0)
	v_cmpx_eq_u32_e64 s2, v28
	s_cbranch_execz .LBB6_38
; %bb.37:                               ;   in Loop: Header=BB6_32 Depth=3
	v_lshl_add_u32 v28, v27, 4, v13
	s_xor_b32 s40, exec_lo, -1
	ds_add_f32 v28, v26
.LBB6_38:                               ;   in Loop: Header=BB6_32 Depth=3
	s_or_b32 exec_lo, exec_lo, s41
	s_delay_alu instid0(SALU_CYCLE_1) | instskip(SKIP_1) | instid1(SALU_CYCLE_1)
	s_and_not1_b32 s34, s34, exec_lo
	s_and_b32 s40, s40, exec_lo
	s_or_b32 s34, s34, s40
.LBB6_39:                               ;   in Loop: Header=BB6_32 Depth=3
	s_or_b32 exec_lo, exec_lo, s35
	s_delay_alu instid0(SALU_CYCLE_1)
	s_and_b32 s34, s34, exec_lo
.LBB6_40:                               ;   in Loop: Header=BB6_32 Depth=3
	s_and_not1_saveexec_b32 s33, s33
	s_cbranch_execz .LBB6_31
; %bb.41:                               ;   in Loop: Header=BB6_32 Depth=3
	v_lshl_add_u32 v28, v27, 4, v13
	s_and_not1_b32 s34, s34, exec_lo
	ds_add_f32 v28, v26
	s_branch .LBB6_31
.LBB6_42:                               ;   in Loop: Header=BB6_18 Depth=2
	s_or_b32 exec_lo, exec_lo, s17
	v_mul_f32_e32 v24, v17, v24
	s_mov_b32 s17, 0
	s_delay_alu instid0(VALU_DEP_1)
	v_dual_fmac_f32 v24, v18, v25 :: v_dual_mov_b32 v25, v21
	s_branch .LBB6_44
.LBB6_43:                               ;   in Loop: Header=BB6_44 Depth=3
	s_or_b32 exec_lo, exec_lo, s33
	s_xor_b32 s33, s34, -1
	s_delay_alu instid0(SALU_CYCLE_1) | instskip(NEXT) | instid1(SALU_CYCLE_1)
	s_and_b32 s33, exec_lo, s33
	s_or_b32 s17, s33, s17
	s_delay_alu instid0(SALU_CYCLE_1)
	s_and_not1_b32 exec_lo, exec_lo, s17
	s_cbranch_execz .LBB6_54
.LBB6_44:                               ;   Parent Loop BB6_15 Depth=1
                                        ;     Parent Loop BB6_18 Depth=2
                                        ; =>    This Inner Loop Header: Depth=3
	s_delay_alu instid0(VALU_DEP_1)
	v_lshl_add_u32 v26, v25, 2, v6
	s_mov_b32 s33, exec_lo
                                        ; implicit-def: $sgpr34
	ds_load_b32 v27, v26
	s_waitcnt lgkmcnt(0)
	v_cmpx_ne_u32_e64 v27, v4
	s_xor_b32 s33, exec_lo, s33
	s_cbranch_execz .LBB6_52
; %bb.45:                               ;   in Loop: Header=BB6_44 Depth=3
	s_mov_b32 s35, exec_lo
                                        ; implicit-def: $sgpr34
	v_cmpx_ne_u32_e64 s2, v27
	s_xor_b32 s35, exec_lo, s35
; %bb.46:                               ;   in Loop: Header=BB6_44 Depth=3
	v_add_nc_u32_e32 v25, 1, v25
	s_mov_b32 s34, -1
                                        ; implicit-def: $vgpr26
	s_delay_alu instid0(VALU_DEP_1)
	v_and_b32_e32 v25, 15, v25
; %bb.47:                               ;   in Loop: Header=BB6_44 Depth=3
	s_and_not1_saveexec_b32 s35, s35
	s_cbranch_execz .LBB6_51
; %bb.48:                               ;   in Loop: Header=BB6_44 Depth=3
	v_mov_b32_e32 v27, s2
	s_mov_b32 s40, -1
	s_mov_b32 s41, exec_lo
	ds_cmpstore_rtn_b32 v26, v26, v4, v27
	s_waitcnt lgkmcnt(0)
	v_cmpx_eq_u32_e64 s2, v26
	s_cbranch_execz .LBB6_50
; %bb.49:                               ;   in Loop: Header=BB6_44 Depth=3
	v_lshl_add_u32 v26, v25, 4, v14
	s_xor_b32 s40, exec_lo, -1
	ds_add_f32 v26, v24
.LBB6_50:                               ;   in Loop: Header=BB6_44 Depth=3
	s_or_b32 exec_lo, exec_lo, s41
	s_delay_alu instid0(SALU_CYCLE_1) | instskip(SKIP_1) | instid1(SALU_CYCLE_1)
	s_and_not1_b32 s34, s34, exec_lo
	s_and_b32 s40, s40, exec_lo
	s_or_b32 s34, s34, s40
.LBB6_51:                               ;   in Loop: Header=BB6_44 Depth=3
	s_or_b32 exec_lo, exec_lo, s35
	s_delay_alu instid0(SALU_CYCLE_1)
	s_and_b32 s34, s34, exec_lo
.LBB6_52:                               ;   in Loop: Header=BB6_44 Depth=3
	s_and_not1_saveexec_b32 s33, s33
	s_cbranch_execz .LBB6_43
; %bb.53:                               ;   in Loop: Header=BB6_44 Depth=3
	v_lshl_add_u32 v26, v25, 4, v14
	s_and_not1_b32 s34, s34, exec_lo
	ds_add_f32 v26, v24
	s_branch .LBB6_43
.LBB6_54:                               ;   in Loop: Header=BB6_18 Depth=2
	s_or_b32 exec_lo, exec_lo, s17
	v_mul_f32_e32 v23, v17, v23
	s_mov_b32 s17, 0
	s_delay_alu instid0(VALU_DEP_1)
	v_fmac_f32_e32 v23, v18, v22
	s_branch .LBB6_56
.LBB6_55:                               ;   in Loop: Header=BB6_56 Depth=3
	s_or_b32 exec_lo, exec_lo, s33
	s_xor_b32 s33, s34, -1
	s_delay_alu instid0(SALU_CYCLE_1) | instskip(NEXT) | instid1(SALU_CYCLE_1)
	s_and_b32 s33, exec_lo, s33
	s_or_b32 s17, s33, s17
	s_delay_alu instid0(SALU_CYCLE_1)
	s_and_not1_b32 exec_lo, exec_lo, s17
	s_cbranch_execz .LBB6_17
.LBB6_56:                               ;   Parent Loop BB6_15 Depth=1
                                        ;     Parent Loop BB6_18 Depth=2
                                        ; =>    This Inner Loop Header: Depth=3
	v_lshl_add_u32 v22, v21, 2, v6
	s_mov_b32 s33, exec_lo
                                        ; implicit-def: $sgpr34
	ds_load_b32 v24, v22
	s_waitcnt lgkmcnt(0)
	v_cmpx_ne_u32_e64 v24, v4
	s_xor_b32 s33, exec_lo, s33
	s_cbranch_execz .LBB6_64
; %bb.57:                               ;   in Loop: Header=BB6_56 Depth=3
	s_mov_b32 s35, exec_lo
                                        ; implicit-def: $sgpr34
	v_cmpx_ne_u32_e64 s2, v24
	s_xor_b32 s35, exec_lo, s35
; %bb.58:                               ;   in Loop: Header=BB6_56 Depth=3
	v_add_nc_u32_e32 v21, 1, v21
	s_mov_b32 s34, -1
                                        ; implicit-def: $vgpr22
	s_delay_alu instid0(VALU_DEP_1)
	v_and_b32_e32 v21, 15, v21
; %bb.59:                               ;   in Loop: Header=BB6_56 Depth=3
	s_and_not1_saveexec_b32 s35, s35
	s_cbranch_execz .LBB6_63
; %bb.60:                               ;   in Loop: Header=BB6_56 Depth=3
	v_mov_b32_e32 v24, s2
	s_mov_b32 s40, -1
	s_mov_b32 s41, exec_lo
	ds_cmpstore_rtn_b32 v22, v22, v4, v24
	s_waitcnt lgkmcnt(0)
	v_cmpx_eq_u32_e64 s2, v22
	s_cbranch_execz .LBB6_62
; %bb.61:                               ;   in Loop: Header=BB6_56 Depth=3
	v_lshl_add_u32 v22, v21, 4, v15
	s_xor_b32 s40, exec_lo, -1
	ds_add_f32 v22, v23
.LBB6_62:                               ;   in Loop: Header=BB6_56 Depth=3
	s_or_b32 exec_lo, exec_lo, s41
	s_delay_alu instid0(SALU_CYCLE_1) | instskip(SKIP_1) | instid1(SALU_CYCLE_1)
	s_and_not1_b32 s34, s34, exec_lo
	s_and_b32 s40, s40, exec_lo
	s_or_b32 s34, s34, s40
.LBB6_63:                               ;   in Loop: Header=BB6_56 Depth=3
	s_or_b32 exec_lo, exec_lo, s35
	s_delay_alu instid0(SALU_CYCLE_1)
	s_and_b32 s34, s34, exec_lo
.LBB6_64:                               ;   in Loop: Header=BB6_56 Depth=3
	s_and_not1_saveexec_b32 s33, s33
	s_cbranch_execz .LBB6_55
; %bb.65:                               ;   in Loop: Header=BB6_56 Depth=3
	v_lshl_add_u32 v22, v21, 4, v15
	s_and_not1_b32 s34, s34, exec_lo
	ds_add_f32 v22, v23
	s_branch .LBB6_55
.LBB6_66:
	s_or_b32 exec_lo, exec_lo, s1
.LBB6_67:
	s_delay_alu instid0(SALU_CYCLE_1)
	s_and_not1_b32 vcc_lo, exec_lo, s12
	s_waitcnt lgkmcnt(0)
	buffer_gl0_inv
	s_cbranch_vccnz .LBB6_120
; %bb.68:
	v_add_co_u32 v2, vcc_lo, s4, v0
	v_add_co_ci_u32_e32 v3, vcc_lo, s5, v1, vcc_lo
	v_subrev_nc_u32_e32 v10, s27, v11
	s_mov_b32 s1, exec_lo
	global_load_b64 v[2:3], v[2:3], off
	s_waitcnt vmcnt(0)
	v_subrev_nc_u32_e32 v4, s27, v3
	v_add_nc_u32_e32 v2, v2, v10
	s_delay_alu instid0(VALU_DEP_1)
	v_cmpx_lt_i32_e64 v2, v4
	s_cbranch_execz .LBB6_119
; %bb.69:
	v_add_nc_u32_e32 v10, 4, v7
	v_add_nc_u32_e32 v11, 8, v7
	;; [unrolled: 1-line block ×3, first 2 shown]
	s_cmp_eq_u32 s0, 0
	s_mov_b32 s3, 0
	s_cselect_b32 s4, 1, 2
	s_cselect_b32 s5, 2, 1
	s_branch .LBB6_71
.LBB6_70:                               ;   in Loop: Header=BB6_71 Depth=1
	s_or_b32 exec_lo, exec_lo, s12
	v_add_nc_u32_e32 v2, 16, v2
	s_delay_alu instid0(VALU_DEP_1) | instskip(SKIP_1) | instid1(SALU_CYCLE_1)
	v_cmp_ge_i32_e32 vcc_lo, v2, v4
	s_or_b32 s3, vcc_lo, s3
	s_and_not1_b32 exec_lo, exec_lo, s3
	s_cbranch_execz .LBB6_119
.LBB6_71:                               ; =>This Loop Header: Depth=1
                                        ;     Child Loop BB6_73 Depth 2
                                        ;     Child Loop BB6_85 Depth 2
	;; [unrolled: 1-line block ×4, first 2 shown]
	v_ashrrev_i32_e32 v3, 31, v2
	v_lshlrev_b32_e32 v13, 2, v2
	s_mov_b32 s12, 0
	s_delay_alu instid0(VALU_DEP_2) | instskip(NEXT) | instid1(VALU_DEP_2)
	v_lshlrev_b64 v[17:18], 2, v[2:3]
	v_or_b32_e32 v15, s5, v13
	v_ashrrev_i32_e32 v14, 31, v13
	v_or_b32_e32 v19, s4, v13
	s_delay_alu instid0(VALU_DEP_3)
	v_ashrrev_i32_e32 v16, 31, v15
	v_add_co_u32 v17, vcc_lo, s6, v17
	v_add_co_ci_u32_e32 v18, vcc_lo, s7, v18, vcc_lo
	v_lshlrev_b64 v[13:14], 2, v[13:14]
	v_ashrrev_i32_e32 v20, 31, v19
	v_lshlrev_b64 v[15:16], 2, v[15:16]
	global_load_b32 v3, v[17:18], off
	v_add_co_u32 v13, vcc_lo, s8, v13
	v_lshlrev_b64 v[17:18], 2, v[19:20]
	v_add_co_ci_u32_e32 v14, vcc_lo, s9, v14, vcc_lo
	v_add_co_u32 v15, vcc_lo, s8, v15
	v_add_co_ci_u32_e32 v16, vcc_lo, s9, v16, vcc_lo
	s_delay_alu instid0(VALU_DEP_4)
	v_add_co_u32 v17, vcc_lo, s8, v17
	global_load_b32 v21, v[13:14], off
	v_add_co_ci_u32_e32 v18, vcc_lo, s9, v18, vcc_lo
	s_clause 0x2
	global_load_b32 v15, v[15:16], off
	global_load_b32 v16, v[17:18], off
	global_load_b32 v14, v[13:14], off offset:12
	s_waitcnt vmcnt(4)
	v_subrev_nc_u32_e32 v3, s27, v3
	s_delay_alu instid0(VALU_DEP_1) | instskip(NEXT) | instid1(VALU_DEP_1)
	v_lshl_add_u32 v13, v3, 3, v3
	v_and_b32_e32 v13, 15, v13
	s_waitcnt vmcnt(3)
	s_delay_alu instid0(VALU_DEP_1)
	v_dual_mul_f32 v17, v8, v21 :: v_dual_mov_b32 v18, v13
	s_branch .LBB6_73
.LBB6_72:                               ;   in Loop: Header=BB6_73 Depth=2
	s_or_b32 exec_lo, exec_lo, s13
	s_xor_b32 s13, s14, -1
	s_delay_alu instid0(SALU_CYCLE_1) | instskip(NEXT) | instid1(SALU_CYCLE_1)
	s_and_b32 s13, exec_lo, s13
	s_or_b32 s12, s13, s12
	s_delay_alu instid0(SALU_CYCLE_1)
	s_and_not1_b32 exec_lo, exec_lo, s12
	s_cbranch_execz .LBB6_83
.LBB6_73:                               ;   Parent Loop BB6_71 Depth=1
                                        ; =>  This Inner Loop Header: Depth=2
	s_delay_alu instid0(VALU_DEP_1)
	v_lshl_add_u32 v19, v18, 2, v6
	s_mov_b32 s13, exec_lo
                                        ; implicit-def: $sgpr14
	ds_load_b32 v20, v19
	s_waitcnt lgkmcnt(0)
	v_cmpx_ne_u32_e64 v20, v3
	s_xor_b32 s13, exec_lo, s13
	s_cbranch_execz .LBB6_81
; %bb.74:                               ;   in Loop: Header=BB6_73 Depth=2
	s_mov_b32 s15, exec_lo
                                        ; implicit-def: $sgpr14
	v_cmpx_ne_u32_e64 s2, v20
	s_xor_b32 s15, exec_lo, s15
; %bb.75:                               ;   in Loop: Header=BB6_73 Depth=2
	v_add_nc_u32_e32 v18, 1, v18
	s_mov_b32 s14, -1
                                        ; implicit-def: $vgpr19
	s_delay_alu instid0(VALU_DEP_1)
	v_and_b32_e32 v18, 15, v18
; %bb.76:                               ;   in Loop: Header=BB6_73 Depth=2
	s_and_not1_saveexec_b32 s15, s15
	s_cbranch_execz .LBB6_80
; %bb.77:                               ;   in Loop: Header=BB6_73 Depth=2
	v_mov_b32_e32 v20, s2
	s_mov_b32 s16, -1
	s_mov_b32 s17, exec_lo
	ds_cmpstore_rtn_b32 v19, v19, v3, v20
	s_waitcnt lgkmcnt(0)
	v_cmpx_eq_u32_e64 s2, v19
	s_cbranch_execz .LBB6_79
; %bb.78:                               ;   in Loop: Header=BB6_73 Depth=2
	v_lshl_add_u32 v19, v18, 4, v7
	s_xor_b32 s16, exec_lo, -1
	ds_add_f32 v19, v17
.LBB6_79:                               ;   in Loop: Header=BB6_73 Depth=2
	s_or_b32 exec_lo, exec_lo, s17
	s_delay_alu instid0(SALU_CYCLE_1) | instskip(SKIP_1) | instid1(SALU_CYCLE_1)
	s_and_not1_b32 s14, s14, exec_lo
	s_and_b32 s16, s16, exec_lo
	s_or_b32 s14, s14, s16
.LBB6_80:                               ;   in Loop: Header=BB6_73 Depth=2
	s_or_b32 exec_lo, exec_lo, s15
	s_delay_alu instid0(SALU_CYCLE_1)
	s_and_b32 s14, s14, exec_lo
.LBB6_81:                               ;   in Loop: Header=BB6_73 Depth=2
	s_and_not1_saveexec_b32 s13, s13
	s_cbranch_execz .LBB6_72
; %bb.82:                               ;   in Loop: Header=BB6_73 Depth=2
	v_lshl_add_u32 v19, v18, 4, v7
	s_and_not1_b32 s14, s14, exec_lo
	ds_add_f32 v19, v17
	s_branch .LBB6_72
.LBB6_83:                               ;   in Loop: Header=BB6_71 Depth=1
	s_or_b32 exec_lo, exec_lo, s12
	s_waitcnt vmcnt(1)
	v_dual_mul_f32 v16, v8, v16 :: v_dual_mov_b32 v17, v13
	s_mov_b32 s12, 0
	s_branch .LBB6_85
.LBB6_84:                               ;   in Loop: Header=BB6_85 Depth=2
	s_or_b32 exec_lo, exec_lo, s13
	s_xor_b32 s13, s14, -1
	s_delay_alu instid0(SALU_CYCLE_1) | instskip(NEXT) | instid1(SALU_CYCLE_1)
	s_and_b32 s13, exec_lo, s13
	s_or_b32 s12, s13, s12
	s_delay_alu instid0(SALU_CYCLE_1)
	s_and_not1_b32 exec_lo, exec_lo, s12
	s_cbranch_execz .LBB6_95
.LBB6_85:                               ;   Parent Loop BB6_71 Depth=1
                                        ; =>  This Inner Loop Header: Depth=2
	s_delay_alu instid0(VALU_DEP_1)
	v_lshl_add_u32 v18, v17, 2, v6
	s_mov_b32 s13, exec_lo
                                        ; implicit-def: $sgpr14
	ds_load_b32 v19, v18
	s_waitcnt lgkmcnt(0)
	v_cmpx_ne_u32_e64 v19, v3
	s_xor_b32 s13, exec_lo, s13
	s_cbranch_execz .LBB6_93
; %bb.86:                               ;   in Loop: Header=BB6_85 Depth=2
	s_mov_b32 s15, exec_lo
                                        ; implicit-def: $sgpr14
	v_cmpx_ne_u32_e64 s2, v19
	s_xor_b32 s15, exec_lo, s15
; %bb.87:                               ;   in Loop: Header=BB6_85 Depth=2
	v_add_nc_u32_e32 v17, 1, v17
	s_mov_b32 s14, -1
                                        ; implicit-def: $vgpr18
	s_delay_alu instid0(VALU_DEP_1)
	v_and_b32_e32 v17, 15, v17
; %bb.88:                               ;   in Loop: Header=BB6_85 Depth=2
	s_and_not1_saveexec_b32 s15, s15
	s_cbranch_execz .LBB6_92
; %bb.89:                               ;   in Loop: Header=BB6_85 Depth=2
	v_mov_b32_e32 v19, s2
	s_mov_b32 s16, -1
	s_mov_b32 s17, exec_lo
	ds_cmpstore_rtn_b32 v18, v18, v3, v19
	s_waitcnt lgkmcnt(0)
	v_cmpx_eq_u32_e64 s2, v18
	s_cbranch_execz .LBB6_91
; %bb.90:                               ;   in Loop: Header=BB6_85 Depth=2
	v_lshl_add_u32 v18, v17, 4, v10
	s_xor_b32 s16, exec_lo, -1
	ds_add_f32 v18, v16
.LBB6_91:                               ;   in Loop: Header=BB6_85 Depth=2
	s_or_b32 exec_lo, exec_lo, s17
	s_delay_alu instid0(SALU_CYCLE_1) | instskip(SKIP_1) | instid1(SALU_CYCLE_1)
	s_and_not1_b32 s14, s14, exec_lo
	s_and_b32 s16, s16, exec_lo
	s_or_b32 s14, s14, s16
.LBB6_92:                               ;   in Loop: Header=BB6_85 Depth=2
	s_or_b32 exec_lo, exec_lo, s15
	s_delay_alu instid0(SALU_CYCLE_1)
	s_and_b32 s14, s14, exec_lo
.LBB6_93:                               ;   in Loop: Header=BB6_85 Depth=2
	s_and_not1_saveexec_b32 s13, s13
	s_cbranch_execz .LBB6_84
; %bb.94:                               ;   in Loop: Header=BB6_85 Depth=2
	v_lshl_add_u32 v18, v17, 4, v10
	s_and_not1_b32 s14, s14, exec_lo
	ds_add_f32 v18, v16
	s_branch .LBB6_84
.LBB6_95:                               ;   in Loop: Header=BB6_71 Depth=1
	s_or_b32 exec_lo, exec_lo, s12
	v_dual_mul_f32 v15, v8, v15 :: v_dual_mov_b32 v16, v13
	s_mov_b32 s12, 0
	s_branch .LBB6_97
.LBB6_96:                               ;   in Loop: Header=BB6_97 Depth=2
	s_or_b32 exec_lo, exec_lo, s13
	s_xor_b32 s13, s14, -1
	s_delay_alu instid0(SALU_CYCLE_1) | instskip(NEXT) | instid1(SALU_CYCLE_1)
	s_and_b32 s13, exec_lo, s13
	s_or_b32 s12, s13, s12
	s_delay_alu instid0(SALU_CYCLE_1)
	s_and_not1_b32 exec_lo, exec_lo, s12
	s_cbranch_execz .LBB6_107
.LBB6_97:                               ;   Parent Loop BB6_71 Depth=1
                                        ; =>  This Inner Loop Header: Depth=2
	s_delay_alu instid0(VALU_DEP_1)
	v_lshl_add_u32 v17, v16, 2, v6
	s_mov_b32 s13, exec_lo
                                        ; implicit-def: $sgpr14
	ds_load_b32 v18, v17
	s_waitcnt lgkmcnt(0)
	v_cmpx_ne_u32_e64 v18, v3
	s_xor_b32 s13, exec_lo, s13
	s_cbranch_execz .LBB6_105
; %bb.98:                               ;   in Loop: Header=BB6_97 Depth=2
	s_mov_b32 s15, exec_lo
                                        ; implicit-def: $sgpr14
	v_cmpx_ne_u32_e64 s2, v18
	s_xor_b32 s15, exec_lo, s15
; %bb.99:                               ;   in Loop: Header=BB6_97 Depth=2
	v_add_nc_u32_e32 v16, 1, v16
	s_mov_b32 s14, -1
                                        ; implicit-def: $vgpr17
	s_delay_alu instid0(VALU_DEP_1)
	v_and_b32_e32 v16, 15, v16
; %bb.100:                              ;   in Loop: Header=BB6_97 Depth=2
	s_and_not1_saveexec_b32 s15, s15
	s_cbranch_execz .LBB6_104
; %bb.101:                              ;   in Loop: Header=BB6_97 Depth=2
	v_mov_b32_e32 v18, s2
	s_mov_b32 s16, -1
	s_mov_b32 s17, exec_lo
	ds_cmpstore_rtn_b32 v17, v17, v3, v18
	s_waitcnt lgkmcnt(0)
	v_cmpx_eq_u32_e64 s2, v17
	s_cbranch_execz .LBB6_103
; %bb.102:                              ;   in Loop: Header=BB6_97 Depth=2
	v_lshl_add_u32 v17, v16, 4, v11
	s_xor_b32 s16, exec_lo, -1
	ds_add_f32 v17, v15
.LBB6_103:                              ;   in Loop: Header=BB6_97 Depth=2
	s_or_b32 exec_lo, exec_lo, s17
	s_delay_alu instid0(SALU_CYCLE_1) | instskip(SKIP_1) | instid1(SALU_CYCLE_1)
	s_and_not1_b32 s14, s14, exec_lo
	s_and_b32 s16, s16, exec_lo
	s_or_b32 s14, s14, s16
.LBB6_104:                              ;   in Loop: Header=BB6_97 Depth=2
	s_or_b32 exec_lo, exec_lo, s15
	s_delay_alu instid0(SALU_CYCLE_1)
	s_and_b32 s14, s14, exec_lo
.LBB6_105:                              ;   in Loop: Header=BB6_97 Depth=2
	s_and_not1_saveexec_b32 s13, s13
	s_cbranch_execz .LBB6_96
; %bb.106:                              ;   in Loop: Header=BB6_97 Depth=2
	v_lshl_add_u32 v17, v16, 4, v11
	s_and_not1_b32 s14, s14, exec_lo
	ds_add_f32 v17, v15
	s_branch .LBB6_96
.LBB6_107:                              ;   in Loop: Header=BB6_71 Depth=1
	s_or_b32 exec_lo, exec_lo, s12
	s_waitcnt vmcnt(0)
	v_mul_f32_e32 v14, v8, v14
	s_mov_b32 s12, 0
	s_branch .LBB6_109
.LBB6_108:                              ;   in Loop: Header=BB6_109 Depth=2
	s_or_b32 exec_lo, exec_lo, s13
	s_xor_b32 s13, s14, -1
	s_delay_alu instid0(SALU_CYCLE_1) | instskip(NEXT) | instid1(SALU_CYCLE_1)
	s_and_b32 s13, exec_lo, s13
	s_or_b32 s12, s13, s12
	s_delay_alu instid0(SALU_CYCLE_1)
	s_and_not1_b32 exec_lo, exec_lo, s12
	s_cbranch_execz .LBB6_70
.LBB6_109:                              ;   Parent Loop BB6_71 Depth=1
                                        ; =>  This Inner Loop Header: Depth=2
	v_lshl_add_u32 v15, v13, 2, v6
	s_mov_b32 s13, exec_lo
                                        ; implicit-def: $sgpr14
	ds_load_b32 v16, v15
	s_waitcnt lgkmcnt(0)
	v_cmpx_ne_u32_e64 v16, v3
	s_xor_b32 s13, exec_lo, s13
	s_cbranch_execz .LBB6_117
; %bb.110:                              ;   in Loop: Header=BB6_109 Depth=2
	s_mov_b32 s15, exec_lo
                                        ; implicit-def: $sgpr14
	v_cmpx_ne_u32_e64 s2, v16
	s_xor_b32 s15, exec_lo, s15
; %bb.111:                              ;   in Loop: Header=BB6_109 Depth=2
	v_add_nc_u32_e32 v13, 1, v13
	s_mov_b32 s14, -1
                                        ; implicit-def: $vgpr15
	s_delay_alu instid0(VALU_DEP_1)
	v_and_b32_e32 v13, 15, v13
; %bb.112:                              ;   in Loop: Header=BB6_109 Depth=2
	s_and_not1_saveexec_b32 s15, s15
	s_cbranch_execz .LBB6_116
; %bb.113:                              ;   in Loop: Header=BB6_109 Depth=2
	v_mov_b32_e32 v16, s2
	s_mov_b32 s16, -1
	s_mov_b32 s17, exec_lo
	ds_cmpstore_rtn_b32 v15, v15, v3, v16
	s_waitcnt lgkmcnt(0)
	v_cmpx_eq_u32_e64 s2, v15
	s_cbranch_execz .LBB6_115
; %bb.114:                              ;   in Loop: Header=BB6_109 Depth=2
	v_lshl_add_u32 v15, v13, 4, v12
	s_xor_b32 s16, exec_lo, -1
	ds_add_f32 v15, v14
.LBB6_115:                              ;   in Loop: Header=BB6_109 Depth=2
	s_or_b32 exec_lo, exec_lo, s17
	s_delay_alu instid0(SALU_CYCLE_1) | instskip(SKIP_1) | instid1(SALU_CYCLE_1)
	s_and_not1_b32 s14, s14, exec_lo
	s_and_b32 s16, s16, exec_lo
	s_or_b32 s14, s14, s16
.LBB6_116:                              ;   in Loop: Header=BB6_109 Depth=2
	s_or_b32 exec_lo, exec_lo, s15
	s_delay_alu instid0(SALU_CYCLE_1)
	s_and_b32 s14, s14, exec_lo
.LBB6_117:                              ;   in Loop: Header=BB6_109 Depth=2
	s_and_not1_saveexec_b32 s13, s13
	s_cbranch_execz .LBB6_108
; %bb.118:                              ;   in Loop: Header=BB6_109 Depth=2
	v_lshl_add_u32 v15, v13, 4, v12
	s_and_not1_b32 s14, s14, exec_lo
	ds_add_f32 v15, v14
	s_branch .LBB6_108
.LBB6_119:
	s_or_b32 exec_lo, exec_lo, s1
.LBB6_120:
	s_waitcnt lgkmcnt(0)
	buffer_gl0_inv
	ds_load_b32 v2, v9
	s_waitcnt lgkmcnt(0)
	v_cmp_gt_i32_e32 vcc_lo, s2, v2
	s_and_b32 exec_lo, exec_lo, vcc_lo
	s_cbranch_execz .LBB6_122
; %bb.121:
	v_add_co_u32 v0, vcc_lo, s10, v0
	v_add_co_ci_u32_e32 v1, vcc_lo, s11, v1, vcc_lo
	s_cmp_eq_u32 s0, 0
	s_cselect_b32 s0, 1, 2
	global_load_b32 v3, v[0:1], off
	ds_load_b128 v[8:11], v6
	ds_load_b128 v[12:15], v6 offset:16
	ds_load_b128 v[16:19], v6 offset:32
	;; [unrolled: 1-line block ×3, first 2 shown]
	v_lshl_add_u32 v0, v5, 2, v7
	s_cselect_b32 s1, 2, 1
	ds_load_2addr_b32 v[0:1], v0 offset1:3
	s_waitcnt lgkmcnt(4)
	v_cmp_gt_i32_e32 vcc_lo, v2, v8
	v_or_b32_e32 v8, s1, v5
	v_cndmask_b32_e64 v4, 0, 1, vcc_lo
	v_cmp_gt_i32_e32 vcc_lo, v2, v10
	v_cndmask_b32_e64 v6, 0, 1, vcc_lo
	v_cmp_gt_i32_e32 vcc_lo, v2, v9
	s_waitcnt vmcnt(0)
	v_subrev_nc_u32_e32 v3, s26, v3
	s_delay_alu instid0(VALU_DEP_1)
	v_add_co_ci_u32_e32 v3, vcc_lo, v3, v4, vcc_lo
	s_waitcnt lgkmcnt(3)
	v_cmp_gt_i32_e32 vcc_lo, v2, v12
	v_cndmask_b32_e64 v4, 0, 1, vcc_lo
	v_cmp_gt_i32_e32 vcc_lo, v2, v11
	v_add_nc_u32_e32 v11, s26, v2
	v_add_co_ci_u32_e32 v3, vcc_lo, v3, v6, vcc_lo
	v_cmp_gt_i32_e32 vcc_lo, v2, v14
	v_cndmask_b32_e64 v6, 0, 1, vcc_lo
	v_cmp_gt_i32_e32 vcc_lo, v2, v13
	s_delay_alu instid0(VALU_DEP_4)
	v_add_co_ci_u32_e32 v3, vcc_lo, v3, v4, vcc_lo
	s_waitcnt lgkmcnt(2)
	v_cmp_gt_i32_e32 vcc_lo, v2, v16
	v_cndmask_b32_e64 v4, 0, 1, vcc_lo
	v_cmp_gt_i32_e32 vcc_lo, v2, v15
	v_add_co_ci_u32_e32 v3, vcc_lo, v3, v6, vcc_lo
	v_cmp_gt_i32_e32 vcc_lo, v2, v18
	v_cndmask_b32_e64 v6, 0, 1, vcc_lo
	v_cmp_gt_i32_e32 vcc_lo, v2, v17
	s_delay_alu instid0(VALU_DEP_4)
	v_add_co_ci_u32_e32 v3, vcc_lo, v3, v4, vcc_lo
	s_waitcnt lgkmcnt(1)
	v_cmp_gt_i32_e32 vcc_lo, v2, v20
	v_cndmask_b32_e64 v4, 0, 1, vcc_lo
	v_cmp_gt_i32_e32 vcc_lo, v2, v19
	v_add_co_ci_u32_e32 v3, vcc_lo, v3, v6, vcc_lo
	v_cmp_gt_i32_e32 vcc_lo, v2, v22
	v_cndmask_b32_e64 v6, 0, 1, vcc_lo
	v_cmp_gt_i32_e32 vcc_lo, v2, v21
	s_delay_alu instid0(VALU_DEP_4)
	v_add_co_ci_u32_e32 v3, vcc_lo, v3, v4, vcc_lo
	v_cmp_gt_i32_e32 vcc_lo, v2, v23
	v_or_b32_e32 v4, s0, v5
	s_waitcnt lgkmcnt(0)
	v_mov_b32_e32 v2, v0
	v_add_co_ci_u32_e32 v5, vcc_lo, v3, v6, vcc_lo
	s_delay_alu instid0(VALU_DEP_3)
	v_lshl_add_u32 v3, v4, 2, v7
	v_lshl_add_u32 v4, v8, 2, v7
	ds_load_b32 v3, v3
	ds_load_b32 v4, v4
	v_lshlrev_b32_e32 v7, 2, v5
	v_ashrrev_i32_e32 v6, 31, v5
	s_delay_alu instid0(VALU_DEP_2) | instskip(NEXT) | instid1(VALU_DEP_2)
	v_ashrrev_i32_e32 v8, 31, v7
	v_lshlrev_b64 v[5:6], 2, v[5:6]
	s_delay_alu instid0(VALU_DEP_2) | instskip(NEXT) | instid1(VALU_DEP_2)
	v_lshlrev_b64 v[7:8], 2, v[7:8]
	v_add_co_u32 v9, vcc_lo, s28, v5
	s_delay_alu instid0(VALU_DEP_3) | instskip(NEXT) | instid1(VALU_DEP_3)
	v_add_co_ci_u32_e32 v10, vcc_lo, s29, v6, vcc_lo
	v_add_co_u32 v6, vcc_lo, s30, v7
	s_delay_alu instid0(VALU_DEP_4)
	v_add_co_ci_u32_e32 v7, vcc_lo, s31, v8, vcc_lo
	v_mov_b32_e32 v5, v1
	global_store_b32 v[9:10], v11, off
	s_waitcnt lgkmcnt(0)
	global_store_b128 v[6:7], v[2:5], off
.LBB6_122:
	s_nop 0
	s_sendmsg sendmsg(MSG_DEALLOC_VGPRS)
	s_endpgm
	.section	.rodata,"a",@progbits
	.p2align	6, 0x0
	.amdhsa_kernel _ZN9rocsparseL27bsrgemm_fill_wf_per_row_2x2ILj256ELj16ELj16ELj137EiifEEv20rocsparse_direction_T4_S2_PKS2_S4_NS_24const_host_device_scalarIT5_EEPKT3_S4_PKS6_SA_S4_SC_S7_SA_S4_SC_SA_PS2_PS6_21rocsparse_index_base_SF_SF_SF_bbb
		.amdhsa_group_segment_fixed_size 5120
		.amdhsa_private_segment_fixed_size 0
		.amdhsa_kernarg_size 164
		.amdhsa_user_sgpr_count 15
		.amdhsa_user_sgpr_dispatch_ptr 0
		.amdhsa_user_sgpr_queue_ptr 0
		.amdhsa_user_sgpr_kernarg_segment_ptr 1
		.amdhsa_user_sgpr_dispatch_id 0
		.amdhsa_user_sgpr_private_segment_size 0
		.amdhsa_wavefront_size32 1
		.amdhsa_uses_dynamic_stack 0
		.amdhsa_enable_private_segment 0
		.amdhsa_system_sgpr_workgroup_id_x 1
		.amdhsa_system_sgpr_workgroup_id_y 0
		.amdhsa_system_sgpr_workgroup_id_z 0
		.amdhsa_system_sgpr_workgroup_info 0
		.amdhsa_system_vgpr_workitem_id 0
		.amdhsa_next_free_vgpr 31
		.amdhsa_next_free_sgpr 44
		.amdhsa_reserve_vcc 1
		.amdhsa_float_round_mode_32 0
		.amdhsa_float_round_mode_16_64 0
		.amdhsa_float_denorm_mode_32 3
		.amdhsa_float_denorm_mode_16_64 3
		.amdhsa_dx10_clamp 1
		.amdhsa_ieee_mode 1
		.amdhsa_fp16_overflow 0
		.amdhsa_workgroup_processor_mode 1
		.amdhsa_memory_ordered 1
		.amdhsa_forward_progress 0
		.amdhsa_shared_vgpr_count 0
		.amdhsa_exception_fp_ieee_invalid_op 0
		.amdhsa_exception_fp_denorm_src 0
		.amdhsa_exception_fp_ieee_div_zero 0
		.amdhsa_exception_fp_ieee_overflow 0
		.amdhsa_exception_fp_ieee_underflow 0
		.amdhsa_exception_fp_ieee_inexact 0
		.amdhsa_exception_int_div_zero 0
	.end_amdhsa_kernel
	.section	.text._ZN9rocsparseL27bsrgemm_fill_wf_per_row_2x2ILj256ELj16ELj16ELj137EiifEEv20rocsparse_direction_T4_S2_PKS2_S4_NS_24const_host_device_scalarIT5_EEPKT3_S4_PKS6_SA_S4_SC_S7_SA_S4_SC_SA_PS2_PS6_21rocsparse_index_base_SF_SF_SF_bbb,"axG",@progbits,_ZN9rocsparseL27bsrgemm_fill_wf_per_row_2x2ILj256ELj16ELj16ELj137EiifEEv20rocsparse_direction_T4_S2_PKS2_S4_NS_24const_host_device_scalarIT5_EEPKT3_S4_PKS6_SA_S4_SC_S7_SA_S4_SC_SA_PS2_PS6_21rocsparse_index_base_SF_SF_SF_bbb,comdat
.Lfunc_end6:
	.size	_ZN9rocsparseL27bsrgemm_fill_wf_per_row_2x2ILj256ELj16ELj16ELj137EiifEEv20rocsparse_direction_T4_S2_PKS2_S4_NS_24const_host_device_scalarIT5_EEPKT3_S4_PKS6_SA_S4_SC_S7_SA_S4_SC_SA_PS2_PS6_21rocsparse_index_base_SF_SF_SF_bbb, .Lfunc_end6-_ZN9rocsparseL27bsrgemm_fill_wf_per_row_2x2ILj256ELj16ELj16ELj137EiifEEv20rocsparse_direction_T4_S2_PKS2_S4_NS_24const_host_device_scalarIT5_EEPKT3_S4_PKS6_SA_S4_SC_S7_SA_S4_SC_SA_PS2_PS6_21rocsparse_index_base_SF_SF_SF_bbb
                                        ; -- End function
	.section	.AMDGPU.csdata,"",@progbits
; Kernel info:
; codeLenInByte = 3988
; NumSgprs: 46
; NumVgprs: 31
; ScratchSize: 0
; MemoryBound: 0
; FloatMode: 240
; IeeeMode: 1
; LDSByteSize: 5120 bytes/workgroup (compile time only)
; SGPRBlocks: 5
; VGPRBlocks: 3
; NumSGPRsForWavesPerEU: 46
; NumVGPRsForWavesPerEU: 31
; Occupancy: 16
; WaveLimiterHint : 1
; COMPUTE_PGM_RSRC2:SCRATCH_EN: 0
; COMPUTE_PGM_RSRC2:USER_SGPR: 15
; COMPUTE_PGM_RSRC2:TRAP_HANDLER: 0
; COMPUTE_PGM_RSRC2:TGID_X_EN: 1
; COMPUTE_PGM_RSRC2:TGID_Y_EN: 0
; COMPUTE_PGM_RSRC2:TGID_Z_EN: 0
; COMPUTE_PGM_RSRC2:TIDIG_COMP_CNT: 0
	.section	.text._ZN9rocsparseL27bsrgemm_fill_wf_per_row_2x2ILj256ELj16ELj32ELj137EiifEEv20rocsparse_direction_T4_S2_PKS2_S4_NS_24const_host_device_scalarIT5_EEPKT3_S4_PKS6_SA_S4_SC_S7_SA_S4_SC_SA_PS2_PS6_21rocsparse_index_base_SF_SF_SF_bbb,"axG",@progbits,_ZN9rocsparseL27bsrgemm_fill_wf_per_row_2x2ILj256ELj16ELj32ELj137EiifEEv20rocsparse_direction_T4_S2_PKS2_S4_NS_24const_host_device_scalarIT5_EEPKT3_S4_PKS6_SA_S4_SC_S7_SA_S4_SC_SA_PS2_PS6_21rocsparse_index_base_SF_SF_SF_bbb,comdat
	.globl	_ZN9rocsparseL27bsrgemm_fill_wf_per_row_2x2ILj256ELj16ELj32ELj137EiifEEv20rocsparse_direction_T4_S2_PKS2_S4_NS_24const_host_device_scalarIT5_EEPKT3_S4_PKS6_SA_S4_SC_S7_SA_S4_SC_SA_PS2_PS6_21rocsparse_index_base_SF_SF_SF_bbb ; -- Begin function _ZN9rocsparseL27bsrgemm_fill_wf_per_row_2x2ILj256ELj16ELj32ELj137EiifEEv20rocsparse_direction_T4_S2_PKS2_S4_NS_24const_host_device_scalarIT5_EEPKT3_S4_PKS6_SA_S4_SC_S7_SA_S4_SC_SA_PS2_PS6_21rocsparse_index_base_SF_SF_SF_bbb
	.p2align	8
	.type	_ZN9rocsparseL27bsrgemm_fill_wf_per_row_2x2ILj256ELj16ELj32ELj137EiifEEv20rocsparse_direction_T4_S2_PKS2_S4_NS_24const_host_device_scalarIT5_EEPKT3_S4_PKS6_SA_S4_SC_S7_SA_S4_SC_SA_PS2_PS6_21rocsparse_index_base_SF_SF_SF_bbb,@function
_ZN9rocsparseL27bsrgemm_fill_wf_per_row_2x2ILj256ELj16ELj32ELj137EiifEEv20rocsparse_direction_T4_S2_PKS2_S4_NS_24const_host_device_scalarIT5_EEPKT3_S4_PKS6_SA_S4_SC_S7_SA_S4_SC_SA_PS2_PS6_21rocsparse_index_base_SF_SF_SF_bbb: ; @_ZN9rocsparseL27bsrgemm_fill_wf_per_row_2x2ILj256ELj16ELj32ELj137EiifEEv20rocsparse_direction_T4_S2_PKS2_S4_NS_24const_host_device_scalarIT5_EEPKT3_S4_PKS6_SA_S4_SC_S7_SA_S4_SC_SA_PS2_PS6_21rocsparse_index_base_SF_SF_SF_bbb
; %bb.0:
	s_clause 0x3
	s_load_b32 s12, s[0:1], 0xa0
	s_load_b128 s[24:27], s[0:1], 0x90
	s_load_b64 s[4:5], s[0:1], 0x20
	s_load_b64 s[2:3], s[0:1], 0x58
	s_waitcnt lgkmcnt(0)
	s_bitcmp1_b32 s12, 0
	s_cselect_b32 s13, -1, 0
	s_bitcmp1_b32 s12, 16
	s_cselect_b32 s14, -1, 0
	s_xor_b32 s6, s13, -1
	s_delay_alu instid0(SALU_CYCLE_1) | instskip(NEXT) | instid1(SALU_CYCLE_1)
	s_or_b32 s6, s6, s14
	s_and_b32 vcc_lo, exec_lo, s6
	s_cbranch_vccnz .LBB7_2
; %bb.1:
	s_load_b32 s4, s[4:5], 0x0
	s_waitcnt lgkmcnt(0)
	v_mov_b32_e32 v12, s4
	s_branch .LBB7_3
.LBB7_2:
	v_cndmask_b32_e64 v12, 0, s4, s13
.LBB7_3:
	s_clause 0x4
	s_load_b128 s[28:31], s[0:1], 0x80
	s_load_b256 s[4:11], s[0:1], 0x60
	s_load_b128 s[36:39], s[0:1], 0x48
	s_load_b128 s[40:43], s[0:1], 0x10
	s_load_b256 s[16:23], s[0:1], 0x28
	s_bitcmp1_b32 s12, 8
	s_cselect_b32 s12, -1, 0
	s_delay_alu instid0(SALU_CYCLE_1) | instskip(NEXT) | instid1(SALU_CYCLE_1)
	s_xor_b32 s33, s12, -1
	s_or_b32 s14, s33, s14
	s_delay_alu instid0(SALU_CYCLE_1)
	s_and_b32 vcc_lo, exec_lo, s14
	s_cbranch_vccnz .LBB7_5
; %bb.4:
	s_load_b32 s2, s[2:3], 0x0
	s_waitcnt lgkmcnt(0)
	v_mov_b32_e32 v9, s2
	s_branch .LBB7_6
.LBB7_5:
	v_cndmask_b32_e64 v9, 0, s2, s12
.LBB7_6:
	s_load_b128 s[0:3], s[0:1], 0x0
	v_lshrrev_b32_e32 v2, 4, v0
	v_and_b32_e32 v8, 15, v0
	s_waitcnt lgkmcnt(0)
	s_mov_b32 s3, 0
	s_delay_alu instid0(VALU_DEP_2) | instskip(NEXT) | instid1(VALU_DEP_2)
	v_lshlrev_b32_e32 v3, 7, v2
	v_lshlrev_b32_e32 v0, 2, v8
	v_mov_b32_e32 v4, s2
	s_delay_alu instid0(VALU_DEP_2) | instskip(NEXT) | instid1(VALU_DEP_1)
	v_or3_b32 v5, v3, v0, 0x2000
	v_mov_b32_e32 v1, v5
	v_or_b32_e32 v6, -16, v8
	s_delay_alu instid0(VALU_DEP_1)
	v_mov_b32_e32 v7, v6
.LBB7_7:                                ; =>This Inner Loop Header: Depth=1
	s_delay_alu instid0(VALU_DEP_1) | instskip(NEXT) | instid1(VALU_DEP_1)
	v_add_co_u32 v7, s14, v7, 16
	s_xor_b32 s14, s14, -1
	ds_store_b32 v1, v4
	v_add_nc_u32_e32 v1, 64, v1
	s_and_b32 s14, exec_lo, s14
	s_delay_alu instid0(SALU_CYCLE_1) | instskip(NEXT) | instid1(SALU_CYCLE_1)
	s_or_b32 s3, s14, s3
	s_and_not1_b32 exec_lo, exec_lo, s3
	s_cbranch_execnz .LBB7_7
; %bb.8:
	s_or_b32 exec_lo, exec_lo, s3
	v_dual_mov_b32 v1, 0 :: v_dual_lshlrev_b32 v10, 9, v2
	v_mov_b32_e32 v4, v6
	s_mov_b32 s3, 0
	s_delay_alu instid0(VALU_DEP_2)
	v_or_b32_e32 v0, v10, v0
.LBB7_9:                                ; =>This Inner Loop Header: Depth=1
	s_delay_alu instid0(VALU_DEP_2) | instskip(SKIP_4) | instid1(SALU_CYCLE_1)
	v_add_nc_u32_e32 v4, 16, v4
	ds_store_b32 v0, v1
	v_add_nc_u32_e32 v0, 64, v0
	v_cmp_lt_u32_e32 vcc_lo, 0x6f, v4
	s_or_b32 s3, vcc_lo, s3
	s_and_not1_b32 exec_lo, exec_lo, s3
	s_cbranch_execnz .LBB7_9
; %bb.10:
	s_or_b32 exec_lo, exec_lo, s3
	v_lshl_or_b32 v0, s15, 4, v2
	s_waitcnt lgkmcnt(0)
	s_barrier
	buffer_gl0_inv
	v_cmp_gt_i32_e32 vcc_lo, s1, v0
	s_and_saveexec_b32 s1, vcc_lo
	s_cbranch_execz .LBB7_126
; %bb.11:
	s_cmp_eq_u64 s[42:43], 0
	s_cbranch_scc1 .LBB7_13
; %bb.12:
	s_load_b32 s1, s[40:41], 0x0
	s_waitcnt lgkmcnt(0)
	v_add_nc_u32_e32 v0, s1, v0
	s_delay_alu instid0(VALU_DEP_1) | instskip(NEXT) | instid1(VALU_DEP_1)
	v_ashrrev_i32_e32 v1, 31, v0
	v_lshlrev_b64 v[0:1], 2, v[0:1]
	s_delay_alu instid0(VALU_DEP_1) | instskip(NEXT) | instid1(VALU_DEP_2)
	v_add_co_u32 v0, vcc_lo, s42, v0
	v_add_co_ci_u32_e32 v1, vcc_lo, s43, v1, vcc_lo
	global_load_b32 v0, v[0:1], off
.LBB7_13:
	s_waitcnt vmcnt(0)
	v_ashrrev_i32_e32 v1, 31, v0
	v_lshlrev_b32_e32 v11, 2, v3
	v_lshl_or_b32 v7, v2, 7, 0x2000
	s_and_not1_b32 vcc_lo, exec_lo, s13
	s_delay_alu instid0(VALU_DEP_3)
	v_lshlrev_b64 v[0:1], 2, v[0:1]
	s_cbranch_vccnz .LBB7_69
; %bb.14:
	s_delay_alu instid0(VALU_DEP_1) | instskip(NEXT) | instid1(VALU_DEP_2)
	v_add_co_u32 v2, vcc_lo, s16, v0
	v_add_co_ci_u32_e32 v3, vcc_lo, s17, v1, vcc_lo
	v_subrev_nc_u32_e32 v4, s24, v8
	s_mov_b32 s1, exec_lo
	global_load_b64 v[2:3], v[2:3], off
	s_waitcnt vmcnt(0)
	v_subrev_nc_u32_e32 v13, s24, v3
	v_add_nc_u32_e32 v2, v2, v4
	s_delay_alu instid0(VALU_DEP_1)
	v_cmpx_lt_i32_e64 v2, v13
	s_cbranch_execz .LBB7_68
; %bb.15:
	v_add_nc_u32_e32 v14, 4, v11
	v_add_nc_u32_e32 v15, 8, v11
	;; [unrolled: 1-line block ×3, first 2 shown]
	s_cmp_eq_u32 s0, 0
	s_mov_b32 s3, 0
	s_cselect_b32 s13, 1, 2
	s_cselect_b32 s14, 2, 1
	s_branch .LBB7_17
.LBB7_16:                               ;   in Loop: Header=BB7_17 Depth=1
	s_or_b32 exec_lo, exec_lo, s15
	v_add_nc_u32_e32 v2, 16, v2
	s_delay_alu instid0(VALU_DEP_1) | instskip(SKIP_1) | instid1(SALU_CYCLE_1)
	v_cmp_ge_i32_e32 vcc_lo, v2, v13
	s_or_b32 s3, vcc_lo, s3
	s_and_not1_b32 exec_lo, exec_lo, s3
	s_cbranch_execz .LBB7_68
.LBB7_17:                               ; =>This Loop Header: Depth=1
                                        ;     Child Loop BB7_20 Depth 2
                                        ;       Child Loop BB7_22 Depth 3
                                        ;       Child Loop BB7_34 Depth 3
	;; [unrolled: 1-line block ×4, first 2 shown]
	v_ashrrev_i32_e32 v3, 31, v2
	s_mov_b32 s15, exec_lo
	s_delay_alu instid0(VALU_DEP_1) | instskip(NEXT) | instid1(VALU_DEP_1)
	v_lshlrev_b64 v[3:4], 2, v[2:3]
	v_add_co_u32 v3, vcc_lo, s18, v3
	s_delay_alu instid0(VALU_DEP_2) | instskip(SKIP_3) | instid1(VALU_DEP_1)
	v_add_co_ci_u32_e32 v4, vcc_lo, s19, v4, vcc_lo
	global_load_b32 v3, v[3:4], off
	s_waitcnt vmcnt(0)
	v_subrev_nc_u32_e32 v3, s24, v3
	v_ashrrev_i32_e32 v4, 31, v3
	s_delay_alu instid0(VALU_DEP_1) | instskip(NEXT) | instid1(VALU_DEP_1)
	v_lshlrev_b64 v[3:4], 2, v[3:4]
	v_add_co_u32 v3, vcc_lo, s22, v3
	s_delay_alu instid0(VALU_DEP_2)
	v_add_co_ci_u32_e32 v4, vcc_lo, s23, v4, vcc_lo
	global_load_b64 v[3:4], v[3:4], off
	s_waitcnt vmcnt(0)
	v_cmpx_lt_i32_e64 v3, v4
	s_cbranch_execz .LBB7_16
; %bb.18:                               ;   in Loop: Header=BB7_17 Depth=1
	v_lshlrev_b32_e32 v17, 2, v2
	v_subrev_nc_u32_e32 v3, s25, v3
	s_mov_b32 s16, 0
	s_delay_alu instid0(VALU_DEP_2) | instskip(SKIP_2) | instid1(VALU_DEP_3)
	v_or_b32_e32 v19, s14, v17
	v_ashrrev_i32_e32 v18, 31, v17
	v_or_b32_e32 v21, s13, v17
	v_ashrrev_i32_e32 v20, 31, v19
	s_delay_alu instid0(VALU_DEP_3) | instskip(NEXT) | instid1(VALU_DEP_3)
	v_lshlrev_b64 v[17:18], 2, v[17:18]
	v_ashrrev_i32_e32 v22, 31, v21
	s_delay_alu instid0(VALU_DEP_3) | instskip(NEXT) | instid1(VALU_DEP_2)
	v_lshlrev_b64 v[19:20], 2, v[19:20]
	v_lshlrev_b64 v[21:22], 2, v[21:22]
	s_delay_alu instid0(VALU_DEP_4) | instskip(SKIP_1) | instid1(VALU_DEP_4)
	v_add_co_u32 v17, vcc_lo, s20, v17
	v_add_co_ci_u32_e32 v18, vcc_lo, s21, v18, vcc_lo
	v_add_co_u32 v19, vcc_lo, s20, v19
	v_add_co_ci_u32_e32 v20, vcc_lo, s21, v20, vcc_lo
	;; [unrolled: 2-line block ×3, first 2 shown]
	s_clause 0x3
	global_load_b32 v23, v[17:18], off offset:12
	global_load_b32 v19, v[19:20], off
	global_load_b32 v21, v[21:22], off
	;; [unrolled: 1-line block ×3, first 2 shown]
	v_subrev_nc_u32_e32 v17, s25, v4
	s_waitcnt vmcnt(3)
	v_mul_f32_e32 v18, v12, v23
	s_waitcnt vmcnt(2)
	v_mul_f32_e32 v19, v12, v19
	;; [unrolled: 2-line block ×4, first 2 shown]
	s_branch .LBB7_20
.LBB7_19:                               ;   in Loop: Header=BB7_20 Depth=2
	s_or_b32 exec_lo, exec_lo, s17
	v_add_nc_u32_e32 v3, 1, v3
	s_delay_alu instid0(VALU_DEP_1) | instskip(SKIP_1) | instid1(SALU_CYCLE_1)
	v_cmp_ge_i32_e32 vcc_lo, v3, v17
	s_or_b32 s16, vcc_lo, s16
	s_and_not1_b32 exec_lo, exec_lo, s16
	s_cbranch_execz .LBB7_16
.LBB7_20:                               ;   Parent Loop BB7_17 Depth=1
                                        ; =>  This Loop Header: Depth=2
                                        ;       Child Loop BB7_22 Depth 3
                                        ;       Child Loop BB7_34 Depth 3
	;; [unrolled: 1-line block ×4, first 2 shown]
	v_lshlrev_b32_e32 v22, 2, v3
	v_ashrrev_i32_e32 v4, 31, v3
	s_mov_b32 s17, 0
	s_delay_alu instid0(VALU_DEP_2) | instskip(NEXT) | instid1(VALU_DEP_2)
	v_or_b32_e32 v26, s14, v22
	v_lshlrev_b64 v[28:29], 2, v[3:4]
	v_or_b32_e32 v24, s13, v22
	v_ashrrev_i32_e32 v23, 31, v22
	s_delay_alu instid0(VALU_DEP_4) | instskip(NEXT) | instid1(VALU_DEP_4)
	v_ashrrev_i32_e32 v27, 31, v26
	v_add_co_u32 v28, vcc_lo, s36, v28
	v_add_co_ci_u32_e32 v29, vcc_lo, s37, v29, vcc_lo
	s_delay_alu instid0(VALU_DEP_3)
	v_lshlrev_b64 v[26:27], 2, v[26:27]
	v_ashrrev_i32_e32 v25, 31, v24
	v_lshlrev_b64 v[22:23], 2, v[22:23]
	global_load_b32 v4, v[28:29], off
	v_lshlrev_b64 v[30:31], 2, v[24:25]
	v_add_co_u32 v24, vcc_lo, s38, v26
	v_add_co_ci_u32_e32 v25, vcc_lo, s39, v27, vcc_lo
	v_add_co_u32 v27, vcc_lo, s38, v22
	v_add_co_ci_u32_e32 v28, vcc_lo, s39, v23, vcc_lo
	global_load_b32 v25, v[24:25], off
	v_add_co_u32 v22, vcc_lo, s38, v30
	v_add_co_ci_u32_e32 v23, vcc_lo, s39, v31, vcc_lo
	s_clause 0x2
	global_load_b32 v26, v[27:28], off
	global_load_b32 v23, v[22:23], off
	global_load_b32 v24, v[27:28], off offset:12
	s_waitcnt vmcnt(4)
	v_subrev_nc_u32_e32 v4, s25, v4
	s_delay_alu instid0(VALU_DEP_1) | instskip(SKIP_1) | instid1(VALU_DEP_1)
	v_lshl_add_u32 v22, v4, 3, v4
	s_waitcnt vmcnt(3)
	v_dual_mul_f32 v27, v21, v25 :: v_dual_and_b32 v22, 31, v22
	s_waitcnt vmcnt(2)
	s_delay_alu instid0(VALU_DEP_1)
	v_dual_mov_b32 v28, v22 :: v_dual_fmac_f32 v27, v20, v26
	s_branch .LBB7_22
.LBB7_21:                               ;   in Loop: Header=BB7_22 Depth=3
	s_or_b32 exec_lo, exec_lo, s33
	s_xor_b32 s33, s34, -1
	s_delay_alu instid0(SALU_CYCLE_1) | instskip(NEXT) | instid1(SALU_CYCLE_1)
	s_and_b32 s33, exec_lo, s33
	s_or_b32 s17, s33, s17
	s_delay_alu instid0(SALU_CYCLE_1)
	s_and_not1_b32 exec_lo, exec_lo, s17
	s_cbranch_execz .LBB7_32
.LBB7_22:                               ;   Parent Loop BB7_17 Depth=1
                                        ;     Parent Loop BB7_20 Depth=2
                                        ; =>    This Inner Loop Header: Depth=3
	s_delay_alu instid0(VALU_DEP_1)
	v_lshl_add_u32 v29, v28, 2, v7
	s_mov_b32 s33, exec_lo
                                        ; implicit-def: $sgpr34
	ds_load_b32 v30, v29
	s_waitcnt lgkmcnt(0)
	v_cmpx_ne_u32_e64 v30, v4
	s_xor_b32 s33, exec_lo, s33
	s_cbranch_execz .LBB7_30
; %bb.23:                               ;   in Loop: Header=BB7_22 Depth=3
	s_mov_b32 s35, exec_lo
                                        ; implicit-def: $sgpr34
	v_cmpx_ne_u32_e64 s2, v30
	s_xor_b32 s35, exec_lo, s35
; %bb.24:                               ;   in Loop: Header=BB7_22 Depth=3
	v_add_nc_u32_e32 v28, 1, v28
	s_mov_b32 s34, -1
                                        ; implicit-def: $vgpr29
	s_delay_alu instid0(VALU_DEP_1)
	v_and_b32_e32 v28, 31, v28
; %bb.25:                               ;   in Loop: Header=BB7_22 Depth=3
	s_and_not1_saveexec_b32 s35, s35
	s_cbranch_execz .LBB7_29
; %bb.26:                               ;   in Loop: Header=BB7_22 Depth=3
	v_mov_b32_e32 v30, s2
	s_mov_b32 s40, -1
	s_mov_b32 s41, exec_lo
	ds_cmpstore_rtn_b32 v29, v29, v4, v30
	s_waitcnt lgkmcnt(0)
	v_cmpx_eq_u32_e64 s2, v29
	s_cbranch_execz .LBB7_28
; %bb.27:                               ;   in Loop: Header=BB7_22 Depth=3
	v_lshl_add_u32 v29, v28, 4, v11
	s_xor_b32 s40, exec_lo, -1
	ds_add_f32 v29, v27
.LBB7_28:                               ;   in Loop: Header=BB7_22 Depth=3
	s_or_b32 exec_lo, exec_lo, s41
	s_delay_alu instid0(SALU_CYCLE_1) | instskip(SKIP_1) | instid1(SALU_CYCLE_1)
	s_and_not1_b32 s34, s34, exec_lo
	s_and_b32 s40, s40, exec_lo
	s_or_b32 s34, s34, s40
.LBB7_29:                               ;   in Loop: Header=BB7_22 Depth=3
	s_or_b32 exec_lo, exec_lo, s35
	s_delay_alu instid0(SALU_CYCLE_1)
	s_and_b32 s34, s34, exec_lo
.LBB7_30:                               ;   in Loop: Header=BB7_22 Depth=3
	s_and_not1_saveexec_b32 s33, s33
	s_cbranch_execz .LBB7_21
; %bb.31:                               ;   in Loop: Header=BB7_22 Depth=3
	v_lshl_add_u32 v29, v28, 4, v11
	s_and_not1_b32 s34, s34, exec_lo
	ds_add_f32 v29, v27
	s_branch .LBB7_21
.LBB7_32:                               ;   in Loop: Header=BB7_20 Depth=2
	s_or_b32 exec_lo, exec_lo, s17
	s_waitcnt vmcnt(0)
	v_dual_mul_f32 v27, v21, v24 :: v_dual_mov_b32 v28, v22
	s_mov_b32 s17, 0
	s_delay_alu instid0(VALU_DEP_1)
	v_fmac_f32_e32 v27, v20, v23
	s_branch .LBB7_34
.LBB7_33:                               ;   in Loop: Header=BB7_34 Depth=3
	s_or_b32 exec_lo, exec_lo, s33
	s_xor_b32 s33, s34, -1
	s_delay_alu instid0(SALU_CYCLE_1) | instskip(NEXT) | instid1(SALU_CYCLE_1)
	s_and_b32 s33, exec_lo, s33
	s_or_b32 s17, s33, s17
	s_delay_alu instid0(SALU_CYCLE_1)
	s_and_not1_b32 exec_lo, exec_lo, s17
	s_cbranch_execz .LBB7_44
.LBB7_34:                               ;   Parent Loop BB7_17 Depth=1
                                        ;     Parent Loop BB7_20 Depth=2
                                        ; =>    This Inner Loop Header: Depth=3
	s_delay_alu instid0(VALU_DEP_2)
	v_lshl_add_u32 v29, v28, 2, v7
	s_mov_b32 s33, exec_lo
                                        ; implicit-def: $sgpr34
	ds_load_b32 v30, v29
	s_waitcnt lgkmcnt(0)
	v_cmpx_ne_u32_e64 v30, v4
	s_xor_b32 s33, exec_lo, s33
	s_cbranch_execz .LBB7_42
; %bb.35:                               ;   in Loop: Header=BB7_34 Depth=3
	s_mov_b32 s35, exec_lo
                                        ; implicit-def: $sgpr34
	v_cmpx_ne_u32_e64 s2, v30
	s_xor_b32 s35, exec_lo, s35
; %bb.36:                               ;   in Loop: Header=BB7_34 Depth=3
	v_add_nc_u32_e32 v28, 1, v28
	s_mov_b32 s34, -1
                                        ; implicit-def: $vgpr29
	s_delay_alu instid0(VALU_DEP_1)
	v_and_b32_e32 v28, 31, v28
; %bb.37:                               ;   in Loop: Header=BB7_34 Depth=3
	s_and_not1_saveexec_b32 s35, s35
	s_cbranch_execz .LBB7_41
; %bb.38:                               ;   in Loop: Header=BB7_34 Depth=3
	v_mov_b32_e32 v30, s2
	s_mov_b32 s40, -1
	s_mov_b32 s41, exec_lo
	ds_cmpstore_rtn_b32 v29, v29, v4, v30
	s_waitcnt lgkmcnt(0)
	v_cmpx_eq_u32_e64 s2, v29
	s_cbranch_execz .LBB7_40
; %bb.39:                               ;   in Loop: Header=BB7_34 Depth=3
	v_lshl_add_u32 v29, v28, 4, v14
	s_xor_b32 s40, exec_lo, -1
	ds_add_f32 v29, v27
.LBB7_40:                               ;   in Loop: Header=BB7_34 Depth=3
	s_or_b32 exec_lo, exec_lo, s41
	s_delay_alu instid0(SALU_CYCLE_1) | instskip(SKIP_1) | instid1(SALU_CYCLE_1)
	s_and_not1_b32 s34, s34, exec_lo
	s_and_b32 s40, s40, exec_lo
	s_or_b32 s34, s34, s40
.LBB7_41:                               ;   in Loop: Header=BB7_34 Depth=3
	s_or_b32 exec_lo, exec_lo, s35
	s_delay_alu instid0(SALU_CYCLE_1)
	s_and_b32 s34, s34, exec_lo
.LBB7_42:                               ;   in Loop: Header=BB7_34 Depth=3
	s_and_not1_saveexec_b32 s33, s33
	s_cbranch_execz .LBB7_33
; %bb.43:                               ;   in Loop: Header=BB7_34 Depth=3
	v_lshl_add_u32 v29, v28, 4, v14
	s_and_not1_b32 s34, s34, exec_lo
	ds_add_f32 v29, v27
	s_branch .LBB7_33
.LBB7_44:                               ;   in Loop: Header=BB7_20 Depth=2
	s_or_b32 exec_lo, exec_lo, s17
	v_mul_f32_e32 v25, v18, v25
	s_mov_b32 s17, 0
	s_delay_alu instid0(VALU_DEP_1)
	v_dual_fmac_f32 v25, v19, v26 :: v_dual_mov_b32 v26, v22
	s_branch .LBB7_46
.LBB7_45:                               ;   in Loop: Header=BB7_46 Depth=3
	s_or_b32 exec_lo, exec_lo, s33
	s_xor_b32 s33, s34, -1
	s_delay_alu instid0(SALU_CYCLE_1) | instskip(NEXT) | instid1(SALU_CYCLE_1)
	s_and_b32 s33, exec_lo, s33
	s_or_b32 s17, s33, s17
	s_delay_alu instid0(SALU_CYCLE_1)
	s_and_not1_b32 exec_lo, exec_lo, s17
	s_cbranch_execz .LBB7_56
.LBB7_46:                               ;   Parent Loop BB7_17 Depth=1
                                        ;     Parent Loop BB7_20 Depth=2
                                        ; =>    This Inner Loop Header: Depth=3
	s_delay_alu instid0(VALU_DEP_1)
	v_lshl_add_u32 v27, v26, 2, v7
	s_mov_b32 s33, exec_lo
                                        ; implicit-def: $sgpr34
	ds_load_b32 v28, v27
	s_waitcnt lgkmcnt(0)
	v_cmpx_ne_u32_e64 v28, v4
	s_xor_b32 s33, exec_lo, s33
	s_cbranch_execz .LBB7_54
; %bb.47:                               ;   in Loop: Header=BB7_46 Depth=3
	s_mov_b32 s35, exec_lo
                                        ; implicit-def: $sgpr34
	v_cmpx_ne_u32_e64 s2, v28
	s_xor_b32 s35, exec_lo, s35
; %bb.48:                               ;   in Loop: Header=BB7_46 Depth=3
	v_add_nc_u32_e32 v26, 1, v26
	s_mov_b32 s34, -1
                                        ; implicit-def: $vgpr27
	s_delay_alu instid0(VALU_DEP_1)
	v_and_b32_e32 v26, 31, v26
; %bb.49:                               ;   in Loop: Header=BB7_46 Depth=3
	s_and_not1_saveexec_b32 s35, s35
	s_cbranch_execz .LBB7_53
; %bb.50:                               ;   in Loop: Header=BB7_46 Depth=3
	v_mov_b32_e32 v28, s2
	s_mov_b32 s40, -1
	s_mov_b32 s41, exec_lo
	ds_cmpstore_rtn_b32 v27, v27, v4, v28
	s_waitcnt lgkmcnt(0)
	v_cmpx_eq_u32_e64 s2, v27
	s_cbranch_execz .LBB7_52
; %bb.51:                               ;   in Loop: Header=BB7_46 Depth=3
	v_lshl_add_u32 v27, v26, 4, v15
	s_xor_b32 s40, exec_lo, -1
	ds_add_f32 v27, v25
.LBB7_52:                               ;   in Loop: Header=BB7_46 Depth=3
	s_or_b32 exec_lo, exec_lo, s41
	s_delay_alu instid0(SALU_CYCLE_1) | instskip(SKIP_1) | instid1(SALU_CYCLE_1)
	s_and_not1_b32 s34, s34, exec_lo
	s_and_b32 s40, s40, exec_lo
	s_or_b32 s34, s34, s40
.LBB7_53:                               ;   in Loop: Header=BB7_46 Depth=3
	s_or_b32 exec_lo, exec_lo, s35
	s_delay_alu instid0(SALU_CYCLE_1)
	s_and_b32 s34, s34, exec_lo
.LBB7_54:                               ;   in Loop: Header=BB7_46 Depth=3
	s_and_not1_saveexec_b32 s33, s33
	s_cbranch_execz .LBB7_45
; %bb.55:                               ;   in Loop: Header=BB7_46 Depth=3
	v_lshl_add_u32 v27, v26, 4, v15
	s_and_not1_b32 s34, s34, exec_lo
	ds_add_f32 v27, v25
	s_branch .LBB7_45
.LBB7_56:                               ;   in Loop: Header=BB7_20 Depth=2
	s_or_b32 exec_lo, exec_lo, s17
	v_mul_f32_e32 v24, v18, v24
	s_mov_b32 s17, 0
	s_delay_alu instid0(VALU_DEP_1)
	v_fmac_f32_e32 v24, v19, v23
	s_branch .LBB7_58
.LBB7_57:                               ;   in Loop: Header=BB7_58 Depth=3
	s_or_b32 exec_lo, exec_lo, s33
	s_xor_b32 s33, s34, -1
	s_delay_alu instid0(SALU_CYCLE_1) | instskip(NEXT) | instid1(SALU_CYCLE_1)
	s_and_b32 s33, exec_lo, s33
	s_or_b32 s17, s33, s17
	s_delay_alu instid0(SALU_CYCLE_1)
	s_and_not1_b32 exec_lo, exec_lo, s17
	s_cbranch_execz .LBB7_19
.LBB7_58:                               ;   Parent Loop BB7_17 Depth=1
                                        ;     Parent Loop BB7_20 Depth=2
                                        ; =>    This Inner Loop Header: Depth=3
	v_lshl_add_u32 v23, v22, 2, v7
	s_mov_b32 s33, exec_lo
                                        ; implicit-def: $sgpr34
	ds_load_b32 v25, v23
	s_waitcnt lgkmcnt(0)
	v_cmpx_ne_u32_e64 v25, v4
	s_xor_b32 s33, exec_lo, s33
	s_cbranch_execz .LBB7_66
; %bb.59:                               ;   in Loop: Header=BB7_58 Depth=3
	s_mov_b32 s35, exec_lo
                                        ; implicit-def: $sgpr34
	v_cmpx_ne_u32_e64 s2, v25
	s_xor_b32 s35, exec_lo, s35
; %bb.60:                               ;   in Loop: Header=BB7_58 Depth=3
	v_add_nc_u32_e32 v22, 1, v22
	s_mov_b32 s34, -1
                                        ; implicit-def: $vgpr23
	s_delay_alu instid0(VALU_DEP_1)
	v_and_b32_e32 v22, 31, v22
; %bb.61:                               ;   in Loop: Header=BB7_58 Depth=3
	s_and_not1_saveexec_b32 s35, s35
	s_cbranch_execz .LBB7_65
; %bb.62:                               ;   in Loop: Header=BB7_58 Depth=3
	v_mov_b32_e32 v25, s2
	s_mov_b32 s40, -1
	s_mov_b32 s41, exec_lo
	ds_cmpstore_rtn_b32 v23, v23, v4, v25
	s_waitcnt lgkmcnt(0)
	v_cmpx_eq_u32_e64 s2, v23
	s_cbranch_execz .LBB7_64
; %bb.63:                               ;   in Loop: Header=BB7_58 Depth=3
	v_lshl_add_u32 v23, v22, 4, v16
	s_xor_b32 s40, exec_lo, -1
	ds_add_f32 v23, v24
.LBB7_64:                               ;   in Loop: Header=BB7_58 Depth=3
	s_or_b32 exec_lo, exec_lo, s41
	s_delay_alu instid0(SALU_CYCLE_1) | instskip(SKIP_1) | instid1(SALU_CYCLE_1)
	s_and_not1_b32 s34, s34, exec_lo
	s_and_b32 s40, s40, exec_lo
	s_or_b32 s34, s34, s40
.LBB7_65:                               ;   in Loop: Header=BB7_58 Depth=3
	s_or_b32 exec_lo, exec_lo, s35
	s_delay_alu instid0(SALU_CYCLE_1)
	s_and_b32 s34, s34, exec_lo
.LBB7_66:                               ;   in Loop: Header=BB7_58 Depth=3
	s_and_not1_saveexec_b32 s33, s33
	s_cbranch_execz .LBB7_57
; %bb.67:                               ;   in Loop: Header=BB7_58 Depth=3
	v_lshl_add_u32 v23, v22, 4, v16
	s_and_not1_b32 s34, s34, exec_lo
	ds_add_f32 v23, v24
	s_branch .LBB7_57
.LBB7_68:
	s_or_b32 exec_lo, exec_lo, s1
.LBB7_69:
	s_delay_alu instid0(SALU_CYCLE_1)
	s_and_not1_b32 vcc_lo, exec_lo, s12
	s_waitcnt lgkmcnt(0)
	buffer_gl0_inv
	s_cbranch_vccnz .LBB7_122
; %bb.70:
	v_add_co_u32 v2, vcc_lo, s4, v0
	v_add_co_ci_u32_e32 v3, vcc_lo, s5, v1, vcc_lo
	v_subrev_nc_u32_e32 v12, s27, v8
	s_mov_b32 s1, exec_lo
	global_load_b64 v[2:3], v[2:3], off
	s_waitcnt vmcnt(0)
	v_subrev_nc_u32_e32 v4, s27, v3
	v_add_nc_u32_e32 v2, v2, v12
	s_delay_alu instid0(VALU_DEP_1)
	v_cmpx_lt_i32_e64 v2, v4
	s_cbranch_execz .LBB7_121
; %bb.71:
	v_add_nc_u32_e32 v12, 4, v11
	v_add_nc_u32_e32 v13, 8, v11
	;; [unrolled: 1-line block ×3, first 2 shown]
	s_cmp_eq_u32 s0, 0
	s_mov_b32 s3, 0
	s_cselect_b32 s4, 1, 2
	s_cselect_b32 s5, 2, 1
	s_branch .LBB7_73
.LBB7_72:                               ;   in Loop: Header=BB7_73 Depth=1
	s_or_b32 exec_lo, exec_lo, s12
	v_add_nc_u32_e32 v2, 16, v2
	s_delay_alu instid0(VALU_DEP_1) | instskip(SKIP_1) | instid1(SALU_CYCLE_1)
	v_cmp_ge_i32_e32 vcc_lo, v2, v4
	s_or_b32 s3, vcc_lo, s3
	s_and_not1_b32 exec_lo, exec_lo, s3
	s_cbranch_execz .LBB7_121
.LBB7_73:                               ; =>This Loop Header: Depth=1
                                        ;     Child Loop BB7_75 Depth 2
                                        ;     Child Loop BB7_87 Depth 2
	;; [unrolled: 1-line block ×4, first 2 shown]
	v_ashrrev_i32_e32 v3, 31, v2
	v_lshlrev_b32_e32 v15, 2, v2
	s_mov_b32 s12, 0
	s_delay_alu instid0(VALU_DEP_2) | instskip(NEXT) | instid1(VALU_DEP_2)
	v_lshlrev_b64 v[19:20], 2, v[2:3]
	v_or_b32_e32 v17, s5, v15
	v_ashrrev_i32_e32 v16, 31, v15
	v_or_b32_e32 v21, s4, v15
	s_delay_alu instid0(VALU_DEP_3)
	v_ashrrev_i32_e32 v18, 31, v17
	v_add_co_u32 v19, vcc_lo, s6, v19
	v_add_co_ci_u32_e32 v20, vcc_lo, s7, v20, vcc_lo
	v_lshlrev_b64 v[15:16], 2, v[15:16]
	v_ashrrev_i32_e32 v22, 31, v21
	v_lshlrev_b64 v[17:18], 2, v[17:18]
	global_load_b32 v3, v[19:20], off
	v_add_co_u32 v15, vcc_lo, s8, v15
	v_lshlrev_b64 v[19:20], 2, v[21:22]
	v_add_co_ci_u32_e32 v16, vcc_lo, s9, v16, vcc_lo
	v_add_co_u32 v17, vcc_lo, s8, v17
	v_add_co_ci_u32_e32 v18, vcc_lo, s9, v18, vcc_lo
	s_delay_alu instid0(VALU_DEP_4)
	v_add_co_u32 v19, vcc_lo, s8, v19
	global_load_b32 v23, v[15:16], off
	v_add_co_ci_u32_e32 v20, vcc_lo, s9, v20, vcc_lo
	s_clause 0x2
	global_load_b32 v17, v[17:18], off
	global_load_b32 v18, v[19:20], off
	global_load_b32 v16, v[15:16], off offset:12
	s_waitcnt vmcnt(4)
	v_subrev_nc_u32_e32 v3, s27, v3
	s_delay_alu instid0(VALU_DEP_1) | instskip(NEXT) | instid1(VALU_DEP_1)
	v_lshl_add_u32 v15, v3, 3, v3
	v_and_b32_e32 v15, 31, v15
	s_waitcnt vmcnt(3)
	s_delay_alu instid0(VALU_DEP_1)
	v_dual_mul_f32 v19, v9, v23 :: v_dual_mov_b32 v20, v15
	s_branch .LBB7_75
.LBB7_74:                               ;   in Loop: Header=BB7_75 Depth=2
	s_or_b32 exec_lo, exec_lo, s13
	s_xor_b32 s13, s14, -1
	s_delay_alu instid0(SALU_CYCLE_1) | instskip(NEXT) | instid1(SALU_CYCLE_1)
	s_and_b32 s13, exec_lo, s13
	s_or_b32 s12, s13, s12
	s_delay_alu instid0(SALU_CYCLE_1)
	s_and_not1_b32 exec_lo, exec_lo, s12
	s_cbranch_execz .LBB7_85
.LBB7_75:                               ;   Parent Loop BB7_73 Depth=1
                                        ; =>  This Inner Loop Header: Depth=2
	s_delay_alu instid0(VALU_DEP_1)
	v_lshl_add_u32 v21, v20, 2, v7
	s_mov_b32 s13, exec_lo
                                        ; implicit-def: $sgpr14
	ds_load_b32 v22, v21
	s_waitcnt lgkmcnt(0)
	v_cmpx_ne_u32_e64 v22, v3
	s_xor_b32 s13, exec_lo, s13
	s_cbranch_execz .LBB7_83
; %bb.76:                               ;   in Loop: Header=BB7_75 Depth=2
	s_mov_b32 s15, exec_lo
                                        ; implicit-def: $sgpr14
	v_cmpx_ne_u32_e64 s2, v22
	s_xor_b32 s15, exec_lo, s15
; %bb.77:                               ;   in Loop: Header=BB7_75 Depth=2
	v_add_nc_u32_e32 v20, 1, v20
	s_mov_b32 s14, -1
                                        ; implicit-def: $vgpr21
	s_delay_alu instid0(VALU_DEP_1)
	v_and_b32_e32 v20, 31, v20
; %bb.78:                               ;   in Loop: Header=BB7_75 Depth=2
	s_and_not1_saveexec_b32 s15, s15
	s_cbranch_execz .LBB7_82
; %bb.79:                               ;   in Loop: Header=BB7_75 Depth=2
	v_mov_b32_e32 v22, s2
	s_mov_b32 s16, -1
	s_mov_b32 s17, exec_lo
	ds_cmpstore_rtn_b32 v21, v21, v3, v22
	s_waitcnt lgkmcnt(0)
	v_cmpx_eq_u32_e64 s2, v21
	s_cbranch_execz .LBB7_81
; %bb.80:                               ;   in Loop: Header=BB7_75 Depth=2
	v_lshl_add_u32 v21, v20, 4, v11
	s_xor_b32 s16, exec_lo, -1
	ds_add_f32 v21, v19
.LBB7_81:                               ;   in Loop: Header=BB7_75 Depth=2
	s_or_b32 exec_lo, exec_lo, s17
	s_delay_alu instid0(SALU_CYCLE_1) | instskip(SKIP_1) | instid1(SALU_CYCLE_1)
	s_and_not1_b32 s14, s14, exec_lo
	s_and_b32 s16, s16, exec_lo
	s_or_b32 s14, s14, s16
.LBB7_82:                               ;   in Loop: Header=BB7_75 Depth=2
	s_or_b32 exec_lo, exec_lo, s15
	s_delay_alu instid0(SALU_CYCLE_1)
	s_and_b32 s14, s14, exec_lo
.LBB7_83:                               ;   in Loop: Header=BB7_75 Depth=2
	s_and_not1_saveexec_b32 s13, s13
	s_cbranch_execz .LBB7_74
; %bb.84:                               ;   in Loop: Header=BB7_75 Depth=2
	v_lshl_add_u32 v21, v20, 4, v11
	s_and_not1_b32 s14, s14, exec_lo
	ds_add_f32 v21, v19
	s_branch .LBB7_74
.LBB7_85:                               ;   in Loop: Header=BB7_73 Depth=1
	s_or_b32 exec_lo, exec_lo, s12
	s_waitcnt vmcnt(1)
	v_dual_mul_f32 v18, v9, v18 :: v_dual_mov_b32 v19, v15
	s_mov_b32 s12, 0
	s_branch .LBB7_87
.LBB7_86:                               ;   in Loop: Header=BB7_87 Depth=2
	s_or_b32 exec_lo, exec_lo, s13
	s_xor_b32 s13, s14, -1
	s_delay_alu instid0(SALU_CYCLE_1) | instskip(NEXT) | instid1(SALU_CYCLE_1)
	s_and_b32 s13, exec_lo, s13
	s_or_b32 s12, s13, s12
	s_delay_alu instid0(SALU_CYCLE_1)
	s_and_not1_b32 exec_lo, exec_lo, s12
	s_cbranch_execz .LBB7_97
.LBB7_87:                               ;   Parent Loop BB7_73 Depth=1
                                        ; =>  This Inner Loop Header: Depth=2
	s_delay_alu instid0(VALU_DEP_1)
	v_lshl_add_u32 v20, v19, 2, v7
	s_mov_b32 s13, exec_lo
                                        ; implicit-def: $sgpr14
	ds_load_b32 v21, v20
	s_waitcnt lgkmcnt(0)
	v_cmpx_ne_u32_e64 v21, v3
	s_xor_b32 s13, exec_lo, s13
	s_cbranch_execz .LBB7_95
; %bb.88:                               ;   in Loop: Header=BB7_87 Depth=2
	s_mov_b32 s15, exec_lo
                                        ; implicit-def: $sgpr14
	v_cmpx_ne_u32_e64 s2, v21
	s_xor_b32 s15, exec_lo, s15
; %bb.89:                               ;   in Loop: Header=BB7_87 Depth=2
	v_add_nc_u32_e32 v19, 1, v19
	s_mov_b32 s14, -1
                                        ; implicit-def: $vgpr20
	s_delay_alu instid0(VALU_DEP_1)
	v_and_b32_e32 v19, 31, v19
; %bb.90:                               ;   in Loop: Header=BB7_87 Depth=2
	s_and_not1_saveexec_b32 s15, s15
	s_cbranch_execz .LBB7_94
; %bb.91:                               ;   in Loop: Header=BB7_87 Depth=2
	v_mov_b32_e32 v21, s2
	s_mov_b32 s16, -1
	s_mov_b32 s17, exec_lo
	ds_cmpstore_rtn_b32 v20, v20, v3, v21
	s_waitcnt lgkmcnt(0)
	v_cmpx_eq_u32_e64 s2, v20
	s_cbranch_execz .LBB7_93
; %bb.92:                               ;   in Loop: Header=BB7_87 Depth=2
	v_lshl_add_u32 v20, v19, 4, v12
	s_xor_b32 s16, exec_lo, -1
	ds_add_f32 v20, v18
.LBB7_93:                               ;   in Loop: Header=BB7_87 Depth=2
	s_or_b32 exec_lo, exec_lo, s17
	s_delay_alu instid0(SALU_CYCLE_1) | instskip(SKIP_1) | instid1(SALU_CYCLE_1)
	s_and_not1_b32 s14, s14, exec_lo
	s_and_b32 s16, s16, exec_lo
	s_or_b32 s14, s14, s16
.LBB7_94:                               ;   in Loop: Header=BB7_87 Depth=2
	s_or_b32 exec_lo, exec_lo, s15
	s_delay_alu instid0(SALU_CYCLE_1)
	s_and_b32 s14, s14, exec_lo
.LBB7_95:                               ;   in Loop: Header=BB7_87 Depth=2
	s_and_not1_saveexec_b32 s13, s13
	s_cbranch_execz .LBB7_86
; %bb.96:                               ;   in Loop: Header=BB7_87 Depth=2
	v_lshl_add_u32 v20, v19, 4, v12
	s_and_not1_b32 s14, s14, exec_lo
	ds_add_f32 v20, v18
	s_branch .LBB7_86
.LBB7_97:                               ;   in Loop: Header=BB7_73 Depth=1
	s_or_b32 exec_lo, exec_lo, s12
	v_dual_mul_f32 v17, v9, v17 :: v_dual_mov_b32 v18, v15
	s_mov_b32 s12, 0
	s_branch .LBB7_99
.LBB7_98:                               ;   in Loop: Header=BB7_99 Depth=2
	s_or_b32 exec_lo, exec_lo, s13
	s_xor_b32 s13, s14, -1
	s_delay_alu instid0(SALU_CYCLE_1) | instskip(NEXT) | instid1(SALU_CYCLE_1)
	s_and_b32 s13, exec_lo, s13
	s_or_b32 s12, s13, s12
	s_delay_alu instid0(SALU_CYCLE_1)
	s_and_not1_b32 exec_lo, exec_lo, s12
	s_cbranch_execz .LBB7_109
.LBB7_99:                               ;   Parent Loop BB7_73 Depth=1
                                        ; =>  This Inner Loop Header: Depth=2
	s_delay_alu instid0(VALU_DEP_1)
	v_lshl_add_u32 v19, v18, 2, v7
	s_mov_b32 s13, exec_lo
                                        ; implicit-def: $sgpr14
	ds_load_b32 v20, v19
	s_waitcnt lgkmcnt(0)
	v_cmpx_ne_u32_e64 v20, v3
	s_xor_b32 s13, exec_lo, s13
	s_cbranch_execz .LBB7_107
; %bb.100:                              ;   in Loop: Header=BB7_99 Depth=2
	s_mov_b32 s15, exec_lo
                                        ; implicit-def: $sgpr14
	v_cmpx_ne_u32_e64 s2, v20
	s_xor_b32 s15, exec_lo, s15
; %bb.101:                              ;   in Loop: Header=BB7_99 Depth=2
	v_add_nc_u32_e32 v18, 1, v18
	s_mov_b32 s14, -1
                                        ; implicit-def: $vgpr19
	s_delay_alu instid0(VALU_DEP_1)
	v_and_b32_e32 v18, 31, v18
; %bb.102:                              ;   in Loop: Header=BB7_99 Depth=2
	s_and_not1_saveexec_b32 s15, s15
	s_cbranch_execz .LBB7_106
; %bb.103:                              ;   in Loop: Header=BB7_99 Depth=2
	v_mov_b32_e32 v20, s2
	s_mov_b32 s16, -1
	s_mov_b32 s17, exec_lo
	ds_cmpstore_rtn_b32 v19, v19, v3, v20
	s_waitcnt lgkmcnt(0)
	v_cmpx_eq_u32_e64 s2, v19
	s_cbranch_execz .LBB7_105
; %bb.104:                              ;   in Loop: Header=BB7_99 Depth=2
	v_lshl_add_u32 v19, v18, 4, v13
	s_xor_b32 s16, exec_lo, -1
	ds_add_f32 v19, v17
.LBB7_105:                              ;   in Loop: Header=BB7_99 Depth=2
	s_or_b32 exec_lo, exec_lo, s17
	s_delay_alu instid0(SALU_CYCLE_1) | instskip(SKIP_1) | instid1(SALU_CYCLE_1)
	s_and_not1_b32 s14, s14, exec_lo
	s_and_b32 s16, s16, exec_lo
	s_or_b32 s14, s14, s16
.LBB7_106:                              ;   in Loop: Header=BB7_99 Depth=2
	s_or_b32 exec_lo, exec_lo, s15
	s_delay_alu instid0(SALU_CYCLE_1)
	s_and_b32 s14, s14, exec_lo
.LBB7_107:                              ;   in Loop: Header=BB7_99 Depth=2
	s_and_not1_saveexec_b32 s13, s13
	s_cbranch_execz .LBB7_98
; %bb.108:                              ;   in Loop: Header=BB7_99 Depth=2
	v_lshl_add_u32 v19, v18, 4, v13
	s_and_not1_b32 s14, s14, exec_lo
	ds_add_f32 v19, v17
	s_branch .LBB7_98
.LBB7_109:                              ;   in Loop: Header=BB7_73 Depth=1
	s_or_b32 exec_lo, exec_lo, s12
	s_waitcnt vmcnt(0)
	v_mul_f32_e32 v16, v9, v16
	s_mov_b32 s12, 0
	s_branch .LBB7_111
.LBB7_110:                              ;   in Loop: Header=BB7_111 Depth=2
	s_or_b32 exec_lo, exec_lo, s13
	s_xor_b32 s13, s14, -1
	s_delay_alu instid0(SALU_CYCLE_1) | instskip(NEXT) | instid1(SALU_CYCLE_1)
	s_and_b32 s13, exec_lo, s13
	s_or_b32 s12, s13, s12
	s_delay_alu instid0(SALU_CYCLE_1)
	s_and_not1_b32 exec_lo, exec_lo, s12
	s_cbranch_execz .LBB7_72
.LBB7_111:                              ;   Parent Loop BB7_73 Depth=1
                                        ; =>  This Inner Loop Header: Depth=2
	v_lshl_add_u32 v17, v15, 2, v7
	s_mov_b32 s13, exec_lo
                                        ; implicit-def: $sgpr14
	ds_load_b32 v18, v17
	s_waitcnt lgkmcnt(0)
	v_cmpx_ne_u32_e64 v18, v3
	s_xor_b32 s13, exec_lo, s13
	s_cbranch_execz .LBB7_119
; %bb.112:                              ;   in Loop: Header=BB7_111 Depth=2
	s_mov_b32 s15, exec_lo
                                        ; implicit-def: $sgpr14
	v_cmpx_ne_u32_e64 s2, v18
	s_xor_b32 s15, exec_lo, s15
; %bb.113:                              ;   in Loop: Header=BB7_111 Depth=2
	v_add_nc_u32_e32 v15, 1, v15
	s_mov_b32 s14, -1
                                        ; implicit-def: $vgpr17
	s_delay_alu instid0(VALU_DEP_1)
	v_and_b32_e32 v15, 31, v15
; %bb.114:                              ;   in Loop: Header=BB7_111 Depth=2
	s_and_not1_saveexec_b32 s15, s15
	s_cbranch_execz .LBB7_118
; %bb.115:                              ;   in Loop: Header=BB7_111 Depth=2
	v_mov_b32_e32 v18, s2
	s_mov_b32 s16, -1
	s_mov_b32 s17, exec_lo
	ds_cmpstore_rtn_b32 v17, v17, v3, v18
	s_waitcnt lgkmcnt(0)
	v_cmpx_eq_u32_e64 s2, v17
	s_cbranch_execz .LBB7_117
; %bb.116:                              ;   in Loop: Header=BB7_111 Depth=2
	v_lshl_add_u32 v17, v15, 4, v14
	s_xor_b32 s16, exec_lo, -1
	ds_add_f32 v17, v16
.LBB7_117:                              ;   in Loop: Header=BB7_111 Depth=2
	s_or_b32 exec_lo, exec_lo, s17
	s_delay_alu instid0(SALU_CYCLE_1) | instskip(SKIP_1) | instid1(SALU_CYCLE_1)
	s_and_not1_b32 s14, s14, exec_lo
	s_and_b32 s16, s16, exec_lo
	s_or_b32 s14, s14, s16
.LBB7_118:                              ;   in Loop: Header=BB7_111 Depth=2
	s_or_b32 exec_lo, exec_lo, s15
	s_delay_alu instid0(SALU_CYCLE_1)
	s_and_b32 s14, s14, exec_lo
.LBB7_119:                              ;   in Loop: Header=BB7_111 Depth=2
	s_and_not1_saveexec_b32 s13, s13
	s_cbranch_execz .LBB7_110
; %bb.120:                              ;   in Loop: Header=BB7_111 Depth=2
	v_lshl_add_u32 v17, v15, 4, v14
	s_and_not1_b32 s14, s14, exec_lo
	ds_add_f32 v17, v16
	s_branch .LBB7_110
.LBB7_121:
	s_or_b32 exec_lo, exec_lo, s1
.LBB7_122:
	v_add_co_u32 v0, vcc_lo, s10, v0
	v_add_co_ci_u32_e32 v1, vcc_lo, s11, v1, vcc_lo
	s_waitcnt lgkmcnt(0)
	buffer_gl0_inv
	s_cmp_eq_u32 s0, 0
	s_mov_b32 s0, 0
	global_load_b32 v0, v[0:1], off
	v_lshl_add_u32 v1, v8, 4, v10
	s_cselect_b32 s1, 4, 8
	s_cselect_b32 s3, 8, 4
	s_waitcnt vmcnt(0)
	v_subrev_nc_u32_e32 v0, s26, v0
	s_branch .LBB7_124
.LBB7_123:                              ;   in Loop: Header=BB7_124 Depth=1
	s_or_b32 exec_lo, exec_lo, s4
	v_add_co_u32 v6, s4, v6, 16
	s_delay_alu instid0(VALU_DEP_1) | instskip(SKIP_3) | instid1(SALU_CYCLE_1)
	s_xor_b32 s4, s4, -1
	v_add_nc_u32_e32 v1, 0x100, v1
	v_add_nc_u32_e32 v5, 64, v5
	s_and_b32 s4, exec_lo, s4
	s_or_b32 s0, s4, s0
	s_delay_alu instid0(SALU_CYCLE_1)
	s_and_not1_b32 exec_lo, exec_lo, s0
	s_cbranch_execz .LBB7_126
.LBB7_124:                              ; =>This Inner Loop Header: Depth=1
	ds_load_b32 v2, v5
	s_mov_b32 s4, exec_lo
	s_waitcnt lgkmcnt(0)
	v_cmpx_gt_i32_e64 s2, v2
	s_cbranch_execz .LBB7_123
; %bb.125:                              ;   in Loop: Header=BB7_124 Depth=1
	ds_load_b128 v[8:11], v7
	ds_load_b128 v[12:15], v7 offset:16
	ds_load_b128 v[16:19], v7 offset:32
	;; [unrolled: 1-line block ×7, first 2 shown]
	ds_load_2addr_b32 v[3:4], v1 offset1:3
	s_waitcnt lgkmcnt(8)
	v_cmp_gt_i32_e32 vcc_lo, v2, v8
	v_cndmask_b32_e64 v8, 0, 1, vcc_lo
	v_cmp_gt_i32_e32 vcc_lo, v2, v10
	v_cndmask_b32_e64 v10, 0, 1, vcc_lo
	v_cmp_gt_i32_e32 vcc_lo, v2, v9
	s_delay_alu instid0(VALU_DEP_4)
	v_add_co_ci_u32_e32 v8, vcc_lo, v0, v8, vcc_lo
	s_waitcnt lgkmcnt(7)
	v_cmp_gt_i32_e32 vcc_lo, v2, v12
	v_cndmask_b32_e64 v9, 0, 1, vcc_lo
	v_cmp_gt_i32_e32 vcc_lo, v2, v11
	v_add_co_ci_u32_e32 v8, vcc_lo, v8, v10, vcc_lo
	v_cmp_gt_i32_e32 vcc_lo, v2, v14
	v_cndmask_b32_e64 v10, 0, 1, vcc_lo
	v_cmp_gt_i32_e32 vcc_lo, v2, v13
	s_delay_alu instid0(VALU_DEP_4)
	v_add_co_ci_u32_e32 v8, vcc_lo, v8, v9, vcc_lo
	s_waitcnt lgkmcnt(6)
	v_cmp_gt_i32_e32 vcc_lo, v2, v16
	v_cndmask_b32_e64 v9, 0, 1, vcc_lo
	v_cmp_gt_i32_e32 vcc_lo, v2, v15
	v_add_nc_u32_e32 v15, s26, v2
	v_add_co_ci_u32_e32 v8, vcc_lo, v8, v10, vcc_lo
	v_cmp_gt_i32_e32 vcc_lo, v2, v18
	v_cndmask_b32_e64 v10, 0, 1, vcc_lo
	v_cmp_gt_i32_e32 vcc_lo, v2, v17
	s_delay_alu instid0(VALU_DEP_4)
	v_add_co_ci_u32_e32 v8, vcc_lo, v8, v9, vcc_lo
	s_waitcnt lgkmcnt(5)
	v_cmp_gt_i32_e32 vcc_lo, v2, v20
	v_cndmask_b32_e64 v9, 0, 1, vcc_lo
	v_cmp_gt_i32_e32 vcc_lo, v2, v19
	v_add_co_ci_u32_e32 v8, vcc_lo, v8, v10, vcc_lo
	v_cmp_gt_i32_e32 vcc_lo, v2, v22
	v_cndmask_b32_e64 v10, 0, 1, vcc_lo
	v_cmp_gt_i32_e32 vcc_lo, v2, v21
	s_delay_alu instid0(VALU_DEP_4)
	v_add_co_ci_u32_e32 v8, vcc_lo, v8, v9, vcc_lo
	s_waitcnt lgkmcnt(4)
	v_cmp_gt_i32_e32 vcc_lo, v2, v24
	v_cndmask_b32_e64 v9, 0, 1, vcc_lo
	v_cmp_gt_i32_e32 vcc_lo, v2, v23
	v_add_co_ci_u32_e32 v8, vcc_lo, v8, v10, vcc_lo
	v_cmp_gt_i32_e32 vcc_lo, v2, v26
	v_cndmask_b32_e64 v10, 0, 1, vcc_lo
	v_cmp_gt_i32_e32 vcc_lo, v2, v25
	s_delay_alu instid0(VALU_DEP_4)
	v_add_co_ci_u32_e32 v8, vcc_lo, v8, v9, vcc_lo
	s_waitcnt lgkmcnt(3)
	v_cmp_gt_i32_e32 vcc_lo, v2, v28
	v_cndmask_b32_e64 v9, 0, 1, vcc_lo
	v_cmp_gt_i32_e32 vcc_lo, v2, v27
	v_add_co_ci_u32_e32 v8, vcc_lo, v8, v10, vcc_lo
	v_cmp_gt_i32_e32 vcc_lo, v2, v30
	v_cndmask_b32_e64 v10, 0, 1, vcc_lo
	v_cmp_gt_i32_e32 vcc_lo, v2, v29
	s_delay_alu instid0(VALU_DEP_4)
	v_add_co_ci_u32_e32 v8, vcc_lo, v8, v9, vcc_lo
	s_waitcnt lgkmcnt(2)
	v_cmp_gt_i32_e32 vcc_lo, v2, v32
	v_cndmask_b32_e64 v9, 0, 1, vcc_lo
	v_cmp_gt_i32_e32 vcc_lo, v2, v31
	v_add_co_ci_u32_e32 v8, vcc_lo, v8, v10, vcc_lo
	v_cmp_gt_i32_e32 vcc_lo, v2, v34
	v_cndmask_b32_e64 v10, 0, 1, vcc_lo
	v_cmp_gt_i32_e32 vcc_lo, v2, v33
	s_delay_alu instid0(VALU_DEP_4)
	v_add_co_ci_u32_e32 v8, vcc_lo, v8, v9, vcc_lo
	s_waitcnt lgkmcnt(1)
	v_cmp_gt_i32_e32 vcc_lo, v2, v36
	v_cndmask_b32_e64 v9, 0, 1, vcc_lo
	v_cmp_gt_i32_e32 vcc_lo, v2, v35
	v_add_co_ci_u32_e32 v8, vcc_lo, v8, v10, vcc_lo
	v_cmp_gt_i32_e32 vcc_lo, v2, v38
	v_cndmask_b32_e64 v10, 0, 1, vcc_lo
	v_cmp_gt_i32_e32 vcc_lo, v2, v37
	s_delay_alu instid0(VALU_DEP_4) | instskip(SKIP_1) | instid1(VALU_DEP_2)
	v_add_co_ci_u32_e32 v8, vcc_lo, v8, v9, vcc_lo
	v_cmp_gt_i32_e32 vcc_lo, v2, v39
	v_add_co_ci_u32_e32 v11, vcc_lo, v8, v10, vcc_lo
	v_add_nc_u32_e32 v8, s1, v1
	v_add_nc_u32_e32 v10, s3, v1
	ds_load_b32 v9, v8
	ds_load_b32 v10, v10
	s_waitcnt lgkmcnt(2)
	v_dual_mov_b32 v8, v3 :: v_dual_lshlrev_b32 v13, 2, v11
	v_ashrrev_i32_e32 v12, 31, v11
	s_delay_alu instid0(VALU_DEP_2) | instskip(NEXT) | instid1(VALU_DEP_2)
	v_ashrrev_i32_e32 v14, 31, v13
	v_lshlrev_b64 v[11:12], 2, v[11:12]
	s_delay_alu instid0(VALU_DEP_2) | instskip(NEXT) | instid1(VALU_DEP_2)
	v_lshlrev_b64 v[2:3], 2, v[13:14]
	v_add_co_u32 v13, vcc_lo, s28, v11
	s_delay_alu instid0(VALU_DEP_3) | instskip(NEXT) | instid1(VALU_DEP_3)
	v_add_co_ci_u32_e32 v14, vcc_lo, s29, v12, vcc_lo
	v_add_co_u32 v2, vcc_lo, s30, v2
	s_delay_alu instid0(VALU_DEP_4)
	v_add_co_ci_u32_e32 v3, vcc_lo, s31, v3, vcc_lo
	v_mov_b32_e32 v11, v4
	global_store_b32 v[13:14], v15, off
	s_waitcnt lgkmcnt(0)
	global_store_b128 v[2:3], v[8:11], off
	s_branch .LBB7_123
.LBB7_126:
	s_nop 0
	s_sendmsg sendmsg(MSG_DEALLOC_VGPRS)
	s_endpgm
	.section	.rodata,"a",@progbits
	.p2align	6, 0x0
	.amdhsa_kernel _ZN9rocsparseL27bsrgemm_fill_wf_per_row_2x2ILj256ELj16ELj32ELj137EiifEEv20rocsparse_direction_T4_S2_PKS2_S4_NS_24const_host_device_scalarIT5_EEPKT3_S4_PKS6_SA_S4_SC_S7_SA_S4_SC_SA_PS2_PS6_21rocsparse_index_base_SF_SF_SF_bbb
		.amdhsa_group_segment_fixed_size 10240
		.amdhsa_private_segment_fixed_size 0
		.amdhsa_kernarg_size 164
		.amdhsa_user_sgpr_count 15
		.amdhsa_user_sgpr_dispatch_ptr 0
		.amdhsa_user_sgpr_queue_ptr 0
		.amdhsa_user_sgpr_kernarg_segment_ptr 1
		.amdhsa_user_sgpr_dispatch_id 0
		.amdhsa_user_sgpr_private_segment_size 0
		.amdhsa_wavefront_size32 1
		.amdhsa_uses_dynamic_stack 0
		.amdhsa_enable_private_segment 0
		.amdhsa_system_sgpr_workgroup_id_x 1
		.amdhsa_system_sgpr_workgroup_id_y 0
		.amdhsa_system_sgpr_workgroup_id_z 0
		.amdhsa_system_sgpr_workgroup_info 0
		.amdhsa_system_vgpr_workitem_id 0
		.amdhsa_next_free_vgpr 40
		.amdhsa_next_free_sgpr 44
		.amdhsa_reserve_vcc 1
		.amdhsa_float_round_mode_32 0
		.amdhsa_float_round_mode_16_64 0
		.amdhsa_float_denorm_mode_32 3
		.amdhsa_float_denorm_mode_16_64 3
		.amdhsa_dx10_clamp 1
		.amdhsa_ieee_mode 1
		.amdhsa_fp16_overflow 0
		.amdhsa_workgroup_processor_mode 1
		.amdhsa_memory_ordered 1
		.amdhsa_forward_progress 0
		.amdhsa_shared_vgpr_count 0
		.amdhsa_exception_fp_ieee_invalid_op 0
		.amdhsa_exception_fp_denorm_src 0
		.amdhsa_exception_fp_ieee_div_zero 0
		.amdhsa_exception_fp_ieee_overflow 0
		.amdhsa_exception_fp_ieee_underflow 0
		.amdhsa_exception_fp_ieee_inexact 0
		.amdhsa_exception_int_div_zero 0
	.end_amdhsa_kernel
	.section	.text._ZN9rocsparseL27bsrgemm_fill_wf_per_row_2x2ILj256ELj16ELj32ELj137EiifEEv20rocsparse_direction_T4_S2_PKS2_S4_NS_24const_host_device_scalarIT5_EEPKT3_S4_PKS6_SA_S4_SC_S7_SA_S4_SC_SA_PS2_PS6_21rocsparse_index_base_SF_SF_SF_bbb,"axG",@progbits,_ZN9rocsparseL27bsrgemm_fill_wf_per_row_2x2ILj256ELj16ELj32ELj137EiifEEv20rocsparse_direction_T4_S2_PKS2_S4_NS_24const_host_device_scalarIT5_EEPKT3_S4_PKS6_SA_S4_SC_S7_SA_S4_SC_SA_PS2_PS6_21rocsparse_index_base_SF_SF_SF_bbb,comdat
.Lfunc_end7:
	.size	_ZN9rocsparseL27bsrgemm_fill_wf_per_row_2x2ILj256ELj16ELj32ELj137EiifEEv20rocsparse_direction_T4_S2_PKS2_S4_NS_24const_host_device_scalarIT5_EEPKT3_S4_PKS6_SA_S4_SC_S7_SA_S4_SC_SA_PS2_PS6_21rocsparse_index_base_SF_SF_SF_bbb, .Lfunc_end7-_ZN9rocsparseL27bsrgemm_fill_wf_per_row_2x2ILj256ELj16ELj32ELj137EiifEEv20rocsparse_direction_T4_S2_PKS2_S4_NS_24const_host_device_scalarIT5_EEPKT3_S4_PKS6_SA_S4_SC_S7_SA_S4_SC_SA_PS2_PS6_21rocsparse_index_base_SF_SF_SF_bbb
                                        ; -- End function
	.section	.AMDGPU.csdata,"",@progbits
; Kernel info:
; codeLenInByte = 4340
; NumSgprs: 46
; NumVgprs: 40
; ScratchSize: 0
; MemoryBound: 0
; FloatMode: 240
; IeeeMode: 1
; LDSByteSize: 10240 bytes/workgroup (compile time only)
; SGPRBlocks: 5
; VGPRBlocks: 4
; NumSGPRsForWavesPerEU: 46
; NumVGPRsForWavesPerEU: 40
; Occupancy: 16
; WaveLimiterHint : 1
; COMPUTE_PGM_RSRC2:SCRATCH_EN: 0
; COMPUTE_PGM_RSRC2:USER_SGPR: 15
; COMPUTE_PGM_RSRC2:TRAP_HANDLER: 0
; COMPUTE_PGM_RSRC2:TGID_X_EN: 1
; COMPUTE_PGM_RSRC2:TGID_Y_EN: 0
; COMPUTE_PGM_RSRC2:TGID_Z_EN: 0
; COMPUTE_PGM_RSRC2:TIDIG_COMP_CNT: 0
	.section	.text._ZN9rocsparseL30bsrgemm_fill_block_per_row_2x2ILj256ELj16ELj64ELj137EiifEEv20rocsparse_direction_T4_S2_PKS2_S4_NS_24const_host_device_scalarIT5_EEPKT3_S4_PKS6_SA_S4_SC_S7_SA_S4_SC_SA_PS2_PS6_21rocsparse_index_base_SF_SF_SF_bbb,"axG",@progbits,_ZN9rocsparseL30bsrgemm_fill_block_per_row_2x2ILj256ELj16ELj64ELj137EiifEEv20rocsparse_direction_T4_S2_PKS2_S4_NS_24const_host_device_scalarIT5_EEPKT3_S4_PKS6_SA_S4_SC_S7_SA_S4_SC_SA_PS2_PS6_21rocsparse_index_base_SF_SF_SF_bbb,comdat
	.globl	_ZN9rocsparseL30bsrgemm_fill_block_per_row_2x2ILj256ELj16ELj64ELj137EiifEEv20rocsparse_direction_T4_S2_PKS2_S4_NS_24const_host_device_scalarIT5_EEPKT3_S4_PKS6_SA_S4_SC_S7_SA_S4_SC_SA_PS2_PS6_21rocsparse_index_base_SF_SF_SF_bbb ; -- Begin function _ZN9rocsparseL30bsrgemm_fill_block_per_row_2x2ILj256ELj16ELj64ELj137EiifEEv20rocsparse_direction_T4_S2_PKS2_S4_NS_24const_host_device_scalarIT5_EEPKT3_S4_PKS6_SA_S4_SC_S7_SA_S4_SC_SA_PS2_PS6_21rocsparse_index_base_SF_SF_SF_bbb
	.p2align	8
	.type	_ZN9rocsparseL30bsrgemm_fill_block_per_row_2x2ILj256ELj16ELj64ELj137EiifEEv20rocsparse_direction_T4_S2_PKS2_S4_NS_24const_host_device_scalarIT5_EEPKT3_S4_PKS6_SA_S4_SC_S7_SA_S4_SC_SA_PS2_PS6_21rocsparse_index_base_SF_SF_SF_bbb,@function
_ZN9rocsparseL30bsrgemm_fill_block_per_row_2x2ILj256ELj16ELj64ELj137EiifEEv20rocsparse_direction_T4_S2_PKS2_S4_NS_24const_host_device_scalarIT5_EEPKT3_S4_PKS6_SA_S4_SC_S7_SA_S4_SC_SA_PS2_PS6_21rocsparse_index_base_SF_SF_SF_bbb: ; @_ZN9rocsparseL30bsrgemm_fill_block_per_row_2x2ILj256ELj16ELj64ELj137EiifEEv20rocsparse_direction_T4_S2_PKS2_S4_NS_24const_host_device_scalarIT5_EEPKT3_S4_PKS6_SA_S4_SC_S7_SA_S4_SC_SA_PS2_PS6_21rocsparse_index_base_SF_SF_SF_bbb
; %bb.0:
	s_clause 0x2
	s_load_b32 s7, s[0:1], 0xa0
	s_load_b64 s[4:5], s[0:1], 0x20
	s_load_b64 s[2:3], s[0:1], 0x58
	s_mov_b32 s16, s15
	s_waitcnt lgkmcnt(0)
	s_bitcmp1_b32 s7, 0
	s_cselect_b32 s6, -1, 0
	s_bitcmp1_b32 s7, 16
	s_cselect_b32 s8, -1, 0
	s_xor_b32 s9, s6, -1
	s_delay_alu instid0(SALU_CYCLE_1) | instskip(NEXT) | instid1(SALU_CYCLE_1)
	s_or_b32 s9, s9, s8
	s_and_b32 vcc_lo, exec_lo, s9
	s_cbranch_vccnz .LBB8_2
; %bb.1:
	s_load_b32 s4, s[4:5], 0x0
	s_waitcnt lgkmcnt(0)
	v_mov_b32_e32 v6, s4
	s_branch .LBB8_3
.LBB8_2:
	v_cndmask_b32_e64 v6, 0, s4, s6
.LBB8_3:
	s_bitcmp1_b32 s7, 8
	s_cselect_b32 s21, -1, 0
	s_delay_alu instid0(SALU_CYCLE_1) | instskip(NEXT) | instid1(SALU_CYCLE_1)
	s_xor_b32 s4, s21, -1
	s_or_b32 s4, s4, s8
	s_delay_alu instid0(SALU_CYCLE_1)
	s_and_b32 vcc_lo, exec_lo, s4
	s_cbranch_vccnz .LBB8_5
; %bb.4:
	s_load_b32 s2, s[2:3], 0x0
	s_waitcnt lgkmcnt(0)
	v_mov_b32_e32 v5, s2
	s_branch .LBB8_6
.LBB8_5:
	v_cndmask_b32_e64 v5, 0, s2, s21
.LBB8_6:
	s_load_b32 s20, s[0:1], 0x8
	v_cmp_gt_u32_e64 s2, 64, v0
	v_lshl_add_u32 v4, v0, 2, 0
	s_delay_alu instid0(VALU_DEP_2)
	s_and_saveexec_b32 s3, s2
	s_cbranch_execz .LBB8_8
; %bb.7:
	s_waitcnt lgkmcnt(0)
	v_mov_b32_e32 v1, s20
	ds_store_b32 v4, v1
.LBB8_8:
	s_or_b32 exec_lo, exec_lo, s3
	s_clause 0x1
	s_load_b128 s[12:15], s[0:1], 0x90
	s_load_b64 s[4:5], s[0:1], 0x18
	s_mov_b32 s3, exec_lo
	v_cmpx_gt_u32_e32 0x100, v0
	s_cbranch_execz .LBB8_10
; %bb.9:
	v_mov_b32_e32 v1, 0
	ds_store_b32 v4, v1 offset:256
.LBB8_10:
	s_or_b32 exec_lo, exec_lo, s3
	s_waitcnt lgkmcnt(0)
	s_cmp_eq_u64 s[4:5], 0
	s_barrier
	buffer_gl0_inv
	s_cbranch_scc1 .LBB8_12
; %bb.11:
	s_load_b64 s[8:9], s[0:1], 0x10
	s_waitcnt lgkmcnt(0)
	s_load_b32 s3, s[8:9], 0x0
	s_mov_b32 s9, 0
	s_waitcnt lgkmcnt(0)
	s_add_i32 s8, s3, s16
	s_delay_alu instid0(SALU_CYCLE_1) | instskip(NEXT) | instid1(SALU_CYCLE_1)
	s_lshl_b64 s[8:9], s[8:9], 2
	s_add_u32 s4, s4, s8
	s_addc_u32 s5, s5, s9
	s_load_b32 s16, s[4:5], 0x0
.LBB8_12:
	s_load_b32 s3, s[0:1], 0x0
	s_and_not1_b32 vcc_lo, exec_lo, s6
	s_waitcnt lgkmcnt(0)
	s_ashr_i32 s17, s16, 31
	s_cbranch_vccnz .LBB8_68
; %bb.13:
	s_load_b64 s[4:5], s[0:1], 0x28
	s_lshl_b64 s[6:7], s[16:17], 2
	v_lshrrev_b32_e32 v1, 4, v0
	s_mov_b32 s23, exec_lo
	s_delay_alu instid0(VALU_DEP_1)
	v_subrev_nc_u32_e32 v1, s12, v1
	s_waitcnt lgkmcnt(0)
	s_add_u32 s4, s4, s6
	s_addc_u32 s5, s5, s7
	s_load_b64 s[4:5], s[4:5], 0x0
	s_waitcnt lgkmcnt(0)
	v_add_nc_u32_e32 v1, s4, v1
	s_sub_i32 s22, s5, s12
	s_delay_alu instid0(VALU_DEP_1) | instid1(SALU_CYCLE_1)
	v_cmpx_gt_i32_e64 s22, v1
	s_cbranch_execz .LBB8_67
; %bb.14:
	s_clause 0x1
	s_load_b64 s[18:19], s[0:1], 0x50
	s_load_b256 s[4:11], s[0:1], 0x30
	v_and_b32_e32 v2, 15, v0
	s_cmp_eq_u32 s3, 0
	s_mov_b32 s24, 0
	s_cselect_b32 s25, 1, 2
	s_cselect_b32 s26, 2, 1
	v_subrev_nc_u32_e32 v7, s13, v2
	s_branch .LBB8_16
.LBB8_15:                               ;   in Loop: Header=BB8_16 Depth=1
	s_or_b32 exec_lo, exec_lo, s27
	v_add_nc_u32_e32 v1, 16, v1
	s_delay_alu instid0(VALU_DEP_1) | instskip(SKIP_1) | instid1(SALU_CYCLE_1)
	v_cmp_le_i32_e32 vcc_lo, s22, v1
	s_or_b32 s24, vcc_lo, s24
	s_and_not1_b32 exec_lo, exec_lo, s24
	s_cbranch_execz .LBB8_67
.LBB8_16:                               ; =>This Loop Header: Depth=1
                                        ;     Child Loop BB8_19 Depth 2
                                        ;       Child Loop BB8_21 Depth 3
                                        ;       Child Loop BB8_33 Depth 3
	;; [unrolled: 1-line block ×4, first 2 shown]
	v_ashrrev_i32_e32 v2, 31, v1
	s_mov_b32 s27, exec_lo
	s_delay_alu instid0(VALU_DEP_1) | instskip(SKIP_1) | instid1(VALU_DEP_1)
	v_lshlrev_b64 v[2:3], 2, v[1:2]
	s_waitcnt lgkmcnt(0)
	v_add_co_u32 v2, vcc_lo, s4, v2
	s_delay_alu instid0(VALU_DEP_2) | instskip(SKIP_3) | instid1(VALU_DEP_1)
	v_add_co_ci_u32_e32 v3, vcc_lo, s5, v3, vcc_lo
	global_load_b32 v2, v[2:3], off
	s_waitcnt vmcnt(0)
	v_subrev_nc_u32_e32 v2, s12, v2
	v_ashrrev_i32_e32 v3, 31, v2
	s_delay_alu instid0(VALU_DEP_1) | instskip(NEXT) | instid1(VALU_DEP_1)
	v_lshlrev_b64 v[2:3], 2, v[2:3]
	v_add_co_u32 v2, vcc_lo, s8, v2
	s_delay_alu instid0(VALU_DEP_2) | instskip(SKIP_4) | instid1(VALU_DEP_1)
	v_add_co_ci_u32_e32 v3, vcc_lo, s9, v3, vcc_lo
	global_load_b64 v[2:3], v[2:3], off
	s_waitcnt vmcnt(0)
	v_subrev_nc_u32_e32 v8, s13, v3
	v_add_nc_u32_e32 v2, v2, v7
	v_cmpx_lt_i32_e64 v2, v8
	s_cbranch_execz .LBB8_15
; %bb.17:                               ;   in Loop: Header=BB8_16 Depth=1
	v_lshlrev_b32_e32 v9, 2, v1
	s_mov_b32 s28, 0
	s_delay_alu instid0(VALU_DEP_1) | instskip(SKIP_2) | instid1(VALU_DEP_3)
	v_or_b32_e32 v11, s26, v9
	v_ashrrev_i32_e32 v10, 31, v9
	v_or_b32_e32 v13, s25, v9
	v_ashrrev_i32_e32 v12, 31, v11
	s_delay_alu instid0(VALU_DEP_3) | instskip(NEXT) | instid1(VALU_DEP_3)
	v_lshlrev_b64 v[9:10], 2, v[9:10]
	v_ashrrev_i32_e32 v14, 31, v13
	s_delay_alu instid0(VALU_DEP_3) | instskip(NEXT) | instid1(VALU_DEP_2)
	v_lshlrev_b64 v[11:12], 2, v[11:12]
	v_lshlrev_b64 v[13:14], 2, v[13:14]
	s_delay_alu instid0(VALU_DEP_4) | instskip(SKIP_1) | instid1(VALU_DEP_4)
	v_add_co_u32 v9, vcc_lo, s6, v9
	v_add_co_ci_u32_e32 v10, vcc_lo, s7, v10, vcc_lo
	v_add_co_u32 v11, vcc_lo, s6, v11
	v_add_co_ci_u32_e32 v12, vcc_lo, s7, v12, vcc_lo
	;; [unrolled: 2-line block ×3, first 2 shown]
	s_clause 0x3
	global_load_b32 v3, v[9:10], off offset:12
	global_load_b32 v11, v[11:12], off
	global_load_b32 v12, v[13:14], off
	;; [unrolled: 1-line block ×3, first 2 shown]
	s_waitcnt vmcnt(3)
	v_mul_f32_e32 v9, v6, v3
	s_waitcnt vmcnt(2)
	v_mul_f32_e32 v10, v6, v11
	;; [unrolled: 2-line block ×4, first 2 shown]
	s_branch .LBB8_19
.LBB8_18:                               ;   in Loop: Header=BB8_19 Depth=2
	s_or_b32 exec_lo, exec_lo, s29
	v_add_nc_u32_e32 v2, 16, v2
	s_delay_alu instid0(VALU_DEP_1) | instskip(SKIP_1) | instid1(SALU_CYCLE_1)
	v_cmp_ge_i32_e32 vcc_lo, v2, v8
	s_or_b32 s28, vcc_lo, s28
	s_and_not1_b32 exec_lo, exec_lo, s28
	s_cbranch_execz .LBB8_15
.LBB8_19:                               ;   Parent Loop BB8_16 Depth=1
                                        ; =>  This Loop Header: Depth=2
                                        ;       Child Loop BB8_21 Depth 3
                                        ;       Child Loop BB8_33 Depth 3
	;; [unrolled: 1-line block ×4, first 2 shown]
	v_lshlrev_b32_e32 v13, 2, v2
	v_ashrrev_i32_e32 v3, 31, v2
	s_mov_b32 s29, 0
	s_delay_alu instid0(VALU_DEP_2) | instskip(NEXT) | instid1(VALU_DEP_2)
	v_or_b32_e32 v17, s26, v13
	v_lshlrev_b64 v[19:20], 2, v[2:3]
	v_or_b32_e32 v15, s25, v13
	v_ashrrev_i32_e32 v14, 31, v13
	s_delay_alu instid0(VALU_DEP_4) | instskip(NEXT) | instid1(VALU_DEP_4)
	v_ashrrev_i32_e32 v18, 31, v17
	v_add_co_u32 v19, vcc_lo, s10, v19
	v_add_co_ci_u32_e32 v20, vcc_lo, s11, v20, vcc_lo
	s_delay_alu instid0(VALU_DEP_3)
	v_lshlrev_b64 v[17:18], 2, v[17:18]
	v_ashrrev_i32_e32 v16, 31, v15
	v_lshlrev_b64 v[13:14], 2, v[13:14]
	global_load_b32 v3, v[19:20], off
	v_lshlrev_b64 v[15:16], 2, v[15:16]
	v_add_co_u32 v17, vcc_lo, s18, v17
	v_add_co_ci_u32_e32 v18, vcc_lo, s19, v18, vcc_lo
	v_add_co_u32 v13, vcc_lo, s18, v13
	v_add_co_ci_u32_e32 v14, vcc_lo, s19, v14, vcc_lo
	global_load_b32 v17, v[17:18], off
	v_add_co_u32 v15, vcc_lo, s18, v15
	v_add_co_ci_u32_e32 v16, vcc_lo, s19, v16, vcc_lo
	s_clause 0x2
	global_load_b32 v18, v[13:14], off
	global_load_b32 v15, v[15:16], off
	global_load_b32 v16, v[13:14], off offset:12
	s_waitcnt vmcnt(4)
	v_subrev_nc_u32_e32 v13, s13, v3
	s_delay_alu instid0(VALU_DEP_1) | instskip(SKIP_1) | instid1(VALU_DEP_1)
	v_lshl_add_u32 v3, v13, 3, v13
	s_waitcnt vmcnt(3)
	v_dual_mul_f32 v19, v11, v17 :: v_dual_and_b32 v14, 63, v3
	s_waitcnt vmcnt(2)
	s_delay_alu instid0(VALU_DEP_1)
	v_dual_mov_b32 v20, v14 :: v_dual_fmac_f32 v19, v12, v18
	s_branch .LBB8_21
.LBB8_20:                               ;   in Loop: Header=BB8_21 Depth=3
	s_or_b32 exec_lo, exec_lo, s30
	s_xor_b32 s30, s31, -1
	s_delay_alu instid0(SALU_CYCLE_1) | instskip(NEXT) | instid1(SALU_CYCLE_1)
	s_and_b32 s30, exec_lo, s30
	s_or_b32 s29, s30, s29
	s_delay_alu instid0(SALU_CYCLE_1)
	s_and_not1_b32 exec_lo, exec_lo, s29
	s_cbranch_execz .LBB8_31
.LBB8_21:                               ;   Parent Loop BB8_16 Depth=1
                                        ;     Parent Loop BB8_19 Depth=2
                                        ; =>    This Inner Loop Header: Depth=3
	s_delay_alu instid0(VALU_DEP_1)
	v_lshl_add_u32 v3, v20, 2, 0
	s_mov_b32 s30, exec_lo
                                        ; implicit-def: $sgpr31
	ds_load_b32 v21, v3
	s_waitcnt lgkmcnt(0)
	v_cmpx_ne_u32_e64 v21, v13
	s_xor_b32 s30, exec_lo, s30
	s_cbranch_execz .LBB8_29
; %bb.22:                               ;   in Loop: Header=BB8_21 Depth=3
	s_mov_b32 s33, exec_lo
                                        ; implicit-def: $sgpr31
	v_cmpx_ne_u32_e64 s20, v21
	s_xor_b32 s33, exec_lo, s33
; %bb.23:                               ;   in Loop: Header=BB8_21 Depth=3
	v_add_nc_u32_e32 v3, 1, v20
	s_mov_b32 s31, -1
	s_delay_alu instid0(VALU_DEP_1)
	v_and_b32_e32 v20, 63, v3
                                        ; implicit-def: $vgpr3
; %bb.24:                               ;   in Loop: Header=BB8_21 Depth=3
	s_and_not1_saveexec_b32 s33, s33
	s_cbranch_execz .LBB8_28
; %bb.25:                               ;   in Loop: Header=BB8_21 Depth=3
	v_mov_b32_e32 v21, s20
	s_mov_b32 s34, -1
	s_mov_b32 s35, exec_lo
	ds_cmpstore_rtn_b32 v21, v3, v13, v21
	s_waitcnt lgkmcnt(0)
	v_cmpx_eq_u32_e64 s20, v21
	s_cbranch_execz .LBB8_27
; %bb.26:                               ;   in Loop: Header=BB8_21 Depth=3
	v_mad_u64_u32 v[21:22], null, v20, 12, v[3:4]
	s_xor_b32 s34, exec_lo, -1
	ds_add_f32 v21, v19 offset:256
.LBB8_27:                               ;   in Loop: Header=BB8_21 Depth=3
	s_or_b32 exec_lo, exec_lo, s35
	s_delay_alu instid0(SALU_CYCLE_1) | instskip(SKIP_1) | instid1(SALU_CYCLE_1)
	s_and_not1_b32 s31, s31, exec_lo
	s_and_b32 s34, s34, exec_lo
	s_or_b32 s31, s31, s34
.LBB8_28:                               ;   in Loop: Header=BB8_21 Depth=3
	s_or_b32 exec_lo, exec_lo, s33
	s_delay_alu instid0(SALU_CYCLE_1)
	s_and_b32 s31, s31, exec_lo
                                        ; implicit-def: $vgpr3
.LBB8_29:                               ;   in Loop: Header=BB8_21 Depth=3
	s_and_not1_saveexec_b32 s30, s30
	s_cbranch_execz .LBB8_20
; %bb.30:                               ;   in Loop: Header=BB8_21 Depth=3
	v_mad_u64_u32 v[21:22], null, v20, 12, v[3:4]
	s_and_not1_b32 s31, s31, exec_lo
	ds_add_f32 v21, v19 offset:256
	s_branch .LBB8_20
.LBB8_31:                               ;   in Loop: Header=BB8_19 Depth=2
	s_or_b32 exec_lo, exec_lo, s29
	s_waitcnt vmcnt(0)
	v_dual_mul_f32 v19, v11, v16 :: v_dual_mov_b32 v20, v14
	s_mov_b32 s29, 0
	s_delay_alu instid0(VALU_DEP_1)
	v_fmac_f32_e32 v19, v12, v15
	s_branch .LBB8_33
.LBB8_32:                               ;   in Loop: Header=BB8_33 Depth=3
	s_or_b32 exec_lo, exec_lo, s30
	s_xor_b32 s30, s31, -1
	s_delay_alu instid0(SALU_CYCLE_1) | instskip(NEXT) | instid1(SALU_CYCLE_1)
	s_and_b32 s30, exec_lo, s30
	s_or_b32 s29, s30, s29
	s_delay_alu instid0(SALU_CYCLE_1)
	s_and_not1_b32 exec_lo, exec_lo, s29
	s_cbranch_execz .LBB8_43
.LBB8_33:                               ;   Parent Loop BB8_16 Depth=1
                                        ;     Parent Loop BB8_19 Depth=2
                                        ; =>    This Inner Loop Header: Depth=3
	s_delay_alu instid0(VALU_DEP_2)
	v_lshl_add_u32 v3, v20, 2, 0
	s_mov_b32 s30, exec_lo
                                        ; implicit-def: $sgpr31
	ds_load_b32 v21, v3
	s_waitcnt lgkmcnt(0)
	v_cmpx_ne_u32_e64 v21, v13
	s_xor_b32 s30, exec_lo, s30
	s_cbranch_execz .LBB8_41
; %bb.34:                               ;   in Loop: Header=BB8_33 Depth=3
	s_mov_b32 s33, exec_lo
                                        ; implicit-def: $sgpr31
	v_cmpx_ne_u32_e64 s20, v21
	s_xor_b32 s33, exec_lo, s33
; %bb.35:                               ;   in Loop: Header=BB8_33 Depth=3
	v_add_nc_u32_e32 v3, 1, v20
	s_mov_b32 s31, -1
	s_delay_alu instid0(VALU_DEP_1)
	v_and_b32_e32 v20, 63, v3
                                        ; implicit-def: $vgpr3
; %bb.36:                               ;   in Loop: Header=BB8_33 Depth=3
	s_and_not1_saveexec_b32 s33, s33
	s_cbranch_execz .LBB8_40
; %bb.37:                               ;   in Loop: Header=BB8_33 Depth=3
	v_mov_b32_e32 v21, s20
	s_mov_b32 s34, -1
	s_mov_b32 s35, exec_lo
	ds_cmpstore_rtn_b32 v21, v3, v13, v21
	s_waitcnt lgkmcnt(0)
	v_cmpx_eq_u32_e64 s20, v21
	s_cbranch_execz .LBB8_39
; %bb.38:                               ;   in Loop: Header=BB8_33 Depth=3
	v_mad_u64_u32 v[21:22], null, v20, 12, v[3:4]
	s_xor_b32 s34, exec_lo, -1
	ds_add_f32 v21, v19 offset:260
.LBB8_39:                               ;   in Loop: Header=BB8_33 Depth=3
	s_or_b32 exec_lo, exec_lo, s35
	s_delay_alu instid0(SALU_CYCLE_1) | instskip(SKIP_1) | instid1(SALU_CYCLE_1)
	s_and_not1_b32 s31, s31, exec_lo
	s_and_b32 s34, s34, exec_lo
	s_or_b32 s31, s31, s34
.LBB8_40:                               ;   in Loop: Header=BB8_33 Depth=3
	s_or_b32 exec_lo, exec_lo, s33
	s_delay_alu instid0(SALU_CYCLE_1)
	s_and_b32 s31, s31, exec_lo
                                        ; implicit-def: $vgpr3
.LBB8_41:                               ;   in Loop: Header=BB8_33 Depth=3
	s_and_not1_saveexec_b32 s30, s30
	s_cbranch_execz .LBB8_32
; %bb.42:                               ;   in Loop: Header=BB8_33 Depth=3
	v_mad_u64_u32 v[21:22], null, v20, 12, v[3:4]
	s_and_not1_b32 s31, s31, exec_lo
	ds_add_f32 v21, v19 offset:260
	s_branch .LBB8_32
.LBB8_43:                               ;   in Loop: Header=BB8_19 Depth=2
	s_or_b32 exec_lo, exec_lo, s29
	v_mul_f32_e32 v17, v9, v17
	s_mov_b32 s29, 0
	s_delay_alu instid0(VALU_DEP_1)
	v_fmac_f32_e32 v17, v10, v18
	v_mov_b32_e32 v18, v14
	s_branch .LBB8_45
.LBB8_44:                               ;   in Loop: Header=BB8_45 Depth=3
	s_or_b32 exec_lo, exec_lo, s30
	s_xor_b32 s30, s31, -1
	s_delay_alu instid0(SALU_CYCLE_1) | instskip(NEXT) | instid1(SALU_CYCLE_1)
	s_and_b32 s30, exec_lo, s30
	s_or_b32 s29, s30, s29
	s_delay_alu instid0(SALU_CYCLE_1)
	s_and_not1_b32 exec_lo, exec_lo, s29
	s_cbranch_execz .LBB8_55
.LBB8_45:                               ;   Parent Loop BB8_16 Depth=1
                                        ;     Parent Loop BB8_19 Depth=2
                                        ; =>    This Inner Loop Header: Depth=3
	s_delay_alu instid0(VALU_DEP_1)
	v_lshl_add_u32 v3, v18, 2, 0
	s_mov_b32 s30, exec_lo
                                        ; implicit-def: $sgpr31
	ds_load_b32 v19, v3
	s_waitcnt lgkmcnt(0)
	v_cmpx_ne_u32_e64 v19, v13
	s_xor_b32 s30, exec_lo, s30
	s_cbranch_execz .LBB8_53
; %bb.46:                               ;   in Loop: Header=BB8_45 Depth=3
	s_mov_b32 s33, exec_lo
                                        ; implicit-def: $sgpr31
	v_cmpx_ne_u32_e64 s20, v19
	s_xor_b32 s33, exec_lo, s33
; %bb.47:                               ;   in Loop: Header=BB8_45 Depth=3
	v_add_nc_u32_e32 v3, 1, v18
	s_mov_b32 s31, -1
	s_delay_alu instid0(VALU_DEP_1)
	v_and_b32_e32 v18, 63, v3
                                        ; implicit-def: $vgpr3
; %bb.48:                               ;   in Loop: Header=BB8_45 Depth=3
	s_and_not1_saveexec_b32 s33, s33
	s_cbranch_execz .LBB8_52
; %bb.49:                               ;   in Loop: Header=BB8_45 Depth=3
	v_mov_b32_e32 v19, s20
	s_mov_b32 s34, -1
	s_mov_b32 s35, exec_lo
	ds_cmpstore_rtn_b32 v19, v3, v13, v19
	s_waitcnt lgkmcnt(0)
	v_cmpx_eq_u32_e64 s20, v19
	s_cbranch_execz .LBB8_51
; %bb.50:                               ;   in Loop: Header=BB8_45 Depth=3
	v_mad_u64_u32 v[19:20], null, v18, 12, v[3:4]
	s_xor_b32 s34, exec_lo, -1
	ds_add_f32 v19, v17 offset:264
.LBB8_51:                               ;   in Loop: Header=BB8_45 Depth=3
	s_or_b32 exec_lo, exec_lo, s35
	s_delay_alu instid0(SALU_CYCLE_1) | instskip(SKIP_1) | instid1(SALU_CYCLE_1)
	s_and_not1_b32 s31, s31, exec_lo
	s_and_b32 s34, s34, exec_lo
	s_or_b32 s31, s31, s34
.LBB8_52:                               ;   in Loop: Header=BB8_45 Depth=3
	s_or_b32 exec_lo, exec_lo, s33
	s_delay_alu instid0(SALU_CYCLE_1)
	s_and_b32 s31, s31, exec_lo
                                        ; implicit-def: $vgpr3
.LBB8_53:                               ;   in Loop: Header=BB8_45 Depth=3
	s_and_not1_saveexec_b32 s30, s30
	s_cbranch_execz .LBB8_44
; %bb.54:                               ;   in Loop: Header=BB8_45 Depth=3
	v_mad_u64_u32 v[19:20], null, v18, 12, v[3:4]
	s_and_not1_b32 s31, s31, exec_lo
	ds_add_f32 v19, v17 offset:264
	s_branch .LBB8_44
.LBB8_55:                               ;   in Loop: Header=BB8_19 Depth=2
	s_or_b32 exec_lo, exec_lo, s29
	v_mul_f32_e32 v16, v9, v16
	s_mov_b32 s29, 0
	s_delay_alu instid0(VALU_DEP_1)
	v_fmac_f32_e32 v16, v10, v15
	s_branch .LBB8_57
.LBB8_56:                               ;   in Loop: Header=BB8_57 Depth=3
	s_or_b32 exec_lo, exec_lo, s30
	s_xor_b32 s30, s31, -1
	s_delay_alu instid0(SALU_CYCLE_1) | instskip(NEXT) | instid1(SALU_CYCLE_1)
	s_and_b32 s30, exec_lo, s30
	s_or_b32 s29, s30, s29
	s_delay_alu instid0(SALU_CYCLE_1)
	s_and_not1_b32 exec_lo, exec_lo, s29
	s_cbranch_execz .LBB8_18
.LBB8_57:                               ;   Parent Loop BB8_16 Depth=1
                                        ;     Parent Loop BB8_19 Depth=2
                                        ; =>    This Inner Loop Header: Depth=3
	v_lshl_add_u32 v3, v14, 2, 0
	s_mov_b32 s30, exec_lo
                                        ; implicit-def: $sgpr31
	ds_load_b32 v15, v3
	s_waitcnt lgkmcnt(0)
	v_cmpx_ne_u32_e64 v15, v13
	s_xor_b32 s30, exec_lo, s30
	s_cbranch_execz .LBB8_65
; %bb.58:                               ;   in Loop: Header=BB8_57 Depth=3
	s_mov_b32 s33, exec_lo
                                        ; implicit-def: $sgpr31
	v_cmpx_ne_u32_e64 s20, v15
	s_xor_b32 s33, exec_lo, s33
; %bb.59:                               ;   in Loop: Header=BB8_57 Depth=3
	v_add_nc_u32_e32 v3, 1, v14
	s_mov_b32 s31, -1
	s_delay_alu instid0(VALU_DEP_1)
	v_and_b32_e32 v14, 63, v3
                                        ; implicit-def: $vgpr3
; %bb.60:                               ;   in Loop: Header=BB8_57 Depth=3
	s_and_not1_saveexec_b32 s33, s33
	s_cbranch_execz .LBB8_64
; %bb.61:                               ;   in Loop: Header=BB8_57 Depth=3
	v_mov_b32_e32 v15, s20
	s_mov_b32 s34, -1
	s_mov_b32 s35, exec_lo
	ds_cmpstore_rtn_b32 v15, v3, v13, v15
	s_waitcnt lgkmcnt(0)
	v_cmpx_eq_u32_e64 s20, v15
	s_cbranch_execz .LBB8_63
; %bb.62:                               ;   in Loop: Header=BB8_57 Depth=3
	v_mad_u64_u32 v[17:18], null, v14, 12, v[3:4]
	s_xor_b32 s34, exec_lo, -1
	ds_add_f32 v17, v16 offset:268
.LBB8_63:                               ;   in Loop: Header=BB8_57 Depth=3
	s_or_b32 exec_lo, exec_lo, s35
	s_delay_alu instid0(SALU_CYCLE_1) | instskip(SKIP_1) | instid1(SALU_CYCLE_1)
	s_and_not1_b32 s31, s31, exec_lo
	s_and_b32 s34, s34, exec_lo
	s_or_b32 s31, s31, s34
.LBB8_64:                               ;   in Loop: Header=BB8_57 Depth=3
	s_or_b32 exec_lo, exec_lo, s33
	s_delay_alu instid0(SALU_CYCLE_1)
	s_and_b32 s31, s31, exec_lo
                                        ; implicit-def: $vgpr3
.LBB8_65:                               ;   in Loop: Header=BB8_57 Depth=3
	s_and_not1_saveexec_b32 s30, s30
	s_cbranch_execz .LBB8_56
; %bb.66:                               ;   in Loop: Header=BB8_57 Depth=3
	v_mad_u64_u32 v[17:18], null, v14, 12, v[3:4]
	s_and_not1_b32 s31, s31, exec_lo
	ds_add_f32 v17, v16 offset:268
	s_branch .LBB8_56
.LBB8_67:
	s_or_b32 exec_lo, exec_lo, s23
.LBB8_68:
	s_delay_alu instid0(SALU_CYCLE_1)
	s_and_not1_b32 vcc_lo, exec_lo, s21
	s_waitcnt lgkmcnt(0)
	s_barrier
	buffer_gl0_inv
	s_cbranch_vccnz .LBB8_121
; %bb.69:
	s_load_b64 s[4:5], s[0:1], 0x60
	s_lshl_b64 s[6:7], s[16:17], 2
	v_subrev_nc_u32_e32 v1, s15, v0
	s_mov_b32 s9, exec_lo
	s_waitcnt lgkmcnt(0)
	s_add_u32 s4, s4, s6
	s_addc_u32 s5, s5, s7
	s_load_b64 s[4:5], s[4:5], 0x0
	s_waitcnt lgkmcnt(0)
	v_add_nc_u32_e32 v1, s4, v1
	s_sub_i32 s8, s5, s15
	s_delay_alu instid0(VALU_DEP_1) | instid1(SALU_CYCLE_1)
	v_cmpx_gt_i32_e64 s8, v1
	s_cbranch_execz .LBB8_120
; %bb.70:
	s_load_b128 s[4:7], s[0:1], 0x68
	s_cmp_eq_u32 s3, 0
	s_mov_b32 s10, 0
	s_cselect_b32 s11, 1, 2
	s_cselect_b32 s12, 2, 1
	s_branch .LBB8_72
.LBB8_71:                               ;   in Loop: Header=BB8_72 Depth=1
	s_or_b32 exec_lo, exec_lo, s13
	v_add_nc_u32_e32 v1, 0x100, v1
	s_delay_alu instid0(VALU_DEP_1) | instskip(SKIP_1) | instid1(SALU_CYCLE_1)
	v_cmp_le_i32_e32 vcc_lo, s8, v1
	s_or_b32 s10, vcc_lo, s10
	s_and_not1_b32 exec_lo, exec_lo, s10
	s_cbranch_execz .LBB8_120
.LBB8_72:                               ; =>This Loop Header: Depth=1
                                        ;     Child Loop BB8_74 Depth 2
                                        ;     Child Loop BB8_86 Depth 2
	;; [unrolled: 1-line block ×4, first 2 shown]
	v_ashrrev_i32_e32 v2, 31, v1
	v_lshlrev_b32_e32 v6, 2, v1
	s_mov_b32 s13, 0
	s_delay_alu instid0(VALU_DEP_2) | instskip(NEXT) | instid1(VALU_DEP_2)
	v_lshlrev_b64 v[2:3], 2, v[1:2]
	v_or_b32_e32 v8, s12, v6
	v_ashrrev_i32_e32 v7, 31, v6
	v_or_b32_e32 v10, s11, v6
	s_delay_alu instid0(VALU_DEP_3)
	v_ashrrev_i32_e32 v9, 31, v8
	s_waitcnt lgkmcnt(0)
	v_add_co_u32 v2, vcc_lo, s4, v2
	v_add_co_ci_u32_e32 v3, vcc_lo, s5, v3, vcc_lo
	v_lshlrev_b64 v[6:7], 2, v[6:7]
	v_ashrrev_i32_e32 v11, 31, v10
	global_load_b32 v12, v[2:3], off
	v_lshlrev_b64 v[2:3], 2, v[8:9]
	v_add_co_u32 v6, vcc_lo, s6, v6
	v_lshlrev_b64 v[8:9], 2, v[10:11]
	v_add_co_ci_u32_e32 v7, vcc_lo, s7, v7, vcc_lo
	s_delay_alu instid0(VALU_DEP_4) | instskip(SKIP_1) | instid1(VALU_DEP_4)
	v_add_co_u32 v2, vcc_lo, s6, v2
	v_add_co_ci_u32_e32 v3, vcc_lo, s7, v3, vcc_lo
	v_add_co_u32 v10, vcc_lo, s6, v8
	global_load_b32 v13, v[6:7], off
	v_add_co_ci_u32_e32 v11, vcc_lo, s7, v9, vcc_lo
	s_clause 0x2
	global_load_b32 v8, v[2:3], off
	global_load_b32 v9, v[10:11], off
	global_load_b32 v7, v[6:7], off offset:12
	s_waitcnt vmcnt(4)
	v_subrev_nc_u32_e32 v3, s15, v12
	s_delay_alu instid0(VALU_DEP_1) | instskip(NEXT) | instid1(VALU_DEP_1)
	v_lshl_add_u32 v2, v3, 3, v3
	v_and_b32_e32 v6, 63, v2
	s_waitcnt vmcnt(3)
	s_delay_alu instid0(VALU_DEP_1)
	v_dual_mul_f32 v10, v5, v13 :: v_dual_mov_b32 v11, v6
	s_branch .LBB8_74
.LBB8_73:                               ;   in Loop: Header=BB8_74 Depth=2
	s_or_b32 exec_lo, exec_lo, s18
	s_xor_b32 s18, s19, -1
	s_delay_alu instid0(SALU_CYCLE_1) | instskip(NEXT) | instid1(SALU_CYCLE_1)
	s_and_b32 s18, exec_lo, s18
	s_or_b32 s13, s18, s13
	s_delay_alu instid0(SALU_CYCLE_1)
	s_and_not1_b32 exec_lo, exec_lo, s13
	s_cbranch_execz .LBB8_84
.LBB8_74:                               ;   Parent Loop BB8_72 Depth=1
                                        ; =>  This Inner Loop Header: Depth=2
	s_delay_alu instid0(VALU_DEP_1)
	v_lshl_add_u32 v2, v11, 2, 0
	s_mov_b32 s18, exec_lo
                                        ; implicit-def: $sgpr19
	ds_load_b32 v12, v2
	s_waitcnt lgkmcnt(0)
	v_cmpx_ne_u32_e64 v12, v3
	s_xor_b32 s18, exec_lo, s18
	s_cbranch_execz .LBB8_82
; %bb.75:                               ;   in Loop: Header=BB8_74 Depth=2
	s_mov_b32 s21, exec_lo
                                        ; implicit-def: $sgpr19
	v_cmpx_ne_u32_e64 s20, v12
	s_xor_b32 s21, exec_lo, s21
; %bb.76:                               ;   in Loop: Header=BB8_74 Depth=2
	v_add_nc_u32_e32 v2, 1, v11
	s_mov_b32 s19, -1
	s_delay_alu instid0(VALU_DEP_1)
	v_and_b32_e32 v11, 63, v2
                                        ; implicit-def: $vgpr2
; %bb.77:                               ;   in Loop: Header=BB8_74 Depth=2
	s_and_not1_saveexec_b32 s21, s21
	s_cbranch_execz .LBB8_81
; %bb.78:                               ;   in Loop: Header=BB8_74 Depth=2
	v_mov_b32_e32 v12, s20
	s_mov_b32 s22, -1
	s_mov_b32 s23, exec_lo
	ds_cmpstore_rtn_b32 v12, v2, v3, v12
	s_waitcnt lgkmcnt(0)
	v_cmpx_eq_u32_e64 s20, v12
	s_cbranch_execz .LBB8_80
; %bb.79:                               ;   in Loop: Header=BB8_74 Depth=2
	v_mad_u64_u32 v[12:13], null, v11, 12, v[2:3]
	s_xor_b32 s22, exec_lo, -1
	ds_add_f32 v12, v10 offset:256
.LBB8_80:                               ;   in Loop: Header=BB8_74 Depth=2
	s_or_b32 exec_lo, exec_lo, s23
	s_delay_alu instid0(SALU_CYCLE_1) | instskip(SKIP_1) | instid1(SALU_CYCLE_1)
	s_and_not1_b32 s19, s19, exec_lo
	s_and_b32 s22, s22, exec_lo
	s_or_b32 s19, s19, s22
.LBB8_81:                               ;   in Loop: Header=BB8_74 Depth=2
	s_or_b32 exec_lo, exec_lo, s21
	s_delay_alu instid0(SALU_CYCLE_1)
	s_and_b32 s19, s19, exec_lo
                                        ; implicit-def: $vgpr2
.LBB8_82:                               ;   in Loop: Header=BB8_74 Depth=2
	s_and_not1_saveexec_b32 s18, s18
	s_cbranch_execz .LBB8_73
; %bb.83:                               ;   in Loop: Header=BB8_74 Depth=2
	v_mad_u64_u32 v[12:13], null, v11, 12, v[2:3]
	s_and_not1_b32 s19, s19, exec_lo
	ds_add_f32 v12, v10 offset:256
	s_branch .LBB8_73
.LBB8_84:                               ;   in Loop: Header=BB8_72 Depth=1
	s_or_b32 exec_lo, exec_lo, s13
	s_waitcnt vmcnt(1)
	v_dual_mul_f32 v9, v5, v9 :: v_dual_mov_b32 v10, v6
	s_mov_b32 s13, 0
	s_branch .LBB8_86
.LBB8_85:                               ;   in Loop: Header=BB8_86 Depth=2
	s_or_b32 exec_lo, exec_lo, s18
	s_xor_b32 s18, s19, -1
	s_delay_alu instid0(SALU_CYCLE_1) | instskip(NEXT) | instid1(SALU_CYCLE_1)
	s_and_b32 s18, exec_lo, s18
	s_or_b32 s13, s18, s13
	s_delay_alu instid0(SALU_CYCLE_1)
	s_and_not1_b32 exec_lo, exec_lo, s13
	s_cbranch_execz .LBB8_96
.LBB8_86:                               ;   Parent Loop BB8_72 Depth=1
                                        ; =>  This Inner Loop Header: Depth=2
	s_delay_alu instid0(VALU_DEP_1)
	v_lshl_add_u32 v2, v10, 2, 0
	s_mov_b32 s18, exec_lo
                                        ; implicit-def: $sgpr19
	ds_load_b32 v11, v2
	s_waitcnt lgkmcnt(0)
	v_cmpx_ne_u32_e64 v11, v3
	s_xor_b32 s18, exec_lo, s18
	s_cbranch_execz .LBB8_94
; %bb.87:                               ;   in Loop: Header=BB8_86 Depth=2
	s_mov_b32 s21, exec_lo
                                        ; implicit-def: $sgpr19
	v_cmpx_ne_u32_e64 s20, v11
	s_xor_b32 s21, exec_lo, s21
; %bb.88:                               ;   in Loop: Header=BB8_86 Depth=2
	v_add_nc_u32_e32 v2, 1, v10
	s_mov_b32 s19, -1
	s_delay_alu instid0(VALU_DEP_1)
	v_and_b32_e32 v10, 63, v2
                                        ; implicit-def: $vgpr2
; %bb.89:                               ;   in Loop: Header=BB8_86 Depth=2
	s_and_not1_saveexec_b32 s21, s21
	s_cbranch_execz .LBB8_93
; %bb.90:                               ;   in Loop: Header=BB8_86 Depth=2
	v_mov_b32_e32 v11, s20
	s_mov_b32 s22, -1
	s_mov_b32 s23, exec_lo
	ds_cmpstore_rtn_b32 v11, v2, v3, v11
	s_waitcnt lgkmcnt(0)
	v_cmpx_eq_u32_e64 s20, v11
	s_cbranch_execz .LBB8_92
; %bb.91:                               ;   in Loop: Header=BB8_86 Depth=2
	v_mad_u64_u32 v[11:12], null, v10, 12, v[2:3]
	s_xor_b32 s22, exec_lo, -1
	ds_add_f32 v11, v9 offset:260
.LBB8_92:                               ;   in Loop: Header=BB8_86 Depth=2
	s_or_b32 exec_lo, exec_lo, s23
	s_delay_alu instid0(SALU_CYCLE_1) | instskip(SKIP_1) | instid1(SALU_CYCLE_1)
	s_and_not1_b32 s19, s19, exec_lo
	s_and_b32 s22, s22, exec_lo
	s_or_b32 s19, s19, s22
.LBB8_93:                               ;   in Loop: Header=BB8_86 Depth=2
	s_or_b32 exec_lo, exec_lo, s21
	s_delay_alu instid0(SALU_CYCLE_1)
	s_and_b32 s19, s19, exec_lo
                                        ; implicit-def: $vgpr2
.LBB8_94:                               ;   in Loop: Header=BB8_86 Depth=2
	s_and_not1_saveexec_b32 s18, s18
	s_cbranch_execz .LBB8_85
; %bb.95:                               ;   in Loop: Header=BB8_86 Depth=2
	v_mad_u64_u32 v[11:12], null, v10, 12, v[2:3]
	s_and_not1_b32 s19, s19, exec_lo
	ds_add_f32 v11, v9 offset:260
	s_branch .LBB8_85
.LBB8_96:                               ;   in Loop: Header=BB8_72 Depth=1
	s_or_b32 exec_lo, exec_lo, s13
	v_dual_mul_f32 v8, v5, v8 :: v_dual_mov_b32 v9, v6
	s_mov_b32 s13, 0
	s_branch .LBB8_98
.LBB8_97:                               ;   in Loop: Header=BB8_98 Depth=2
	s_or_b32 exec_lo, exec_lo, s18
	s_xor_b32 s18, s19, -1
	s_delay_alu instid0(SALU_CYCLE_1) | instskip(NEXT) | instid1(SALU_CYCLE_1)
	s_and_b32 s18, exec_lo, s18
	s_or_b32 s13, s18, s13
	s_delay_alu instid0(SALU_CYCLE_1)
	s_and_not1_b32 exec_lo, exec_lo, s13
	s_cbranch_execz .LBB8_108
.LBB8_98:                               ;   Parent Loop BB8_72 Depth=1
                                        ; =>  This Inner Loop Header: Depth=2
	s_delay_alu instid0(VALU_DEP_1)
	v_lshl_add_u32 v2, v9, 2, 0
	s_mov_b32 s18, exec_lo
                                        ; implicit-def: $sgpr19
	ds_load_b32 v10, v2
	s_waitcnt lgkmcnt(0)
	v_cmpx_ne_u32_e64 v10, v3
	s_xor_b32 s18, exec_lo, s18
	s_cbranch_execz .LBB8_106
; %bb.99:                               ;   in Loop: Header=BB8_98 Depth=2
	s_mov_b32 s21, exec_lo
                                        ; implicit-def: $sgpr19
	v_cmpx_ne_u32_e64 s20, v10
	s_xor_b32 s21, exec_lo, s21
; %bb.100:                              ;   in Loop: Header=BB8_98 Depth=2
	v_add_nc_u32_e32 v2, 1, v9
	s_mov_b32 s19, -1
	s_delay_alu instid0(VALU_DEP_1)
	v_and_b32_e32 v9, 63, v2
                                        ; implicit-def: $vgpr2
; %bb.101:                              ;   in Loop: Header=BB8_98 Depth=2
	s_and_not1_saveexec_b32 s21, s21
	s_cbranch_execz .LBB8_105
; %bb.102:                              ;   in Loop: Header=BB8_98 Depth=2
	v_mov_b32_e32 v10, s20
	s_mov_b32 s22, -1
	s_mov_b32 s23, exec_lo
	ds_cmpstore_rtn_b32 v10, v2, v3, v10
	s_waitcnt lgkmcnt(0)
	v_cmpx_eq_u32_e64 s20, v10
	s_cbranch_execz .LBB8_104
; %bb.103:                              ;   in Loop: Header=BB8_98 Depth=2
	v_mad_u64_u32 v[10:11], null, v9, 12, v[2:3]
	s_xor_b32 s22, exec_lo, -1
	ds_add_f32 v10, v8 offset:264
.LBB8_104:                              ;   in Loop: Header=BB8_98 Depth=2
	s_or_b32 exec_lo, exec_lo, s23
	s_delay_alu instid0(SALU_CYCLE_1) | instskip(SKIP_1) | instid1(SALU_CYCLE_1)
	s_and_not1_b32 s19, s19, exec_lo
	s_and_b32 s22, s22, exec_lo
	s_or_b32 s19, s19, s22
.LBB8_105:                              ;   in Loop: Header=BB8_98 Depth=2
	s_or_b32 exec_lo, exec_lo, s21
	s_delay_alu instid0(SALU_CYCLE_1)
	s_and_b32 s19, s19, exec_lo
                                        ; implicit-def: $vgpr2
.LBB8_106:                              ;   in Loop: Header=BB8_98 Depth=2
	s_and_not1_saveexec_b32 s18, s18
	s_cbranch_execz .LBB8_97
; %bb.107:                              ;   in Loop: Header=BB8_98 Depth=2
	v_mad_u64_u32 v[10:11], null, v9, 12, v[2:3]
	s_and_not1_b32 s19, s19, exec_lo
	ds_add_f32 v10, v8 offset:264
	s_branch .LBB8_97
.LBB8_108:                              ;   in Loop: Header=BB8_72 Depth=1
	s_or_b32 exec_lo, exec_lo, s13
	s_waitcnt vmcnt(0)
	v_mul_f32_e32 v7, v5, v7
	s_mov_b32 s13, 0
	s_branch .LBB8_110
.LBB8_109:                              ;   in Loop: Header=BB8_110 Depth=2
	s_or_b32 exec_lo, exec_lo, s18
	s_xor_b32 s18, s19, -1
	s_delay_alu instid0(SALU_CYCLE_1) | instskip(NEXT) | instid1(SALU_CYCLE_1)
	s_and_b32 s18, exec_lo, s18
	s_or_b32 s13, s18, s13
	s_delay_alu instid0(SALU_CYCLE_1)
	s_and_not1_b32 exec_lo, exec_lo, s13
	s_cbranch_execz .LBB8_71
.LBB8_110:                              ;   Parent Loop BB8_72 Depth=1
                                        ; =>  This Inner Loop Header: Depth=2
	v_lshl_add_u32 v2, v6, 2, 0
	s_mov_b32 s18, exec_lo
                                        ; implicit-def: $sgpr19
	ds_load_b32 v8, v2
	s_waitcnt lgkmcnt(0)
	v_cmpx_ne_u32_e64 v8, v3
	s_xor_b32 s18, exec_lo, s18
	s_cbranch_execz .LBB8_118
; %bb.111:                              ;   in Loop: Header=BB8_110 Depth=2
	s_mov_b32 s21, exec_lo
                                        ; implicit-def: $sgpr19
	v_cmpx_ne_u32_e64 s20, v8
	s_xor_b32 s21, exec_lo, s21
; %bb.112:                              ;   in Loop: Header=BB8_110 Depth=2
	v_add_nc_u32_e32 v2, 1, v6
	s_mov_b32 s19, -1
	s_delay_alu instid0(VALU_DEP_1)
	v_and_b32_e32 v6, 63, v2
                                        ; implicit-def: $vgpr2
; %bb.113:                              ;   in Loop: Header=BB8_110 Depth=2
	s_and_not1_saveexec_b32 s21, s21
	s_cbranch_execz .LBB8_117
; %bb.114:                              ;   in Loop: Header=BB8_110 Depth=2
	v_mov_b32_e32 v8, s20
	s_mov_b32 s22, -1
	s_mov_b32 s23, exec_lo
	ds_cmpstore_rtn_b32 v8, v2, v3, v8
	s_waitcnt lgkmcnt(0)
	v_cmpx_eq_u32_e64 s20, v8
	s_cbranch_execz .LBB8_116
; %bb.115:                              ;   in Loop: Header=BB8_110 Depth=2
	v_mad_u64_u32 v[8:9], null, v6, 12, v[2:3]
	s_xor_b32 s22, exec_lo, -1
	ds_add_f32 v8, v7 offset:268
.LBB8_116:                              ;   in Loop: Header=BB8_110 Depth=2
	s_or_b32 exec_lo, exec_lo, s23
	s_delay_alu instid0(SALU_CYCLE_1) | instskip(SKIP_1) | instid1(SALU_CYCLE_1)
	s_and_not1_b32 s19, s19, exec_lo
	s_and_b32 s22, s22, exec_lo
	s_or_b32 s19, s19, s22
.LBB8_117:                              ;   in Loop: Header=BB8_110 Depth=2
	s_or_b32 exec_lo, exec_lo, s21
	s_delay_alu instid0(SALU_CYCLE_1)
	s_and_b32 s19, s19, exec_lo
                                        ; implicit-def: $vgpr2
.LBB8_118:                              ;   in Loop: Header=BB8_110 Depth=2
	s_and_not1_saveexec_b32 s18, s18
	s_cbranch_execz .LBB8_109
; %bb.119:                              ;   in Loop: Header=BB8_110 Depth=2
	v_mad_u64_u32 v[8:9], null, v6, 12, v[2:3]
	s_and_not1_b32 s19, s19, exec_lo
	ds_add_f32 v8, v7 offset:268
	s_branch .LBB8_109
.LBB8_120:
	s_or_b32 exec_lo, exec_lo, s9
.LBB8_121:
	s_waitcnt lgkmcnt(0)
	s_barrier
	buffer_gl0_inv
	s_and_saveexec_b32 s4, s2
	s_cbranch_execz .LBB8_124
; %bb.122:
	ds_load_b32 v1, v4
	s_waitcnt lgkmcnt(0)
	v_cmp_gt_i32_e32 vcc_lo, s20, v1
	s_and_b32 exec_lo, exec_lo, vcc_lo
	s_cbranch_execz .LBB8_124
; %bb.123:
	s_load_b128 s[4:7], s[0:1], 0x78
	v_mov_b32_e32 v64, 0
	s_lshl_b64 s[8:9], s[16:17], 2
	s_load_b64 s[0:1], s[0:1], 0x88
	ds_load_2addr_b32 v[2:3], v64 offset1:1
	ds_load_2addr_b32 v[4:5], v64 offset0:2 offset1:3
	ds_load_2addr_b32 v[6:7], v64 offset0:4 offset1:5
	;; [unrolled: 1-line block ×15, first 2 shown]
	s_waitcnt lgkmcnt(0)
	v_cmp_gt_i32_e32 vcc_lo, v1, v2
	v_cndmask_b32_e64 v2, 0, 1, vcc_lo
	s_add_u32 s4, s4, s8
	s_addc_u32 s5, s5, s9
	v_cmp_gt_i32_e32 vcc_lo, v1, v4
	s_load_b32 s2, s[4:5], 0x0
	ds_load_2addr_b32 v[34:35], v64 offset0:32 offset1:33
	ds_load_2addr_b32 v[36:37], v64 offset0:34 offset1:35
	;; [unrolled: 1-line block ×16, first 2 shown]
	v_cndmask_b32_e64 v4, 0, 1, vcc_lo
	v_cmp_gt_i32_e32 vcc_lo, v1, v3
	s_waitcnt lgkmcnt(0)
	s_sub_i32 s2, s2, s14
	s_cmp_eq_u32 s3, 0
	v_add_co_ci_u32_e32 v2, vcc_lo, s2, v2, vcc_lo
	v_cmp_gt_i32_e32 vcc_lo, v1, v6
	s_cselect_b32 s2, 2, 1
	s_cselect_b32 s3, 1, 2
	v_cndmask_b32_e64 v3, 0, 1, vcc_lo
	v_cmp_gt_i32_e32 vcc_lo, v1, v5
	v_add_co_ci_u32_e32 v2, vcc_lo, v2, v4, vcc_lo
	v_cmp_gt_i32_e32 vcc_lo, v1, v8
	v_cndmask_b32_e64 v4, 0, 1, vcc_lo
	v_cmp_gt_i32_e32 vcc_lo, v1, v7
	s_delay_alu instid0(VALU_DEP_4)
	v_add_co_ci_u32_e32 v2, vcc_lo, v2, v3, vcc_lo
	v_cmp_gt_i32_e32 vcc_lo, v1, v10
	v_add_nc_u32_e32 v10, s14, v1
	v_cndmask_b32_e64 v3, 0, 1, vcc_lo
	v_cmp_gt_i32_e32 vcc_lo, v1, v9
	v_add_co_ci_u32_e32 v2, vcc_lo, v2, v4, vcc_lo
	v_cmp_gt_i32_e32 vcc_lo, v1, v12
	v_cndmask_b32_e64 v4, 0, 1, vcc_lo
	v_cmp_gt_i32_e32 vcc_lo, v1, v11
	s_delay_alu instid0(VALU_DEP_4) | instskip(SKIP_3) | instid1(VALU_DEP_4)
	v_add_co_ci_u32_e32 v2, vcc_lo, v2, v3, vcc_lo
	v_cmp_gt_i32_e32 vcc_lo, v1, v14
	v_cndmask_b32_e64 v3, 0, 1, vcc_lo
	v_cmp_gt_i32_e32 vcc_lo, v1, v13
	v_add_co_ci_u32_e32 v2, vcc_lo, v2, v4, vcc_lo
	v_cmp_gt_i32_e32 vcc_lo, v1, v16
	v_cndmask_b32_e64 v4, 0, 1, vcc_lo
	v_cmp_gt_i32_e32 vcc_lo, v1, v15
	s_delay_alu instid0(VALU_DEP_4) | instskip(SKIP_3) | instid1(VALU_DEP_4)
	v_add_co_ci_u32_e32 v2, vcc_lo, v2, v3, vcc_lo
	v_cmp_gt_i32_e32 vcc_lo, v1, v18
	;; [unrolled: 9-line block ×13, first 2 shown]
	v_cndmask_b32_e64 v3, 0, 1, vcc_lo
	v_cmp_gt_i32_e32 vcc_lo, v1, v61
	v_add_co_ci_u32_e32 v2, vcc_lo, v2, v4, vcc_lo
	v_cmp_gt_i32_e32 vcc_lo, v1, v64
	v_cndmask_b32_e64 v4, 0, 1, vcc_lo
	v_cmp_gt_i32_e32 vcc_lo, v1, v63
	s_delay_alu instid0(VALU_DEP_4) | instskip(SKIP_3) | instid1(VALU_DEP_4)
	v_add_co_ci_u32_e32 v2, vcc_lo, v2, v3, vcc_lo
	v_lshlrev_b32_e32 v3, 2, v0
	v_cmp_gt_i32_e32 vcc_lo, v1, v65
	v_lshlrev_b32_e32 v0, 4, v0
	v_add_co_ci_u32_e32 v6, vcc_lo, v2, v4, vcc_lo
	s_delay_alu instid0(VALU_DEP_4) | instskip(SKIP_1) | instid1(VALU_DEP_4)
	v_or_b32_e32 v2, s2, v3
	v_or_b32_e32 v3, s3, v3
	v_add_nc_u32_e32 v4, 0, v0
	v_add3_u32 v0, 0, 0x100, v0
	v_lshlrev_b32_e32 v8, 2, v6
	v_lshl_add_u32 v5, v2, 2, 0
	v_lshl_add_u32 v3, v3, 2, 0
	v_ashrrev_i32_e32 v7, 31, v6
	ds_load_b32 v2, v4 offset:256
	ds_load_b32 v4, v5 offset:256
	;; [unrolled: 1-line block ×4, first 2 shown]
	v_ashrrev_i32_e32 v9, 31, v8
	v_lshlrev_b64 v[6:7], 2, v[6:7]
	s_delay_alu instid0(VALU_DEP_2) | instskip(NEXT) | instid1(VALU_DEP_2)
	v_lshlrev_b64 v[0:1], 2, v[8:9]
	v_add_co_u32 v6, vcc_lo, s6, v6
	s_delay_alu instid0(VALU_DEP_3) | instskip(NEXT) | instid1(VALU_DEP_3)
	v_add_co_ci_u32_e32 v7, vcc_lo, s7, v7, vcc_lo
	v_add_co_u32 v0, vcc_lo, s0, v0
	s_delay_alu instid0(VALU_DEP_4)
	v_add_co_ci_u32_e32 v1, vcc_lo, s1, v1, vcc_lo
	global_store_b32 v[6:7], v10, off
	s_waitcnt lgkmcnt(0)
	global_store_b128 v[0:1], v[2:5], off
.LBB8_124:
	s_nop 0
	s_sendmsg sendmsg(MSG_DEALLOC_VGPRS)
	s_endpgm
	.section	.rodata,"a",@progbits
	.p2align	6, 0x0
	.amdhsa_kernel _ZN9rocsparseL30bsrgemm_fill_block_per_row_2x2ILj256ELj16ELj64ELj137EiifEEv20rocsparse_direction_T4_S2_PKS2_S4_NS_24const_host_device_scalarIT5_EEPKT3_S4_PKS6_SA_S4_SC_S7_SA_S4_SC_SA_PS2_PS6_21rocsparse_index_base_SF_SF_SF_bbb
		.amdhsa_group_segment_fixed_size 0
		.amdhsa_private_segment_fixed_size 0
		.amdhsa_kernarg_size 164
		.amdhsa_user_sgpr_count 15
		.amdhsa_user_sgpr_dispatch_ptr 0
		.amdhsa_user_sgpr_queue_ptr 0
		.amdhsa_user_sgpr_kernarg_segment_ptr 1
		.amdhsa_user_sgpr_dispatch_id 0
		.amdhsa_user_sgpr_private_segment_size 0
		.amdhsa_wavefront_size32 1
		.amdhsa_uses_dynamic_stack 0
		.amdhsa_enable_private_segment 0
		.amdhsa_system_sgpr_workgroup_id_x 1
		.amdhsa_system_sgpr_workgroup_id_y 0
		.amdhsa_system_sgpr_workgroup_id_z 0
		.amdhsa_system_sgpr_workgroup_info 0
		.amdhsa_system_vgpr_workitem_id 0
		.amdhsa_next_free_vgpr 66
		.amdhsa_next_free_sgpr 36
		.amdhsa_reserve_vcc 1
		.amdhsa_float_round_mode_32 0
		.amdhsa_float_round_mode_16_64 0
		.amdhsa_float_denorm_mode_32 3
		.amdhsa_float_denorm_mode_16_64 3
		.amdhsa_dx10_clamp 1
		.amdhsa_ieee_mode 1
		.amdhsa_fp16_overflow 0
		.amdhsa_workgroup_processor_mode 1
		.amdhsa_memory_ordered 1
		.amdhsa_forward_progress 0
		.amdhsa_shared_vgpr_count 0
		.amdhsa_exception_fp_ieee_invalid_op 0
		.amdhsa_exception_fp_denorm_src 0
		.amdhsa_exception_fp_ieee_div_zero 0
		.amdhsa_exception_fp_ieee_overflow 0
		.amdhsa_exception_fp_ieee_underflow 0
		.amdhsa_exception_fp_ieee_inexact 0
		.amdhsa_exception_int_div_zero 0
	.end_amdhsa_kernel
	.section	.text._ZN9rocsparseL30bsrgemm_fill_block_per_row_2x2ILj256ELj16ELj64ELj137EiifEEv20rocsparse_direction_T4_S2_PKS2_S4_NS_24const_host_device_scalarIT5_EEPKT3_S4_PKS6_SA_S4_SC_S7_SA_S4_SC_SA_PS2_PS6_21rocsparse_index_base_SF_SF_SF_bbb,"axG",@progbits,_ZN9rocsparseL30bsrgemm_fill_block_per_row_2x2ILj256ELj16ELj64ELj137EiifEEv20rocsparse_direction_T4_S2_PKS2_S4_NS_24const_host_device_scalarIT5_EEPKT3_S4_PKS6_SA_S4_SC_S7_SA_S4_SC_SA_PS2_PS6_21rocsparse_index_base_SF_SF_SF_bbb,comdat
.Lfunc_end8:
	.size	_ZN9rocsparseL30bsrgemm_fill_block_per_row_2x2ILj256ELj16ELj64ELj137EiifEEv20rocsparse_direction_T4_S2_PKS2_S4_NS_24const_host_device_scalarIT5_EEPKT3_S4_PKS6_SA_S4_SC_S7_SA_S4_SC_SA_PS2_PS6_21rocsparse_index_base_SF_SF_SF_bbb, .Lfunc_end8-_ZN9rocsparseL30bsrgemm_fill_block_per_row_2x2ILj256ELj16ELj64ELj137EiifEEv20rocsparse_direction_T4_S2_PKS2_S4_NS_24const_host_device_scalarIT5_EEPKT3_S4_PKS6_SA_S4_SC_S7_SA_S4_SC_SA_PS2_PS6_21rocsparse_index_base_SF_SF_SF_bbb
                                        ; -- End function
	.section	.AMDGPU.csdata,"",@progbits
; Kernel info:
; codeLenInByte = 4728
; NumSgprs: 38
; NumVgprs: 66
; ScratchSize: 0
; MemoryBound: 0
; FloatMode: 240
; IeeeMode: 1
; LDSByteSize: 0 bytes/workgroup (compile time only)
; SGPRBlocks: 4
; VGPRBlocks: 8
; NumSGPRsForWavesPerEU: 38
; NumVGPRsForWavesPerEU: 66
; Occupancy: 16
; WaveLimiterHint : 1
; COMPUTE_PGM_RSRC2:SCRATCH_EN: 0
; COMPUTE_PGM_RSRC2:USER_SGPR: 15
; COMPUTE_PGM_RSRC2:TRAP_HANDLER: 0
; COMPUTE_PGM_RSRC2:TGID_X_EN: 1
; COMPUTE_PGM_RSRC2:TGID_Y_EN: 0
; COMPUTE_PGM_RSRC2:TGID_Z_EN: 0
; COMPUTE_PGM_RSRC2:TIDIG_COMP_CNT: 0
	.section	.text._ZN9rocsparseL30bsrgemm_fill_block_per_row_2x2ILj256ELj16ELj128ELj137EiifEEv20rocsparse_direction_T4_S2_PKS2_S4_NS_24const_host_device_scalarIT5_EEPKT3_S4_PKS6_SA_S4_SC_S7_SA_S4_SC_SA_PS2_PS6_21rocsparse_index_base_SF_SF_SF_bbb,"axG",@progbits,_ZN9rocsparseL30bsrgemm_fill_block_per_row_2x2ILj256ELj16ELj128ELj137EiifEEv20rocsparse_direction_T4_S2_PKS2_S4_NS_24const_host_device_scalarIT5_EEPKT3_S4_PKS6_SA_S4_SC_S7_SA_S4_SC_SA_PS2_PS6_21rocsparse_index_base_SF_SF_SF_bbb,comdat
	.globl	_ZN9rocsparseL30bsrgemm_fill_block_per_row_2x2ILj256ELj16ELj128ELj137EiifEEv20rocsparse_direction_T4_S2_PKS2_S4_NS_24const_host_device_scalarIT5_EEPKT3_S4_PKS6_SA_S4_SC_S7_SA_S4_SC_SA_PS2_PS6_21rocsparse_index_base_SF_SF_SF_bbb ; -- Begin function _ZN9rocsparseL30bsrgemm_fill_block_per_row_2x2ILj256ELj16ELj128ELj137EiifEEv20rocsparse_direction_T4_S2_PKS2_S4_NS_24const_host_device_scalarIT5_EEPKT3_S4_PKS6_SA_S4_SC_S7_SA_S4_SC_SA_PS2_PS6_21rocsparse_index_base_SF_SF_SF_bbb
	.p2align	8
	.type	_ZN9rocsparseL30bsrgemm_fill_block_per_row_2x2ILj256ELj16ELj128ELj137EiifEEv20rocsparse_direction_T4_S2_PKS2_S4_NS_24const_host_device_scalarIT5_EEPKT3_S4_PKS6_SA_S4_SC_S7_SA_S4_SC_SA_PS2_PS6_21rocsparse_index_base_SF_SF_SF_bbb,@function
_ZN9rocsparseL30bsrgemm_fill_block_per_row_2x2ILj256ELj16ELj128ELj137EiifEEv20rocsparse_direction_T4_S2_PKS2_S4_NS_24const_host_device_scalarIT5_EEPKT3_S4_PKS6_SA_S4_SC_S7_SA_S4_SC_SA_PS2_PS6_21rocsparse_index_base_SF_SF_SF_bbb: ; @_ZN9rocsparseL30bsrgemm_fill_block_per_row_2x2ILj256ELj16ELj128ELj137EiifEEv20rocsparse_direction_T4_S2_PKS2_S4_NS_24const_host_device_scalarIT5_EEPKT3_S4_PKS6_SA_S4_SC_S7_SA_S4_SC_SA_PS2_PS6_21rocsparse_index_base_SF_SF_SF_bbb
; %bb.0:
	s_clause 0x2
	s_load_b32 s6, s[0:1], 0xa0
	s_load_b64 s[4:5], s[0:1], 0x20
	s_load_b64 s[2:3], s[0:1], 0x58
	s_mov_b32 s34, s15
	s_waitcnt lgkmcnt(0)
	s_bitcmp1_b32 s6, 0
	s_cselect_b32 s35, -1, 0
	s_bitcmp1_b32 s6, 16
	s_cselect_b32 s7, -1, 0
	s_xor_b32 s8, s35, -1
	s_delay_alu instid0(SALU_CYCLE_1) | instskip(NEXT) | instid1(SALU_CYCLE_1)
	s_or_b32 s8, s8, s7
	s_and_b32 vcc_lo, exec_lo, s8
	s_cbranch_vccnz .LBB9_2
; %bb.1:
	s_load_b32 s4, s[4:5], 0x0
	s_waitcnt lgkmcnt(0)
	v_mov_b32_e32 v6, s4
	s_branch .LBB9_3
.LBB9_2:
	v_cndmask_b32_e64 v6, 0, s4, s35
.LBB9_3:
	s_bitcmp1_b32 s6, 8
	s_cselect_b32 s33, -1, 0
	s_delay_alu instid0(SALU_CYCLE_1) | instskip(NEXT) | instid1(SALU_CYCLE_1)
	s_xor_b32 s4, s33, -1
	s_or_b32 s4, s4, s7
	s_delay_alu instid0(SALU_CYCLE_1)
	s_and_b32 vcc_lo, exec_lo, s4
	s_cbranch_vccnz .LBB9_5
; %bb.4:
	s_load_b32 s2, s[2:3], 0x0
	s_waitcnt lgkmcnt(0)
	v_mov_b32_e32 v5, s2
	s_branch .LBB9_6
.LBB9_5:
	v_cndmask_b32_e64 v5, 0, s2, s33
.LBB9_6:
	s_clause 0x1
	s_load_b128 s[20:23], s[0:1], 0x90
	s_load_b32 s3, s[0:1], 0x8
	v_cmp_gt_u32_e64 s2, 0x80, v0
	v_lshl_add_u32 v4, v0, 2, 0
	s_delay_alu instid0(VALU_DEP_2)
	s_and_saveexec_b32 s4, s2
	s_cbranch_execz .LBB9_8
; %bb.7:
	s_waitcnt lgkmcnt(0)
	v_mov_b32_e32 v1, s3
	ds_store_b32 v4, v1
.LBB9_8:
	s_or_b32 exec_lo, exec_lo, s4
	s_clause 0x4
	s_load_b128 s[24:27], s[0:1], 0x80
	s_load_b256 s[4:11], s[0:1], 0x60
	s_load_b128 s[28:31], s[0:1], 0x48
	s_load_b128 s[36:39], s[0:1], 0x10
	s_load_b256 s[12:19], s[0:1], 0x28
	s_mov_b32 s40, exec_lo
	v_cmpx_gt_u32_e32 0x200, v0
	s_cbranch_execz .LBB9_11
; %bb.9:
	v_dual_mov_b32 v3, 0 :: v_dual_lshlrev_b32 v2, 2, v0
	v_or_b32_e32 v1, 0xffffff00, v0
	s_mov_b32 s41, 0
	s_delay_alu instid0(VALU_DEP_2)
	v_add3_u32 v2, v2, 0, 0x200
.LBB9_10:                               ; =>This Inner Loop Header: Depth=1
	s_delay_alu instid0(VALU_DEP_2) | instskip(NEXT) | instid1(VALU_DEP_1)
	v_add_co_u32 v1, s42, 0x100, v1
	s_xor_b32 s42, s42, -1
	ds_store_b32 v2, v3
	v_add_nc_u32_e32 v2, 0x400, v2
	s_and_b32 s42, exec_lo, s42
	s_delay_alu instid0(SALU_CYCLE_1) | instskip(NEXT) | instid1(SALU_CYCLE_1)
	s_or_b32 s41, s42, s41
	s_and_not1_b32 exec_lo, exec_lo, s41
	s_cbranch_execnz .LBB9_10
.LBB9_11:
	s_or_b32 exec_lo, exec_lo, s40
	s_waitcnt lgkmcnt(0)
	s_cmp_lg_u64 s[38:39], 0
	s_barrier
	buffer_gl0_inv
	s_cbranch_scc0 .LBB9_13
; %bb.12:
	s_load_b32 s36, s[36:37], 0x0
	s_mov_b32 s37, 0
	s_waitcnt lgkmcnt(0)
	s_add_i32 s36, s36, s34
	s_delay_alu instid0(SALU_CYCLE_1) | instskip(NEXT) | instid1(SALU_CYCLE_1)
	s_lshl_b64 s[36:37], s[36:37], 2
	s_add_u32 s36, s38, s36
	s_addc_u32 s37, s39, s37
	s_load_b32 s34, s[36:37], 0x0
.LBB9_13:
	s_load_b32 s0, s[0:1], 0x0
	s_and_not1_b32 vcc_lo, exec_lo, s35
	s_waitcnt lgkmcnt(0)
	s_ashr_i32 s35, s34, 31
	s_cbranch_vccnz .LBB9_69
; %bb.14:
	s_lshl_b64 s[36:37], s[34:35], 2
	v_lshrrev_b32_e32 v1, 4, v0
	s_add_u32 s12, s12, s36
	s_addc_u32 s13, s13, s37
	s_load_b64 s[12:13], s[12:13], 0x0
	s_delay_alu instid0(VALU_DEP_1) | instskip(SKIP_1) | instid1(VALU_DEP_1)
	v_subrev_nc_u32_e32 v1, s20, v1
	s_waitcnt lgkmcnt(0)
	v_add_nc_u32_e32 v1, s12, v1
	s_sub_i32 s1, s13, s20
	s_mov_b32 s12, exec_lo
	s_delay_alu instid0(VALU_DEP_1)
	v_cmpx_gt_i32_e64 s1, v1
	s_cbranch_execz .LBB9_68
; %bb.15:
	v_and_b32_e32 v2, 15, v0
	s_cmp_eq_u32 s0, 0
	s_mov_b32 s13, 0
	s_cselect_b32 s36, 1, 2
	s_cselect_b32 s37, 2, 1
	v_subrev_nc_u32_e32 v7, s21, v2
	s_branch .LBB9_17
.LBB9_16:                               ;   in Loop: Header=BB9_17 Depth=1
	s_or_b32 exec_lo, exec_lo, s38
	v_add_nc_u32_e32 v1, 16, v1
	s_delay_alu instid0(VALU_DEP_1) | instskip(SKIP_1) | instid1(SALU_CYCLE_1)
	v_cmp_le_i32_e32 vcc_lo, s1, v1
	s_or_b32 s13, vcc_lo, s13
	s_and_not1_b32 exec_lo, exec_lo, s13
	s_cbranch_execz .LBB9_68
.LBB9_17:                               ; =>This Loop Header: Depth=1
                                        ;     Child Loop BB9_20 Depth 2
                                        ;       Child Loop BB9_22 Depth 3
                                        ;       Child Loop BB9_34 Depth 3
	;; [unrolled: 1-line block ×4, first 2 shown]
	v_ashrrev_i32_e32 v2, 31, v1
	s_mov_b32 s38, exec_lo
	s_delay_alu instid0(VALU_DEP_1) | instskip(NEXT) | instid1(VALU_DEP_1)
	v_lshlrev_b64 v[2:3], 2, v[1:2]
	v_add_co_u32 v2, vcc_lo, s14, v2
	s_delay_alu instid0(VALU_DEP_2) | instskip(SKIP_3) | instid1(VALU_DEP_1)
	v_add_co_ci_u32_e32 v3, vcc_lo, s15, v3, vcc_lo
	global_load_b32 v2, v[2:3], off
	s_waitcnt vmcnt(0)
	v_subrev_nc_u32_e32 v2, s20, v2
	v_ashrrev_i32_e32 v3, 31, v2
	s_delay_alu instid0(VALU_DEP_1) | instskip(NEXT) | instid1(VALU_DEP_1)
	v_lshlrev_b64 v[2:3], 2, v[2:3]
	v_add_co_u32 v2, vcc_lo, s18, v2
	s_delay_alu instid0(VALU_DEP_2) | instskip(SKIP_4) | instid1(VALU_DEP_1)
	v_add_co_ci_u32_e32 v3, vcc_lo, s19, v3, vcc_lo
	global_load_b64 v[2:3], v[2:3], off
	s_waitcnt vmcnt(0)
	v_subrev_nc_u32_e32 v8, s21, v3
	v_add_nc_u32_e32 v2, v2, v7
	v_cmpx_lt_i32_e64 v2, v8
	s_cbranch_execz .LBB9_16
; %bb.18:                               ;   in Loop: Header=BB9_17 Depth=1
	v_lshlrev_b32_e32 v9, 2, v1
	s_mov_b32 s39, 0
	s_delay_alu instid0(VALU_DEP_1) | instskip(SKIP_2) | instid1(VALU_DEP_3)
	v_or_b32_e32 v11, s37, v9
	v_ashrrev_i32_e32 v10, 31, v9
	v_or_b32_e32 v13, s36, v9
	v_ashrrev_i32_e32 v12, 31, v11
	s_delay_alu instid0(VALU_DEP_3) | instskip(NEXT) | instid1(VALU_DEP_3)
	v_lshlrev_b64 v[9:10], 2, v[9:10]
	v_ashrrev_i32_e32 v14, 31, v13
	s_delay_alu instid0(VALU_DEP_3) | instskip(NEXT) | instid1(VALU_DEP_2)
	v_lshlrev_b64 v[11:12], 2, v[11:12]
	v_lshlrev_b64 v[13:14], 2, v[13:14]
	s_delay_alu instid0(VALU_DEP_4) | instskip(SKIP_1) | instid1(VALU_DEP_4)
	v_add_co_u32 v9, vcc_lo, s16, v9
	v_add_co_ci_u32_e32 v10, vcc_lo, s17, v10, vcc_lo
	v_add_co_u32 v11, vcc_lo, s16, v11
	v_add_co_ci_u32_e32 v12, vcc_lo, s17, v12, vcc_lo
	;; [unrolled: 2-line block ×3, first 2 shown]
	s_clause 0x3
	global_load_b32 v3, v[9:10], off offset:12
	global_load_b32 v11, v[11:12], off
	global_load_b32 v12, v[13:14], off
	;; [unrolled: 1-line block ×3, first 2 shown]
	s_waitcnt vmcnt(3)
	v_mul_f32_e32 v9, v6, v3
	s_waitcnt vmcnt(2)
	v_mul_f32_e32 v10, v6, v11
	;; [unrolled: 2-line block ×4, first 2 shown]
	s_branch .LBB9_20
.LBB9_19:                               ;   in Loop: Header=BB9_20 Depth=2
	s_or_b32 exec_lo, exec_lo, s40
	v_add_nc_u32_e32 v2, 16, v2
	s_delay_alu instid0(VALU_DEP_1) | instskip(SKIP_1) | instid1(SALU_CYCLE_1)
	v_cmp_ge_i32_e32 vcc_lo, v2, v8
	s_or_b32 s39, vcc_lo, s39
	s_and_not1_b32 exec_lo, exec_lo, s39
	s_cbranch_execz .LBB9_16
.LBB9_20:                               ;   Parent Loop BB9_17 Depth=1
                                        ; =>  This Loop Header: Depth=2
                                        ;       Child Loop BB9_22 Depth 3
                                        ;       Child Loop BB9_34 Depth 3
	;; [unrolled: 1-line block ×4, first 2 shown]
	v_lshlrev_b32_e32 v13, 2, v2
	v_ashrrev_i32_e32 v3, 31, v2
	s_mov_b32 s40, 0
	s_delay_alu instid0(VALU_DEP_2) | instskip(NEXT) | instid1(VALU_DEP_2)
	v_or_b32_e32 v17, s37, v13
	v_lshlrev_b64 v[19:20], 2, v[2:3]
	v_or_b32_e32 v15, s36, v13
	v_ashrrev_i32_e32 v14, 31, v13
	s_delay_alu instid0(VALU_DEP_4) | instskip(NEXT) | instid1(VALU_DEP_4)
	v_ashrrev_i32_e32 v18, 31, v17
	v_add_co_u32 v19, vcc_lo, s28, v19
	v_add_co_ci_u32_e32 v20, vcc_lo, s29, v20, vcc_lo
	s_delay_alu instid0(VALU_DEP_3)
	v_lshlrev_b64 v[17:18], 2, v[17:18]
	v_ashrrev_i32_e32 v16, 31, v15
	v_lshlrev_b64 v[13:14], 2, v[13:14]
	global_load_b32 v3, v[19:20], off
	v_lshlrev_b64 v[15:16], 2, v[15:16]
	v_add_co_u32 v17, vcc_lo, s30, v17
	v_add_co_ci_u32_e32 v18, vcc_lo, s31, v18, vcc_lo
	v_add_co_u32 v13, vcc_lo, s30, v13
	v_add_co_ci_u32_e32 v14, vcc_lo, s31, v14, vcc_lo
	global_load_b32 v17, v[17:18], off
	v_add_co_u32 v15, vcc_lo, s30, v15
	v_add_co_ci_u32_e32 v16, vcc_lo, s31, v16, vcc_lo
	s_clause 0x2
	global_load_b32 v18, v[13:14], off
	global_load_b32 v15, v[15:16], off
	global_load_b32 v16, v[13:14], off offset:12
	s_waitcnt vmcnt(4)
	v_subrev_nc_u32_e32 v13, s21, v3
	s_delay_alu instid0(VALU_DEP_1) | instskip(SKIP_1) | instid1(VALU_DEP_1)
	v_lshl_add_u32 v3, v13, 3, v13
	s_waitcnt vmcnt(3)
	v_dual_mul_f32 v19, v11, v17 :: v_dual_and_b32 v14, 0x7f, v3
	s_waitcnt vmcnt(2)
	s_delay_alu instid0(VALU_DEP_1)
	v_dual_mov_b32 v20, v14 :: v_dual_fmac_f32 v19, v12, v18
	s_branch .LBB9_22
.LBB9_21:                               ;   in Loop: Header=BB9_22 Depth=3
	s_or_b32 exec_lo, exec_lo, s41
	s_xor_b32 s41, s42, -1
	s_delay_alu instid0(SALU_CYCLE_1) | instskip(NEXT) | instid1(SALU_CYCLE_1)
	s_and_b32 s41, exec_lo, s41
	s_or_b32 s40, s41, s40
	s_delay_alu instid0(SALU_CYCLE_1)
	s_and_not1_b32 exec_lo, exec_lo, s40
	s_cbranch_execz .LBB9_32
.LBB9_22:                               ;   Parent Loop BB9_17 Depth=1
                                        ;     Parent Loop BB9_20 Depth=2
                                        ; =>    This Inner Loop Header: Depth=3
	s_delay_alu instid0(VALU_DEP_1)
	v_lshl_add_u32 v3, v20, 2, 0
	s_mov_b32 s41, exec_lo
                                        ; implicit-def: $sgpr42
	ds_load_b32 v21, v3
	s_waitcnt lgkmcnt(0)
	v_cmpx_ne_u32_e64 v21, v13
	s_xor_b32 s41, exec_lo, s41
	s_cbranch_execz .LBB9_30
; %bb.23:                               ;   in Loop: Header=BB9_22 Depth=3
	s_mov_b32 s43, exec_lo
                                        ; implicit-def: $sgpr42
	v_cmpx_ne_u32_e64 s3, v21
	s_xor_b32 s43, exec_lo, s43
; %bb.24:                               ;   in Loop: Header=BB9_22 Depth=3
	v_add_nc_u32_e32 v3, 1, v20
	s_mov_b32 s42, -1
	s_delay_alu instid0(VALU_DEP_1)
	v_and_b32_e32 v20, 0x7f, v3
                                        ; implicit-def: $vgpr3
; %bb.25:                               ;   in Loop: Header=BB9_22 Depth=3
	s_and_not1_saveexec_b32 s43, s43
	s_cbranch_execz .LBB9_29
; %bb.26:                               ;   in Loop: Header=BB9_22 Depth=3
	v_mov_b32_e32 v21, s3
	s_mov_b32 s44, -1
	s_mov_b32 s45, exec_lo
	ds_cmpstore_rtn_b32 v21, v3, v13, v21
	s_waitcnt lgkmcnt(0)
	v_cmpx_eq_u32_e64 s3, v21
	s_cbranch_execz .LBB9_28
; %bb.27:                               ;   in Loop: Header=BB9_22 Depth=3
	v_mad_u64_u32 v[21:22], null, v20, 12, v[3:4]
	s_xor_b32 s44, exec_lo, -1
	ds_add_f32 v21, v19 offset:512
.LBB9_28:                               ;   in Loop: Header=BB9_22 Depth=3
	s_or_b32 exec_lo, exec_lo, s45
	s_delay_alu instid0(SALU_CYCLE_1) | instskip(SKIP_1) | instid1(SALU_CYCLE_1)
	s_and_not1_b32 s42, s42, exec_lo
	s_and_b32 s44, s44, exec_lo
	s_or_b32 s42, s42, s44
.LBB9_29:                               ;   in Loop: Header=BB9_22 Depth=3
	s_or_b32 exec_lo, exec_lo, s43
	s_delay_alu instid0(SALU_CYCLE_1)
	s_and_b32 s42, s42, exec_lo
                                        ; implicit-def: $vgpr3
.LBB9_30:                               ;   in Loop: Header=BB9_22 Depth=3
	s_and_not1_saveexec_b32 s41, s41
	s_cbranch_execz .LBB9_21
; %bb.31:                               ;   in Loop: Header=BB9_22 Depth=3
	v_mad_u64_u32 v[21:22], null, v20, 12, v[3:4]
	s_and_not1_b32 s42, s42, exec_lo
	ds_add_f32 v21, v19 offset:512
	s_branch .LBB9_21
.LBB9_32:                               ;   in Loop: Header=BB9_20 Depth=2
	s_or_b32 exec_lo, exec_lo, s40
	s_waitcnt vmcnt(0)
	v_dual_mul_f32 v19, v11, v16 :: v_dual_mov_b32 v20, v14
	s_mov_b32 s40, 0
	s_delay_alu instid0(VALU_DEP_1)
	v_fmac_f32_e32 v19, v12, v15
	s_branch .LBB9_34
.LBB9_33:                               ;   in Loop: Header=BB9_34 Depth=3
	s_or_b32 exec_lo, exec_lo, s41
	s_xor_b32 s41, s42, -1
	s_delay_alu instid0(SALU_CYCLE_1) | instskip(NEXT) | instid1(SALU_CYCLE_1)
	s_and_b32 s41, exec_lo, s41
	s_or_b32 s40, s41, s40
	s_delay_alu instid0(SALU_CYCLE_1)
	s_and_not1_b32 exec_lo, exec_lo, s40
	s_cbranch_execz .LBB9_44
.LBB9_34:                               ;   Parent Loop BB9_17 Depth=1
                                        ;     Parent Loop BB9_20 Depth=2
                                        ; =>    This Inner Loop Header: Depth=3
	s_delay_alu instid0(VALU_DEP_2)
	v_lshl_add_u32 v3, v20, 2, 0
	s_mov_b32 s41, exec_lo
                                        ; implicit-def: $sgpr42
	ds_load_b32 v21, v3
	s_waitcnt lgkmcnt(0)
	v_cmpx_ne_u32_e64 v21, v13
	s_xor_b32 s41, exec_lo, s41
	s_cbranch_execz .LBB9_42
; %bb.35:                               ;   in Loop: Header=BB9_34 Depth=3
	s_mov_b32 s43, exec_lo
                                        ; implicit-def: $sgpr42
	v_cmpx_ne_u32_e64 s3, v21
	s_xor_b32 s43, exec_lo, s43
; %bb.36:                               ;   in Loop: Header=BB9_34 Depth=3
	v_add_nc_u32_e32 v3, 1, v20
	s_mov_b32 s42, -1
	s_delay_alu instid0(VALU_DEP_1)
	v_and_b32_e32 v20, 0x7f, v3
                                        ; implicit-def: $vgpr3
; %bb.37:                               ;   in Loop: Header=BB9_34 Depth=3
	s_and_not1_saveexec_b32 s43, s43
	s_cbranch_execz .LBB9_41
; %bb.38:                               ;   in Loop: Header=BB9_34 Depth=3
	v_mov_b32_e32 v21, s3
	s_mov_b32 s44, -1
	s_mov_b32 s45, exec_lo
	ds_cmpstore_rtn_b32 v21, v3, v13, v21
	s_waitcnt lgkmcnt(0)
	v_cmpx_eq_u32_e64 s3, v21
	s_cbranch_execz .LBB9_40
; %bb.39:                               ;   in Loop: Header=BB9_34 Depth=3
	v_mad_u64_u32 v[21:22], null, v20, 12, v[3:4]
	s_xor_b32 s44, exec_lo, -1
	ds_add_f32 v21, v19 offset:516
.LBB9_40:                               ;   in Loop: Header=BB9_34 Depth=3
	s_or_b32 exec_lo, exec_lo, s45
	s_delay_alu instid0(SALU_CYCLE_1) | instskip(SKIP_1) | instid1(SALU_CYCLE_1)
	s_and_not1_b32 s42, s42, exec_lo
	s_and_b32 s44, s44, exec_lo
	s_or_b32 s42, s42, s44
.LBB9_41:                               ;   in Loop: Header=BB9_34 Depth=3
	s_or_b32 exec_lo, exec_lo, s43
	s_delay_alu instid0(SALU_CYCLE_1)
	s_and_b32 s42, s42, exec_lo
                                        ; implicit-def: $vgpr3
.LBB9_42:                               ;   in Loop: Header=BB9_34 Depth=3
	s_and_not1_saveexec_b32 s41, s41
	s_cbranch_execz .LBB9_33
; %bb.43:                               ;   in Loop: Header=BB9_34 Depth=3
	v_mad_u64_u32 v[21:22], null, v20, 12, v[3:4]
	s_and_not1_b32 s42, s42, exec_lo
	ds_add_f32 v21, v19 offset:516
	s_branch .LBB9_33
.LBB9_44:                               ;   in Loop: Header=BB9_20 Depth=2
	s_or_b32 exec_lo, exec_lo, s40
	v_mul_f32_e32 v17, v9, v17
	s_mov_b32 s40, 0
	s_delay_alu instid0(VALU_DEP_1)
	v_fmac_f32_e32 v17, v10, v18
	v_mov_b32_e32 v18, v14
	s_branch .LBB9_46
.LBB9_45:                               ;   in Loop: Header=BB9_46 Depth=3
	s_or_b32 exec_lo, exec_lo, s41
	s_xor_b32 s41, s42, -1
	s_delay_alu instid0(SALU_CYCLE_1) | instskip(NEXT) | instid1(SALU_CYCLE_1)
	s_and_b32 s41, exec_lo, s41
	s_or_b32 s40, s41, s40
	s_delay_alu instid0(SALU_CYCLE_1)
	s_and_not1_b32 exec_lo, exec_lo, s40
	s_cbranch_execz .LBB9_56
.LBB9_46:                               ;   Parent Loop BB9_17 Depth=1
                                        ;     Parent Loop BB9_20 Depth=2
                                        ; =>    This Inner Loop Header: Depth=3
	s_delay_alu instid0(VALU_DEP_1)
	v_lshl_add_u32 v3, v18, 2, 0
	s_mov_b32 s41, exec_lo
                                        ; implicit-def: $sgpr42
	ds_load_b32 v19, v3
	s_waitcnt lgkmcnt(0)
	v_cmpx_ne_u32_e64 v19, v13
	s_xor_b32 s41, exec_lo, s41
	s_cbranch_execz .LBB9_54
; %bb.47:                               ;   in Loop: Header=BB9_46 Depth=3
	s_mov_b32 s43, exec_lo
                                        ; implicit-def: $sgpr42
	v_cmpx_ne_u32_e64 s3, v19
	s_xor_b32 s43, exec_lo, s43
; %bb.48:                               ;   in Loop: Header=BB9_46 Depth=3
	v_add_nc_u32_e32 v3, 1, v18
	s_mov_b32 s42, -1
	s_delay_alu instid0(VALU_DEP_1)
	v_and_b32_e32 v18, 0x7f, v3
                                        ; implicit-def: $vgpr3
; %bb.49:                               ;   in Loop: Header=BB9_46 Depth=3
	s_and_not1_saveexec_b32 s43, s43
	s_cbranch_execz .LBB9_53
; %bb.50:                               ;   in Loop: Header=BB9_46 Depth=3
	v_mov_b32_e32 v19, s3
	s_mov_b32 s44, -1
	s_mov_b32 s45, exec_lo
	ds_cmpstore_rtn_b32 v19, v3, v13, v19
	s_waitcnt lgkmcnt(0)
	v_cmpx_eq_u32_e64 s3, v19
	s_cbranch_execz .LBB9_52
; %bb.51:                               ;   in Loop: Header=BB9_46 Depth=3
	v_mad_u64_u32 v[19:20], null, v18, 12, v[3:4]
	s_xor_b32 s44, exec_lo, -1
	ds_add_f32 v19, v17 offset:520
.LBB9_52:                               ;   in Loop: Header=BB9_46 Depth=3
	s_or_b32 exec_lo, exec_lo, s45
	s_delay_alu instid0(SALU_CYCLE_1) | instskip(SKIP_1) | instid1(SALU_CYCLE_1)
	s_and_not1_b32 s42, s42, exec_lo
	s_and_b32 s44, s44, exec_lo
	s_or_b32 s42, s42, s44
.LBB9_53:                               ;   in Loop: Header=BB9_46 Depth=3
	s_or_b32 exec_lo, exec_lo, s43
	s_delay_alu instid0(SALU_CYCLE_1)
	s_and_b32 s42, s42, exec_lo
                                        ; implicit-def: $vgpr3
.LBB9_54:                               ;   in Loop: Header=BB9_46 Depth=3
	s_and_not1_saveexec_b32 s41, s41
	s_cbranch_execz .LBB9_45
; %bb.55:                               ;   in Loop: Header=BB9_46 Depth=3
	v_mad_u64_u32 v[19:20], null, v18, 12, v[3:4]
	s_and_not1_b32 s42, s42, exec_lo
	ds_add_f32 v19, v17 offset:520
	s_branch .LBB9_45
.LBB9_56:                               ;   in Loop: Header=BB9_20 Depth=2
	s_or_b32 exec_lo, exec_lo, s40
	v_mul_f32_e32 v16, v9, v16
	s_mov_b32 s40, 0
	s_delay_alu instid0(VALU_DEP_1)
	v_fmac_f32_e32 v16, v10, v15
	s_branch .LBB9_58
.LBB9_57:                               ;   in Loop: Header=BB9_58 Depth=3
	s_or_b32 exec_lo, exec_lo, s41
	s_xor_b32 s41, s42, -1
	s_delay_alu instid0(SALU_CYCLE_1) | instskip(NEXT) | instid1(SALU_CYCLE_1)
	s_and_b32 s41, exec_lo, s41
	s_or_b32 s40, s41, s40
	s_delay_alu instid0(SALU_CYCLE_1)
	s_and_not1_b32 exec_lo, exec_lo, s40
	s_cbranch_execz .LBB9_19
.LBB9_58:                               ;   Parent Loop BB9_17 Depth=1
                                        ;     Parent Loop BB9_20 Depth=2
                                        ; =>    This Inner Loop Header: Depth=3
	v_lshl_add_u32 v3, v14, 2, 0
	s_mov_b32 s41, exec_lo
                                        ; implicit-def: $sgpr42
	ds_load_b32 v15, v3
	s_waitcnt lgkmcnt(0)
	v_cmpx_ne_u32_e64 v15, v13
	s_xor_b32 s41, exec_lo, s41
	s_cbranch_execz .LBB9_66
; %bb.59:                               ;   in Loop: Header=BB9_58 Depth=3
	s_mov_b32 s43, exec_lo
                                        ; implicit-def: $sgpr42
	v_cmpx_ne_u32_e64 s3, v15
	s_xor_b32 s43, exec_lo, s43
; %bb.60:                               ;   in Loop: Header=BB9_58 Depth=3
	v_add_nc_u32_e32 v3, 1, v14
	s_mov_b32 s42, -1
	s_delay_alu instid0(VALU_DEP_1)
	v_and_b32_e32 v14, 0x7f, v3
                                        ; implicit-def: $vgpr3
; %bb.61:                               ;   in Loop: Header=BB9_58 Depth=3
	s_and_not1_saveexec_b32 s43, s43
	s_cbranch_execz .LBB9_65
; %bb.62:                               ;   in Loop: Header=BB9_58 Depth=3
	v_mov_b32_e32 v15, s3
	s_mov_b32 s44, -1
	s_mov_b32 s45, exec_lo
	ds_cmpstore_rtn_b32 v15, v3, v13, v15
	s_waitcnt lgkmcnt(0)
	v_cmpx_eq_u32_e64 s3, v15
	s_cbranch_execz .LBB9_64
; %bb.63:                               ;   in Loop: Header=BB9_58 Depth=3
	v_mad_u64_u32 v[17:18], null, v14, 12, v[3:4]
	s_xor_b32 s44, exec_lo, -1
	ds_add_f32 v17, v16 offset:524
.LBB9_64:                               ;   in Loop: Header=BB9_58 Depth=3
	s_or_b32 exec_lo, exec_lo, s45
	s_delay_alu instid0(SALU_CYCLE_1) | instskip(SKIP_1) | instid1(SALU_CYCLE_1)
	s_and_not1_b32 s42, s42, exec_lo
	s_and_b32 s44, s44, exec_lo
	s_or_b32 s42, s42, s44
.LBB9_65:                               ;   in Loop: Header=BB9_58 Depth=3
	s_or_b32 exec_lo, exec_lo, s43
	s_delay_alu instid0(SALU_CYCLE_1)
	s_and_b32 s42, s42, exec_lo
                                        ; implicit-def: $vgpr3
.LBB9_66:                               ;   in Loop: Header=BB9_58 Depth=3
	s_and_not1_saveexec_b32 s41, s41
	s_cbranch_execz .LBB9_57
; %bb.67:                               ;   in Loop: Header=BB9_58 Depth=3
	v_mad_u64_u32 v[17:18], null, v14, 12, v[3:4]
	s_and_not1_b32 s42, s42, exec_lo
	ds_add_f32 v17, v16 offset:524
	s_branch .LBB9_57
.LBB9_68:
	s_or_b32 exec_lo, exec_lo, s12
.LBB9_69:
	s_delay_alu instid0(SALU_CYCLE_1)
	s_and_not1_b32 vcc_lo, exec_lo, s33
	s_waitcnt lgkmcnt(0)
	s_barrier
	buffer_gl0_inv
	s_cbranch_vccnz .LBB9_122
; %bb.70:
	s_lshl_b64 s[12:13], s[34:35], 2
	v_subrev_nc_u32_e32 v1, s23, v0
	s_add_u32 s4, s4, s12
	s_addc_u32 s5, s5, s13
	s_load_b64 s[4:5], s[4:5], 0x0
	s_waitcnt lgkmcnt(0)
	v_add_nc_u32_e32 v1, s4, v1
	s_sub_i32 s1, s5, s23
	s_mov_b32 s4, exec_lo
	s_delay_alu instid0(VALU_DEP_1)
	v_cmpx_gt_i32_e64 s1, v1
	s_cbranch_execz .LBB9_121
; %bb.71:
	s_cmp_eq_u32 s0, 0
	s_mov_b32 s5, 0
	s_cselect_b32 s12, 1, 2
	s_cselect_b32 s13, 2, 1
	s_branch .LBB9_73
.LBB9_72:                               ;   in Loop: Header=BB9_73 Depth=1
	s_or_b32 exec_lo, exec_lo, s14
	v_add_nc_u32_e32 v1, 0x100, v1
	s_delay_alu instid0(VALU_DEP_1) | instskip(SKIP_1) | instid1(SALU_CYCLE_1)
	v_cmp_le_i32_e32 vcc_lo, s1, v1
	s_or_b32 s5, vcc_lo, s5
	s_and_not1_b32 exec_lo, exec_lo, s5
	s_cbranch_execz .LBB9_121
.LBB9_73:                               ; =>This Loop Header: Depth=1
                                        ;     Child Loop BB9_75 Depth 2
                                        ;     Child Loop BB9_87 Depth 2
                                        ;     Child Loop BB9_99 Depth 2
                                        ;     Child Loop BB9_111 Depth 2
	v_ashrrev_i32_e32 v2, 31, v1
	v_lshlrev_b32_e32 v6, 2, v1
	s_mov_b32 s14, 0
	s_delay_alu instid0(VALU_DEP_2) | instskip(NEXT) | instid1(VALU_DEP_2)
	v_lshlrev_b64 v[2:3], 2, v[1:2]
	v_or_b32_e32 v8, s13, v6
	v_ashrrev_i32_e32 v7, 31, v6
	v_or_b32_e32 v10, s12, v6
	s_delay_alu instid0(VALU_DEP_3)
	v_ashrrev_i32_e32 v9, 31, v8
	v_add_co_u32 v2, vcc_lo, s6, v2
	v_add_co_ci_u32_e32 v3, vcc_lo, s7, v3, vcc_lo
	v_lshlrev_b64 v[6:7], 2, v[6:7]
	v_ashrrev_i32_e32 v11, 31, v10
	global_load_b32 v12, v[2:3], off
	v_lshlrev_b64 v[2:3], 2, v[8:9]
	v_add_co_u32 v6, vcc_lo, s8, v6
	v_lshlrev_b64 v[8:9], 2, v[10:11]
	v_add_co_ci_u32_e32 v7, vcc_lo, s9, v7, vcc_lo
	s_delay_alu instid0(VALU_DEP_4) | instskip(SKIP_1) | instid1(VALU_DEP_4)
	v_add_co_u32 v2, vcc_lo, s8, v2
	v_add_co_ci_u32_e32 v3, vcc_lo, s9, v3, vcc_lo
	v_add_co_u32 v10, vcc_lo, s8, v8
	global_load_b32 v13, v[6:7], off
	v_add_co_ci_u32_e32 v11, vcc_lo, s9, v9, vcc_lo
	s_clause 0x2
	global_load_b32 v8, v[2:3], off
	global_load_b32 v9, v[10:11], off
	global_load_b32 v7, v[6:7], off offset:12
	s_waitcnt vmcnt(4)
	v_subrev_nc_u32_e32 v3, s23, v12
	s_delay_alu instid0(VALU_DEP_1) | instskip(NEXT) | instid1(VALU_DEP_1)
	v_lshl_add_u32 v2, v3, 3, v3
	v_and_b32_e32 v6, 0x7f, v2
	s_waitcnt vmcnt(3)
	s_delay_alu instid0(VALU_DEP_1)
	v_dual_mul_f32 v10, v5, v13 :: v_dual_mov_b32 v11, v6
	s_branch .LBB9_75
.LBB9_74:                               ;   in Loop: Header=BB9_75 Depth=2
	s_or_b32 exec_lo, exec_lo, s15
	s_xor_b32 s15, s16, -1
	s_delay_alu instid0(SALU_CYCLE_1) | instskip(NEXT) | instid1(SALU_CYCLE_1)
	s_and_b32 s15, exec_lo, s15
	s_or_b32 s14, s15, s14
	s_delay_alu instid0(SALU_CYCLE_1)
	s_and_not1_b32 exec_lo, exec_lo, s14
	s_cbranch_execz .LBB9_85
.LBB9_75:                               ;   Parent Loop BB9_73 Depth=1
                                        ; =>  This Inner Loop Header: Depth=2
	s_delay_alu instid0(VALU_DEP_1)
	v_lshl_add_u32 v2, v11, 2, 0
	s_mov_b32 s15, exec_lo
                                        ; implicit-def: $sgpr16
	ds_load_b32 v12, v2
	s_waitcnt lgkmcnt(0)
	v_cmpx_ne_u32_e64 v12, v3
	s_xor_b32 s15, exec_lo, s15
	s_cbranch_execz .LBB9_83
; %bb.76:                               ;   in Loop: Header=BB9_75 Depth=2
	s_mov_b32 s17, exec_lo
                                        ; implicit-def: $sgpr16
	v_cmpx_ne_u32_e64 s3, v12
	s_xor_b32 s17, exec_lo, s17
; %bb.77:                               ;   in Loop: Header=BB9_75 Depth=2
	v_add_nc_u32_e32 v2, 1, v11
	s_mov_b32 s16, -1
	s_delay_alu instid0(VALU_DEP_1)
	v_and_b32_e32 v11, 0x7f, v2
                                        ; implicit-def: $vgpr2
; %bb.78:                               ;   in Loop: Header=BB9_75 Depth=2
	s_and_not1_saveexec_b32 s17, s17
	s_cbranch_execz .LBB9_82
; %bb.79:                               ;   in Loop: Header=BB9_75 Depth=2
	v_mov_b32_e32 v12, s3
	s_mov_b32 s18, -1
	s_mov_b32 s19, exec_lo
	ds_cmpstore_rtn_b32 v12, v2, v3, v12
	s_waitcnt lgkmcnt(0)
	v_cmpx_eq_u32_e64 s3, v12
	s_cbranch_execz .LBB9_81
; %bb.80:                               ;   in Loop: Header=BB9_75 Depth=2
	v_mad_u64_u32 v[12:13], null, v11, 12, v[2:3]
	s_xor_b32 s18, exec_lo, -1
	ds_add_f32 v12, v10 offset:512
.LBB9_81:                               ;   in Loop: Header=BB9_75 Depth=2
	s_or_b32 exec_lo, exec_lo, s19
	s_delay_alu instid0(SALU_CYCLE_1) | instskip(SKIP_1) | instid1(SALU_CYCLE_1)
	s_and_not1_b32 s16, s16, exec_lo
	s_and_b32 s18, s18, exec_lo
	s_or_b32 s16, s16, s18
.LBB9_82:                               ;   in Loop: Header=BB9_75 Depth=2
	s_or_b32 exec_lo, exec_lo, s17
	s_delay_alu instid0(SALU_CYCLE_1)
	s_and_b32 s16, s16, exec_lo
                                        ; implicit-def: $vgpr2
.LBB9_83:                               ;   in Loop: Header=BB9_75 Depth=2
	s_and_not1_saveexec_b32 s15, s15
	s_cbranch_execz .LBB9_74
; %bb.84:                               ;   in Loop: Header=BB9_75 Depth=2
	v_mad_u64_u32 v[12:13], null, v11, 12, v[2:3]
	s_and_not1_b32 s16, s16, exec_lo
	ds_add_f32 v12, v10 offset:512
	s_branch .LBB9_74
.LBB9_85:                               ;   in Loop: Header=BB9_73 Depth=1
	s_or_b32 exec_lo, exec_lo, s14
	s_waitcnt vmcnt(1)
	v_dual_mul_f32 v9, v5, v9 :: v_dual_mov_b32 v10, v6
	s_mov_b32 s14, 0
	s_branch .LBB9_87
.LBB9_86:                               ;   in Loop: Header=BB9_87 Depth=2
	s_or_b32 exec_lo, exec_lo, s15
	s_xor_b32 s15, s16, -1
	s_delay_alu instid0(SALU_CYCLE_1) | instskip(NEXT) | instid1(SALU_CYCLE_1)
	s_and_b32 s15, exec_lo, s15
	s_or_b32 s14, s15, s14
	s_delay_alu instid0(SALU_CYCLE_1)
	s_and_not1_b32 exec_lo, exec_lo, s14
	s_cbranch_execz .LBB9_97
.LBB9_87:                               ;   Parent Loop BB9_73 Depth=1
                                        ; =>  This Inner Loop Header: Depth=2
	s_delay_alu instid0(VALU_DEP_1)
	v_lshl_add_u32 v2, v10, 2, 0
	s_mov_b32 s15, exec_lo
                                        ; implicit-def: $sgpr16
	ds_load_b32 v11, v2
	s_waitcnt lgkmcnt(0)
	v_cmpx_ne_u32_e64 v11, v3
	s_xor_b32 s15, exec_lo, s15
	s_cbranch_execz .LBB9_95
; %bb.88:                               ;   in Loop: Header=BB9_87 Depth=2
	s_mov_b32 s17, exec_lo
                                        ; implicit-def: $sgpr16
	v_cmpx_ne_u32_e64 s3, v11
	s_xor_b32 s17, exec_lo, s17
; %bb.89:                               ;   in Loop: Header=BB9_87 Depth=2
	v_add_nc_u32_e32 v2, 1, v10
	s_mov_b32 s16, -1
	s_delay_alu instid0(VALU_DEP_1)
	v_and_b32_e32 v10, 0x7f, v2
                                        ; implicit-def: $vgpr2
; %bb.90:                               ;   in Loop: Header=BB9_87 Depth=2
	s_and_not1_saveexec_b32 s17, s17
	s_cbranch_execz .LBB9_94
; %bb.91:                               ;   in Loop: Header=BB9_87 Depth=2
	v_mov_b32_e32 v11, s3
	s_mov_b32 s18, -1
	s_mov_b32 s19, exec_lo
	ds_cmpstore_rtn_b32 v11, v2, v3, v11
	s_waitcnt lgkmcnt(0)
	v_cmpx_eq_u32_e64 s3, v11
	s_cbranch_execz .LBB9_93
; %bb.92:                               ;   in Loop: Header=BB9_87 Depth=2
	v_mad_u64_u32 v[11:12], null, v10, 12, v[2:3]
	s_xor_b32 s18, exec_lo, -1
	ds_add_f32 v11, v9 offset:516
.LBB9_93:                               ;   in Loop: Header=BB9_87 Depth=2
	s_or_b32 exec_lo, exec_lo, s19
	s_delay_alu instid0(SALU_CYCLE_1) | instskip(SKIP_1) | instid1(SALU_CYCLE_1)
	s_and_not1_b32 s16, s16, exec_lo
	s_and_b32 s18, s18, exec_lo
	s_or_b32 s16, s16, s18
.LBB9_94:                               ;   in Loop: Header=BB9_87 Depth=2
	s_or_b32 exec_lo, exec_lo, s17
	s_delay_alu instid0(SALU_CYCLE_1)
	s_and_b32 s16, s16, exec_lo
                                        ; implicit-def: $vgpr2
.LBB9_95:                               ;   in Loop: Header=BB9_87 Depth=2
	s_and_not1_saveexec_b32 s15, s15
	s_cbranch_execz .LBB9_86
; %bb.96:                               ;   in Loop: Header=BB9_87 Depth=2
	v_mad_u64_u32 v[11:12], null, v10, 12, v[2:3]
	s_and_not1_b32 s16, s16, exec_lo
	ds_add_f32 v11, v9 offset:516
	s_branch .LBB9_86
.LBB9_97:                               ;   in Loop: Header=BB9_73 Depth=1
	s_or_b32 exec_lo, exec_lo, s14
	v_dual_mul_f32 v8, v5, v8 :: v_dual_mov_b32 v9, v6
	s_mov_b32 s14, 0
	s_branch .LBB9_99
.LBB9_98:                               ;   in Loop: Header=BB9_99 Depth=2
	s_or_b32 exec_lo, exec_lo, s15
	s_xor_b32 s15, s16, -1
	s_delay_alu instid0(SALU_CYCLE_1) | instskip(NEXT) | instid1(SALU_CYCLE_1)
	s_and_b32 s15, exec_lo, s15
	s_or_b32 s14, s15, s14
	s_delay_alu instid0(SALU_CYCLE_1)
	s_and_not1_b32 exec_lo, exec_lo, s14
	s_cbranch_execz .LBB9_109
.LBB9_99:                               ;   Parent Loop BB9_73 Depth=1
                                        ; =>  This Inner Loop Header: Depth=2
	s_delay_alu instid0(VALU_DEP_1)
	v_lshl_add_u32 v2, v9, 2, 0
	s_mov_b32 s15, exec_lo
                                        ; implicit-def: $sgpr16
	ds_load_b32 v10, v2
	s_waitcnt lgkmcnt(0)
	v_cmpx_ne_u32_e64 v10, v3
	s_xor_b32 s15, exec_lo, s15
	s_cbranch_execz .LBB9_107
; %bb.100:                              ;   in Loop: Header=BB9_99 Depth=2
	s_mov_b32 s17, exec_lo
                                        ; implicit-def: $sgpr16
	v_cmpx_ne_u32_e64 s3, v10
	s_xor_b32 s17, exec_lo, s17
; %bb.101:                              ;   in Loop: Header=BB9_99 Depth=2
	v_add_nc_u32_e32 v2, 1, v9
	s_mov_b32 s16, -1
	s_delay_alu instid0(VALU_DEP_1)
	v_and_b32_e32 v9, 0x7f, v2
                                        ; implicit-def: $vgpr2
; %bb.102:                              ;   in Loop: Header=BB9_99 Depth=2
	s_and_not1_saveexec_b32 s17, s17
	s_cbranch_execz .LBB9_106
; %bb.103:                              ;   in Loop: Header=BB9_99 Depth=2
	v_mov_b32_e32 v10, s3
	s_mov_b32 s18, -1
	s_mov_b32 s19, exec_lo
	ds_cmpstore_rtn_b32 v10, v2, v3, v10
	s_waitcnt lgkmcnt(0)
	v_cmpx_eq_u32_e64 s3, v10
	s_cbranch_execz .LBB9_105
; %bb.104:                              ;   in Loop: Header=BB9_99 Depth=2
	v_mad_u64_u32 v[10:11], null, v9, 12, v[2:3]
	s_xor_b32 s18, exec_lo, -1
	ds_add_f32 v10, v8 offset:520
.LBB9_105:                              ;   in Loop: Header=BB9_99 Depth=2
	s_or_b32 exec_lo, exec_lo, s19
	s_delay_alu instid0(SALU_CYCLE_1) | instskip(SKIP_1) | instid1(SALU_CYCLE_1)
	s_and_not1_b32 s16, s16, exec_lo
	s_and_b32 s18, s18, exec_lo
	s_or_b32 s16, s16, s18
.LBB9_106:                              ;   in Loop: Header=BB9_99 Depth=2
	s_or_b32 exec_lo, exec_lo, s17
	s_delay_alu instid0(SALU_CYCLE_1)
	s_and_b32 s16, s16, exec_lo
                                        ; implicit-def: $vgpr2
.LBB9_107:                              ;   in Loop: Header=BB9_99 Depth=2
	s_and_not1_saveexec_b32 s15, s15
	s_cbranch_execz .LBB9_98
; %bb.108:                              ;   in Loop: Header=BB9_99 Depth=2
	v_mad_u64_u32 v[10:11], null, v9, 12, v[2:3]
	s_and_not1_b32 s16, s16, exec_lo
	ds_add_f32 v10, v8 offset:520
	s_branch .LBB9_98
.LBB9_109:                              ;   in Loop: Header=BB9_73 Depth=1
	s_or_b32 exec_lo, exec_lo, s14
	s_waitcnt vmcnt(0)
	v_mul_f32_e32 v7, v5, v7
	s_mov_b32 s14, 0
	s_branch .LBB9_111
.LBB9_110:                              ;   in Loop: Header=BB9_111 Depth=2
	s_or_b32 exec_lo, exec_lo, s15
	s_xor_b32 s15, s16, -1
	s_delay_alu instid0(SALU_CYCLE_1) | instskip(NEXT) | instid1(SALU_CYCLE_1)
	s_and_b32 s15, exec_lo, s15
	s_or_b32 s14, s15, s14
	s_delay_alu instid0(SALU_CYCLE_1)
	s_and_not1_b32 exec_lo, exec_lo, s14
	s_cbranch_execz .LBB9_72
.LBB9_111:                              ;   Parent Loop BB9_73 Depth=1
                                        ; =>  This Inner Loop Header: Depth=2
	v_lshl_add_u32 v2, v6, 2, 0
	s_mov_b32 s15, exec_lo
                                        ; implicit-def: $sgpr16
	ds_load_b32 v8, v2
	s_waitcnt lgkmcnt(0)
	v_cmpx_ne_u32_e64 v8, v3
	s_xor_b32 s15, exec_lo, s15
	s_cbranch_execz .LBB9_119
; %bb.112:                              ;   in Loop: Header=BB9_111 Depth=2
	s_mov_b32 s17, exec_lo
                                        ; implicit-def: $sgpr16
	v_cmpx_ne_u32_e64 s3, v8
	s_xor_b32 s17, exec_lo, s17
; %bb.113:                              ;   in Loop: Header=BB9_111 Depth=2
	v_add_nc_u32_e32 v2, 1, v6
	s_mov_b32 s16, -1
	s_delay_alu instid0(VALU_DEP_1)
	v_and_b32_e32 v6, 0x7f, v2
                                        ; implicit-def: $vgpr2
; %bb.114:                              ;   in Loop: Header=BB9_111 Depth=2
	s_and_not1_saveexec_b32 s17, s17
	s_cbranch_execz .LBB9_118
; %bb.115:                              ;   in Loop: Header=BB9_111 Depth=2
	v_mov_b32_e32 v8, s3
	s_mov_b32 s18, -1
	s_mov_b32 s19, exec_lo
	ds_cmpstore_rtn_b32 v8, v2, v3, v8
	s_waitcnt lgkmcnt(0)
	v_cmpx_eq_u32_e64 s3, v8
	s_cbranch_execz .LBB9_117
; %bb.116:                              ;   in Loop: Header=BB9_111 Depth=2
	v_mad_u64_u32 v[8:9], null, v6, 12, v[2:3]
	s_xor_b32 s18, exec_lo, -1
	ds_add_f32 v8, v7 offset:524
.LBB9_117:                              ;   in Loop: Header=BB9_111 Depth=2
	s_or_b32 exec_lo, exec_lo, s19
	s_delay_alu instid0(SALU_CYCLE_1) | instskip(SKIP_1) | instid1(SALU_CYCLE_1)
	s_and_not1_b32 s16, s16, exec_lo
	s_and_b32 s18, s18, exec_lo
	s_or_b32 s16, s16, s18
.LBB9_118:                              ;   in Loop: Header=BB9_111 Depth=2
	s_or_b32 exec_lo, exec_lo, s17
	s_delay_alu instid0(SALU_CYCLE_1)
	s_and_b32 s16, s16, exec_lo
                                        ; implicit-def: $vgpr2
.LBB9_119:                              ;   in Loop: Header=BB9_111 Depth=2
	s_and_not1_saveexec_b32 s15, s15
	s_cbranch_execz .LBB9_110
; %bb.120:                              ;   in Loop: Header=BB9_111 Depth=2
	v_mad_u64_u32 v[8:9], null, v6, 12, v[2:3]
	s_and_not1_b32 s16, s16, exec_lo
	ds_add_f32 v8, v7 offset:524
	s_branch .LBB9_110
.LBB9_121:
	s_or_b32 exec_lo, exec_lo, s4
.LBB9_122:
	s_waitcnt lgkmcnt(0)
	s_barrier
	buffer_gl0_inv
	s_and_saveexec_b32 s1, s2
	s_cbranch_execz .LBB9_125
; %bb.123:
	ds_load_b32 v1, v4
	s_waitcnt lgkmcnt(0)
	v_cmp_gt_i32_e32 vcc_lo, s3, v1
	s_and_b32 exec_lo, exec_lo, vcc_lo
	s_cbranch_execz .LBB9_125
; %bb.124:
	s_lshl_b64 s[2:3], s[34:35], 2
	v_mov_b32_e32 v2, 0
	s_add_u32 s2, s10, s2
	s_addc_u32 s3, s11, s3
	s_load_b32 s1, s[2:3], 0x0
	ds_load_2addr_b32 v[3:4], v2 offset1:1
	ds_load_2addr_b32 v[5:6], v2 offset0:2 offset1:3
	ds_load_2addr_b32 v[7:8], v2 offset0:4 offset1:5
	ds_load_2addr_b32 v[9:10], v2 offset0:6 offset1:7
	ds_load_2addr_b32 v[11:12], v2 offset0:8 offset1:9
	ds_load_2addr_b32 v[13:14], v2 offset0:10 offset1:11
	ds_load_2addr_b32 v[15:16], v2 offset0:12 offset1:13
	ds_load_2addr_b32 v[17:18], v2 offset0:14 offset1:15
	ds_load_2addr_b32 v[19:20], v2 offset0:16 offset1:17
	ds_load_2addr_b32 v[21:22], v2 offset0:18 offset1:19
	ds_load_2addr_b32 v[23:24], v2 offset0:20 offset1:21
	ds_load_2addr_b32 v[25:26], v2 offset0:22 offset1:23
	ds_load_2addr_b32 v[27:28], v2 offset0:24 offset1:25
	ds_load_2addr_b32 v[29:30], v2 offset0:26 offset1:27
	ds_load_2addr_b32 v[31:32], v2 offset0:28 offset1:29
	ds_load_2addr_b32 v[33:34], v2 offset0:30 offset1:31
	ds_load_2addr_b32 v[35:36], v2 offset0:32 offset1:33
	ds_load_2addr_b32 v[37:38], v2 offset0:34 offset1:35
	s_waitcnt lgkmcnt(0)
	v_cmp_gt_i32_e32 vcc_lo, v1, v3
	v_cndmask_b32_e64 v3, 0, 1, vcc_lo
	v_cmp_gt_i32_e32 vcc_lo, v1, v5
	v_cndmask_b32_e64 v5, 0, 1, vcc_lo
	v_cmp_gt_i32_e32 vcc_lo, v1, v4
	s_sub_i32 s1, s1, s22
	s_cmp_eq_u32 s0, 0
	v_add_co_ci_u32_e32 v3, vcc_lo, s1, v3, vcc_lo
	v_cmp_gt_i32_e32 vcc_lo, v1, v7
	s_cselect_b32 s0, 2, 1
	s_cselect_b32 s1, 1, 2
	v_cndmask_b32_e64 v4, 0, 1, vcc_lo
	v_cmp_gt_i32_e32 vcc_lo, v1, v6
	v_add_co_ci_u32_e32 v3, vcc_lo, v3, v5, vcc_lo
	v_cmp_gt_i32_e32 vcc_lo, v1, v9
	v_cndmask_b32_e64 v5, 0, 1, vcc_lo
	v_cmp_gt_i32_e32 vcc_lo, v1, v8
	s_delay_alu instid0(VALU_DEP_4) | instskip(SKIP_3) | instid1(VALU_DEP_4)
	v_add_co_ci_u32_e32 v3, vcc_lo, v3, v4, vcc_lo
	v_cmp_gt_i32_e32 vcc_lo, v1, v11
	v_cndmask_b32_e64 v4, 0, 1, vcc_lo
	v_cmp_gt_i32_e32 vcc_lo, v1, v10
	v_add_co_ci_u32_e32 v3, vcc_lo, v3, v5, vcc_lo
	v_cmp_gt_i32_e32 vcc_lo, v1, v13
	v_cndmask_b32_e64 v5, 0, 1, vcc_lo
	v_cmp_gt_i32_e32 vcc_lo, v1, v12
	s_delay_alu instid0(VALU_DEP_4) | instskip(SKIP_3) | instid1(VALU_DEP_4)
	v_add_co_ci_u32_e32 v3, vcc_lo, v3, v4, vcc_lo
	v_cmp_gt_i32_e32 vcc_lo, v1, v15
	;; [unrolled: 9-line block ×6, first 2 shown]
	v_cndmask_b32_e64 v6, 0, 1, vcc_lo
	v_cmp_gt_i32_e32 vcc_lo, v1, v30
	v_add_co_ci_u32_e32 v5, vcc_lo, v3, v5, vcc_lo
	v_cmp_gt_i32_e32 vcc_lo, v1, v32
	ds_load_2addr_b32 v[3:4], v2 offset0:36 offset1:37
	v_add_co_ci_u32_e32 v7, vcc_lo, v5, v6, vcc_lo
	ds_load_2addr_b32 v[5:6], v2 offset0:38 offset1:39
	v_cmp_gt_i32_e32 vcc_lo, v1, v33
	v_cndmask_b32_e64 v8, 0, 1, vcc_lo
	v_cmp_gt_i32_e32 vcc_lo, v1, v35
	v_cndmask_b32_e64 v9, 0, 1, vcc_lo
	v_cmp_gt_i32_e32 vcc_lo, v1, v34
	s_delay_alu instid0(VALU_DEP_4) | instskip(SKIP_1) | instid1(VALU_DEP_2)
	v_add_co_ci_u32_e32 v7, vcc_lo, v7, v8, vcc_lo
	v_cmp_gt_i32_e32 vcc_lo, v1, v36
	v_add_co_ci_u32_e32 v9, vcc_lo, v7, v9, vcc_lo
	ds_load_2addr_b32 v[7:8], v2 offset0:40 offset1:41
	v_cmp_gt_i32_e32 vcc_lo, v1, v37
	v_cndmask_b32_e64 v10, 0, 1, vcc_lo
	v_cmp_gt_i32_e32 vcc_lo, v1, v38
	s_delay_alu instid0(VALU_DEP_2)
	v_add_co_ci_u32_e32 v11, vcc_lo, v9, v10, vcc_lo
	ds_load_2addr_b32 v[9:10], v2 offset0:42 offset1:43
	s_waitcnt lgkmcnt(3)
	v_cmp_gt_i32_e32 vcc_lo, v1, v3
	v_cndmask_b32_e64 v3, 0, 1, vcc_lo
	v_cmp_gt_i32_e32 vcc_lo, v1, v4
	s_delay_alu instid0(VALU_DEP_2)
	v_add_co_ci_u32_e32 v11, vcc_lo, v11, v3, vcc_lo
	s_waitcnt lgkmcnt(2)
	v_cmp_gt_i32_e32 vcc_lo, v1, v5
	ds_load_2addr_b32 v[3:4], v2 offset0:44 offset1:45
	v_cndmask_b32_e64 v5, 0, 1, vcc_lo
	v_cmp_gt_i32_e32 vcc_lo, v1, v6
	s_delay_alu instid0(VALU_DEP_2)
	v_add_co_ci_u32_e32 v11, vcc_lo, v11, v5, vcc_lo
	ds_load_2addr_b32 v[5:6], v2 offset0:46 offset1:47
	s_waitcnt lgkmcnt(3)
	v_cmp_gt_i32_e32 vcc_lo, v1, v7
	v_cndmask_b32_e64 v7, 0, 1, vcc_lo
	v_cmp_gt_i32_e32 vcc_lo, v1, v8
	s_delay_alu instid0(VALU_DEP_2)
	v_add_co_ci_u32_e32 v11, vcc_lo, v11, v7, vcc_lo
	ds_load_2addr_b32 v[7:8], v2 offset0:48 offset1:49
	s_waitcnt lgkmcnt(3)
	v_cmp_gt_i32_e32 vcc_lo, v1, v9
	v_cndmask_b32_e64 v9, 0, 1, vcc_lo
	v_cmp_gt_i32_e32 vcc_lo, v1, v10
	s_delay_alu instid0(VALU_DEP_2)
	v_add_co_ci_u32_e32 v11, vcc_lo, v11, v9, vcc_lo
	ds_load_2addr_b32 v[9:10], v2 offset0:50 offset1:51
	s_waitcnt lgkmcnt(3)
	v_cmp_gt_i32_e32 vcc_lo, v1, v3
	v_cndmask_b32_e64 v3, 0, 1, vcc_lo
	v_cmp_gt_i32_e32 vcc_lo, v1, v4
	s_delay_alu instid0(VALU_DEP_2)
	v_add_co_ci_u32_e32 v11, vcc_lo, v11, v3, vcc_lo
	s_waitcnt lgkmcnt(2)
	v_cmp_gt_i32_e32 vcc_lo, v1, v5
	ds_load_2addr_b32 v[3:4], v2 offset0:52 offset1:53
	v_cndmask_b32_e64 v5, 0, 1, vcc_lo
	v_cmp_gt_i32_e32 vcc_lo, v1, v6
	s_delay_alu instid0(VALU_DEP_2)
	v_add_co_ci_u32_e32 v11, vcc_lo, v11, v5, vcc_lo
	ds_load_2addr_b32 v[5:6], v2 offset0:54 offset1:55
	s_waitcnt lgkmcnt(3)
	v_cmp_gt_i32_e32 vcc_lo, v1, v7
	v_cndmask_b32_e64 v7, 0, 1, vcc_lo
	v_cmp_gt_i32_e32 vcc_lo, v1, v8
	s_delay_alu instid0(VALU_DEP_2)
	v_add_co_ci_u32_e32 v11, vcc_lo, v11, v7, vcc_lo
	ds_load_2addr_b32 v[7:8], v2 offset0:56 offset1:57
	s_waitcnt lgkmcnt(3)
	;; [unrolled: 28-line block ×10, first 2 shown]
	v_cmp_gt_i32_e32 vcc_lo, v1, v9
	v_cndmask_b32_e64 v9, 0, 1, vcc_lo
	v_cmp_gt_i32_e32 vcc_lo, v1, v10
	s_delay_alu instid0(VALU_DEP_2)
	v_add_co_ci_u32_e32 v11, vcc_lo, v11, v9, vcc_lo
	ds_load_2addr_b32 v[9:10], v2 offset0:122 offset1:123
	s_waitcnt lgkmcnt(3)
	v_cmp_gt_i32_e32 vcc_lo, v1, v3
	v_cndmask_b32_e64 v3, 0, 1, vcc_lo
	v_cmp_gt_i32_e32 vcc_lo, v1, v4
	s_delay_alu instid0(VALU_DEP_2)
	v_add_co_ci_u32_e32 v11, vcc_lo, v11, v3, vcc_lo
	s_waitcnt lgkmcnt(2)
	v_cmp_gt_i32_e32 vcc_lo, v1, v5
	ds_load_2addr_b32 v[3:4], v2 offset0:124 offset1:125
	v_cndmask_b32_e64 v5, 0, 1, vcc_lo
	v_cmp_gt_i32_e32 vcc_lo, v1, v6
	s_delay_alu instid0(VALU_DEP_2)
	v_add_co_ci_u32_e32 v11, vcc_lo, v11, v5, vcc_lo
	ds_load_2addr_b32 v[5:6], v2 offset0:126 offset1:127
	s_waitcnt lgkmcnt(3)
	v_cmp_gt_i32_e32 vcc_lo, v1, v7
	v_cndmask_b32_e64 v2, 0, 1, vcc_lo
	v_cmp_gt_i32_e32 vcc_lo, v1, v8
	s_delay_alu instid0(VALU_DEP_2)
	v_add_co_ci_u32_e32 v2, vcc_lo, v11, v2, vcc_lo
	s_waitcnt lgkmcnt(2)
	v_cmp_gt_i32_e32 vcc_lo, v1, v9
	v_cndmask_b32_e64 v7, 0, 1, vcc_lo
	v_cmp_gt_i32_e32 vcc_lo, v1, v10
	v_add_nc_u32_e32 v10, s22, v1
	s_delay_alu instid0(VALU_DEP_3)
	v_add_co_ci_u32_e32 v2, vcc_lo, v2, v7, vcc_lo
	s_waitcnt lgkmcnt(1)
	v_cmp_gt_i32_e32 vcc_lo, v1, v3
	v_cndmask_b32_e64 v3, 0, 1, vcc_lo
	v_cmp_gt_i32_e32 vcc_lo, v1, v4
	v_lshlrev_b32_e32 v4, 2, v0
	v_lshlrev_b32_e32 v0, 4, v0
	s_delay_alu instid0(VALU_DEP_4) | instskip(SKIP_4) | instid1(VALU_DEP_2)
	v_add_co_ci_u32_e32 v2, vcc_lo, v2, v3, vcc_lo
	s_waitcnt lgkmcnt(0)
	v_cmp_gt_i32_e32 vcc_lo, v1, v5
	v_cndmask_b32_e64 v3, 0, 1, vcc_lo
	v_cmp_gt_i32_e32 vcc_lo, v1, v6
	v_add_co_ci_u32_e32 v6, vcc_lo, v2, v3, vcc_lo
	v_or_b32_e32 v2, s0, v4
	v_or_b32_e32 v3, s1, v4
	v_add_nc_u32_e32 v4, 0, v0
	v_add3_u32 v0, 0, 0x200, v0
	v_lshlrev_b32_e32 v8, 2, v6
	v_lshl_add_u32 v5, v2, 2, 0
	v_lshl_add_u32 v3, v3, 2, 0
	v_ashrrev_i32_e32 v7, 31, v6
	ds_load_b32 v2, v4 offset:512
	ds_load_b32 v4, v5 offset:512
	;; [unrolled: 1-line block ×4, first 2 shown]
	v_ashrrev_i32_e32 v9, 31, v8
	v_lshlrev_b64 v[6:7], 2, v[6:7]
	s_delay_alu instid0(VALU_DEP_2) | instskip(NEXT) | instid1(VALU_DEP_2)
	v_lshlrev_b64 v[0:1], 2, v[8:9]
	v_add_co_u32 v6, vcc_lo, s24, v6
	s_delay_alu instid0(VALU_DEP_3) | instskip(NEXT) | instid1(VALU_DEP_3)
	v_add_co_ci_u32_e32 v7, vcc_lo, s25, v7, vcc_lo
	v_add_co_u32 v0, vcc_lo, s26, v0
	s_delay_alu instid0(VALU_DEP_4)
	v_add_co_ci_u32_e32 v1, vcc_lo, s27, v1, vcc_lo
	global_store_b32 v[6:7], v10, off
	s_waitcnt lgkmcnt(0)
	global_store_b128 v[0:1], v[2:5], off
.LBB9_125:
	s_nop 0
	s_sendmsg sendmsg(MSG_DEALLOC_VGPRS)
	s_endpgm
	.section	.rodata,"a",@progbits
	.p2align	6, 0x0
	.amdhsa_kernel _ZN9rocsparseL30bsrgemm_fill_block_per_row_2x2ILj256ELj16ELj128ELj137EiifEEv20rocsparse_direction_T4_S2_PKS2_S4_NS_24const_host_device_scalarIT5_EEPKT3_S4_PKS6_SA_S4_SC_S7_SA_S4_SC_SA_PS2_PS6_21rocsparse_index_base_SF_SF_SF_bbb
		.amdhsa_group_segment_fixed_size 0
		.amdhsa_private_segment_fixed_size 0
		.amdhsa_kernarg_size 164
		.amdhsa_user_sgpr_count 15
		.amdhsa_user_sgpr_dispatch_ptr 0
		.amdhsa_user_sgpr_queue_ptr 0
		.amdhsa_user_sgpr_kernarg_segment_ptr 1
		.amdhsa_user_sgpr_dispatch_id 0
		.amdhsa_user_sgpr_private_segment_size 0
		.amdhsa_wavefront_size32 1
		.amdhsa_uses_dynamic_stack 0
		.amdhsa_enable_private_segment 0
		.amdhsa_system_sgpr_workgroup_id_x 1
		.amdhsa_system_sgpr_workgroup_id_y 0
		.amdhsa_system_sgpr_workgroup_id_z 0
		.amdhsa_system_sgpr_workgroup_info 0
		.amdhsa_system_vgpr_workitem_id 0
		.amdhsa_next_free_vgpr 39
		.amdhsa_next_free_sgpr 46
		.amdhsa_reserve_vcc 1
		.amdhsa_float_round_mode_32 0
		.amdhsa_float_round_mode_16_64 0
		.amdhsa_float_denorm_mode_32 3
		.amdhsa_float_denorm_mode_16_64 3
		.amdhsa_dx10_clamp 1
		.amdhsa_ieee_mode 1
		.amdhsa_fp16_overflow 0
		.amdhsa_workgroup_processor_mode 1
		.amdhsa_memory_ordered 1
		.amdhsa_forward_progress 0
		.amdhsa_shared_vgpr_count 0
		.amdhsa_exception_fp_ieee_invalid_op 0
		.amdhsa_exception_fp_denorm_src 0
		.amdhsa_exception_fp_ieee_div_zero 0
		.amdhsa_exception_fp_ieee_overflow 0
		.amdhsa_exception_fp_ieee_underflow 0
		.amdhsa_exception_fp_ieee_inexact 0
		.amdhsa_exception_int_div_zero 0
	.end_amdhsa_kernel
	.section	.text._ZN9rocsparseL30bsrgemm_fill_block_per_row_2x2ILj256ELj16ELj128ELj137EiifEEv20rocsparse_direction_T4_S2_PKS2_S4_NS_24const_host_device_scalarIT5_EEPKT3_S4_PKS6_SA_S4_SC_S7_SA_S4_SC_SA_PS2_PS6_21rocsparse_index_base_SF_SF_SF_bbb,"axG",@progbits,_ZN9rocsparseL30bsrgemm_fill_block_per_row_2x2ILj256ELj16ELj128ELj137EiifEEv20rocsparse_direction_T4_S2_PKS2_S4_NS_24const_host_device_scalarIT5_EEPKT3_S4_PKS6_SA_S4_SC_S7_SA_S4_SC_SA_PS2_PS6_21rocsparse_index_base_SF_SF_SF_bbb,comdat
.Lfunc_end9:
	.size	_ZN9rocsparseL30bsrgemm_fill_block_per_row_2x2ILj256ELj16ELj128ELj137EiifEEv20rocsparse_direction_T4_S2_PKS2_S4_NS_24const_host_device_scalarIT5_EEPKT3_S4_PKS6_SA_S4_SC_S7_SA_S4_SC_SA_PS2_PS6_21rocsparse_index_base_SF_SF_SF_bbb, .Lfunc_end9-_ZN9rocsparseL30bsrgemm_fill_block_per_row_2x2ILj256ELj16ELj128ELj137EiifEEv20rocsparse_direction_T4_S2_PKS2_S4_NS_24const_host_device_scalarIT5_EEPKT3_S4_PKS6_SA_S4_SC_S7_SA_S4_SC_SA_PS2_PS6_21rocsparse_index_base_SF_SF_SF_bbb
                                        ; -- End function
	.section	.AMDGPU.csdata,"",@progbits
; Kernel info:
; codeLenInByte = 6024
; NumSgprs: 48
; NumVgprs: 39
; ScratchSize: 0
; MemoryBound: 0
; FloatMode: 240
; IeeeMode: 1
; LDSByteSize: 0 bytes/workgroup (compile time only)
; SGPRBlocks: 5
; VGPRBlocks: 4
; NumSGPRsForWavesPerEU: 48
; NumVGPRsForWavesPerEU: 39
; Occupancy: 16
; WaveLimiterHint : 1
; COMPUTE_PGM_RSRC2:SCRATCH_EN: 0
; COMPUTE_PGM_RSRC2:USER_SGPR: 15
; COMPUTE_PGM_RSRC2:TRAP_HANDLER: 0
; COMPUTE_PGM_RSRC2:TGID_X_EN: 1
; COMPUTE_PGM_RSRC2:TGID_Y_EN: 0
; COMPUTE_PGM_RSRC2:TGID_Z_EN: 0
; COMPUTE_PGM_RSRC2:TIDIG_COMP_CNT: 0
	.section	.text._ZN9rocsparseL30bsrgemm_fill_block_per_row_2x2ILj256ELj16ELj256ELj137EiifEEv20rocsparse_direction_T4_S2_PKS2_S4_NS_24const_host_device_scalarIT5_EEPKT3_S4_PKS6_SA_S4_SC_S7_SA_S4_SC_SA_PS2_PS6_21rocsparse_index_base_SF_SF_SF_bbb,"axG",@progbits,_ZN9rocsparseL30bsrgemm_fill_block_per_row_2x2ILj256ELj16ELj256ELj137EiifEEv20rocsparse_direction_T4_S2_PKS2_S4_NS_24const_host_device_scalarIT5_EEPKT3_S4_PKS6_SA_S4_SC_S7_SA_S4_SC_SA_PS2_PS6_21rocsparse_index_base_SF_SF_SF_bbb,comdat
	.globl	_ZN9rocsparseL30bsrgemm_fill_block_per_row_2x2ILj256ELj16ELj256ELj137EiifEEv20rocsparse_direction_T4_S2_PKS2_S4_NS_24const_host_device_scalarIT5_EEPKT3_S4_PKS6_SA_S4_SC_S7_SA_S4_SC_SA_PS2_PS6_21rocsparse_index_base_SF_SF_SF_bbb ; -- Begin function _ZN9rocsparseL30bsrgemm_fill_block_per_row_2x2ILj256ELj16ELj256ELj137EiifEEv20rocsparse_direction_T4_S2_PKS2_S4_NS_24const_host_device_scalarIT5_EEPKT3_S4_PKS6_SA_S4_SC_S7_SA_S4_SC_SA_PS2_PS6_21rocsparse_index_base_SF_SF_SF_bbb
	.p2align	8
	.type	_ZN9rocsparseL30bsrgemm_fill_block_per_row_2x2ILj256ELj16ELj256ELj137EiifEEv20rocsparse_direction_T4_S2_PKS2_S4_NS_24const_host_device_scalarIT5_EEPKT3_S4_PKS6_SA_S4_SC_S7_SA_S4_SC_SA_PS2_PS6_21rocsparse_index_base_SF_SF_SF_bbb,@function
_ZN9rocsparseL30bsrgemm_fill_block_per_row_2x2ILj256ELj16ELj256ELj137EiifEEv20rocsparse_direction_T4_S2_PKS2_S4_NS_24const_host_device_scalarIT5_EEPKT3_S4_PKS6_SA_S4_SC_S7_SA_S4_SC_SA_PS2_PS6_21rocsparse_index_base_SF_SF_SF_bbb: ; @_ZN9rocsparseL30bsrgemm_fill_block_per_row_2x2ILj256ELj16ELj256ELj137EiifEEv20rocsparse_direction_T4_S2_PKS2_S4_NS_24const_host_device_scalarIT5_EEPKT3_S4_PKS6_SA_S4_SC_S7_SA_S4_SC_SA_PS2_PS6_21rocsparse_index_base_SF_SF_SF_bbb
; %bb.0:
	s_clause 0x2
	s_load_b32 s6, s[0:1], 0xa0
	s_load_b64 s[4:5], s[0:1], 0x20
	s_load_b64 s[2:3], s[0:1], 0x58
	s_mov_b32 s34, s15
	s_waitcnt lgkmcnt(0)
	s_bitcmp1_b32 s6, 0
	s_cselect_b32 s35, -1, 0
	s_bitcmp1_b32 s6, 16
	s_cselect_b32 s7, -1, 0
	s_xor_b32 s8, s35, -1
	s_delay_alu instid0(SALU_CYCLE_1) | instskip(NEXT) | instid1(SALU_CYCLE_1)
	s_or_b32 s8, s8, s7
	s_and_b32 vcc_lo, exec_lo, s8
	s_cbranch_vccnz .LBB10_2
; %bb.1:
	s_load_b32 s4, s[4:5], 0x0
	s_waitcnt lgkmcnt(0)
	v_mov_b32_e32 v7, s4
	s_branch .LBB10_3
.LBB10_2:
	v_cndmask_b32_e64 v7, 0, s4, s35
.LBB10_3:
	s_load_b128 s[20:23], s[0:1], 0x90
	s_bitcmp1_b32 s6, 8
	s_cselect_b32 s33, -1, 0
	s_delay_alu instid0(SALU_CYCLE_1) | instskip(NEXT) | instid1(SALU_CYCLE_1)
	s_xor_b32 s4, s33, -1
	s_or_b32 s4, s4, s7
	s_delay_alu instid0(SALU_CYCLE_1)
	s_and_b32 vcc_lo, exec_lo, s4
	s_cbranch_vccnz .LBB10_5
; %bb.4:
	s_load_b32 s2, s[2:3], 0x0
	s_waitcnt lgkmcnt(0)
	v_mov_b32_e32 v5, s2
	s_branch .LBB10_6
.LBB10_5:
	v_cndmask_b32_e64 v5, 0, s2, s33
.LBB10_6:
	s_clause 0x5
	s_load_b128 s[24:27], s[0:1], 0x80
	s_load_b256 s[4:11], s[0:1], 0x60
	s_load_b128 s[28:31], s[0:1], 0x48
	s_load_b256 s[12:19], s[0:1], 0x28
	s_load_b128 s[36:39], s[0:1], 0x10
	s_load_b32 s3, s[0:1], 0x8
	v_cmp_gt_u32_e64 s2, 0x100, v0
	v_lshl_add_u32 v6, v0, 2, 0
	s_delay_alu instid0(VALU_DEP_2)
	s_and_saveexec_b32 s40, s2
	s_cbranch_execz .LBB10_8
; %bb.7:
	s_waitcnt lgkmcnt(0)
	v_mov_b32_e32 v1, s3
	ds_store_b32 v6, v1
.LBB10_8:
	s_or_b32 exec_lo, exec_lo, s40
	v_dual_mov_b32 v3, 0 :: v_dual_lshlrev_b32 v4, 2, v0
	v_or_b32_e32 v1, 0xffffff00, v0
	s_mov_b32 s40, 0
	s_delay_alu instid0(VALU_DEP_2)
	v_add3_u32 v2, v4, 0, 0x400
.LBB10_9:                               ; =>This Inner Loop Header: Depth=1
	s_delay_alu instid0(VALU_DEP_2) | instskip(SKIP_4) | instid1(SALU_CYCLE_1)
	v_add_nc_u32_e32 v1, 0x100, v1
	ds_store_b32 v2, v3
	v_add_nc_u32_e32 v2, 0x400, v2
	v_cmp_lt_u32_e32 vcc_lo, 0x2ff, v1
	s_or_b32 s40, vcc_lo, s40
	s_and_not1_b32 exec_lo, exec_lo, s40
	s_cbranch_execnz .LBB10_9
; %bb.10:
	s_or_b32 exec_lo, exec_lo, s40
	s_waitcnt lgkmcnt(0)
	s_cmp_lg_u64 s[38:39], 0
	s_barrier
	buffer_gl0_inv
	s_cbranch_scc0 .LBB10_12
; %bb.11:
	s_load_b32 s36, s[36:37], 0x0
	s_mov_b32 s37, 0
	s_waitcnt lgkmcnt(0)
	s_add_i32 s36, s36, s34
	s_delay_alu instid0(SALU_CYCLE_1) | instskip(NEXT) | instid1(SALU_CYCLE_1)
	s_lshl_b64 s[36:37], s[36:37], 2
	s_add_u32 s36, s38, s36
	s_addc_u32 s37, s39, s37
	s_load_b32 s34, s[36:37], 0x0
.LBB10_12:
	s_load_b32 s0, s[0:1], 0x0
	s_and_not1_b32 vcc_lo, exec_lo, s35
	s_waitcnt lgkmcnt(0)
	s_ashr_i32 s35, s34, 31
	s_cbranch_vccnz .LBB10_68
; %bb.13:
	s_lshl_b64 s[36:37], s[34:35], 2
	v_lshrrev_b32_e32 v1, 4, v0
	s_add_u32 s12, s12, s36
	s_addc_u32 s13, s13, s37
	s_load_b64 s[12:13], s[12:13], 0x0
	s_delay_alu instid0(VALU_DEP_1) | instskip(SKIP_1) | instid1(VALU_DEP_1)
	v_subrev_nc_u32_e32 v1, s20, v1
	s_waitcnt lgkmcnt(0)
	v_add_nc_u32_e32 v1, s12, v1
	s_sub_i32 s1, s13, s20
	s_mov_b32 s12, exec_lo
	s_delay_alu instid0(VALU_DEP_1)
	v_cmpx_gt_i32_e64 s1, v1
	s_cbranch_execz .LBB10_67
; %bb.14:
	v_and_b32_e32 v2, 15, v0
	s_cmp_eq_u32 s0, 0
	s_mov_b32 s13, 0
	s_cselect_b32 s36, 1, 2
	s_cselect_b32 s37, 2, 1
	v_subrev_nc_u32_e32 v8, s21, v2
	s_branch .LBB10_16
.LBB10_15:                              ;   in Loop: Header=BB10_16 Depth=1
	s_or_b32 exec_lo, exec_lo, s38
	v_add_nc_u32_e32 v1, 16, v1
	s_delay_alu instid0(VALU_DEP_1) | instskip(SKIP_1) | instid1(SALU_CYCLE_1)
	v_cmp_le_i32_e32 vcc_lo, s1, v1
	s_or_b32 s13, vcc_lo, s13
	s_and_not1_b32 exec_lo, exec_lo, s13
	s_cbranch_execz .LBB10_67
.LBB10_16:                              ; =>This Loop Header: Depth=1
                                        ;     Child Loop BB10_19 Depth 2
                                        ;       Child Loop BB10_21 Depth 3
                                        ;       Child Loop BB10_33 Depth 3
	;; [unrolled: 1-line block ×4, first 2 shown]
	v_ashrrev_i32_e32 v2, 31, v1
	s_mov_b32 s38, exec_lo
	s_delay_alu instid0(VALU_DEP_1) | instskip(NEXT) | instid1(VALU_DEP_1)
	v_lshlrev_b64 v[2:3], 2, v[1:2]
	v_add_co_u32 v2, vcc_lo, s14, v2
	s_delay_alu instid0(VALU_DEP_2) | instskip(SKIP_3) | instid1(VALU_DEP_1)
	v_add_co_ci_u32_e32 v3, vcc_lo, s15, v3, vcc_lo
	global_load_b32 v2, v[2:3], off
	s_waitcnt vmcnt(0)
	v_subrev_nc_u32_e32 v2, s20, v2
	v_ashrrev_i32_e32 v3, 31, v2
	s_delay_alu instid0(VALU_DEP_1) | instskip(NEXT) | instid1(VALU_DEP_1)
	v_lshlrev_b64 v[2:3], 2, v[2:3]
	v_add_co_u32 v2, vcc_lo, s18, v2
	s_delay_alu instid0(VALU_DEP_2) | instskip(SKIP_4) | instid1(VALU_DEP_1)
	v_add_co_ci_u32_e32 v3, vcc_lo, s19, v3, vcc_lo
	global_load_b64 v[2:3], v[2:3], off
	s_waitcnt vmcnt(0)
	v_subrev_nc_u32_e32 v9, s21, v3
	v_add_nc_u32_e32 v2, v2, v8
	v_cmpx_lt_i32_e64 v2, v9
	s_cbranch_execz .LBB10_15
; %bb.17:                               ;   in Loop: Header=BB10_16 Depth=1
	v_lshlrev_b32_e32 v10, 2, v1
	s_mov_b32 s39, 0
	s_delay_alu instid0(VALU_DEP_1) | instskip(SKIP_2) | instid1(VALU_DEP_3)
	v_or_b32_e32 v12, s37, v10
	v_ashrrev_i32_e32 v11, 31, v10
	v_or_b32_e32 v14, s36, v10
	v_ashrrev_i32_e32 v13, 31, v12
	s_delay_alu instid0(VALU_DEP_3) | instskip(NEXT) | instid1(VALU_DEP_3)
	v_lshlrev_b64 v[10:11], 2, v[10:11]
	v_ashrrev_i32_e32 v15, 31, v14
	s_delay_alu instid0(VALU_DEP_3) | instskip(NEXT) | instid1(VALU_DEP_2)
	v_lshlrev_b64 v[12:13], 2, v[12:13]
	v_lshlrev_b64 v[14:15], 2, v[14:15]
	s_delay_alu instid0(VALU_DEP_4) | instskip(SKIP_1) | instid1(VALU_DEP_4)
	v_add_co_u32 v10, vcc_lo, s16, v10
	v_add_co_ci_u32_e32 v11, vcc_lo, s17, v11, vcc_lo
	v_add_co_u32 v12, vcc_lo, s16, v12
	v_add_co_ci_u32_e32 v13, vcc_lo, s17, v13, vcc_lo
	;; [unrolled: 2-line block ×3, first 2 shown]
	s_clause 0x3
	global_load_b32 v3, v[10:11], off offset:12
	global_load_b32 v12, v[12:13], off
	global_load_b32 v13, v[14:15], off
	;; [unrolled: 1-line block ×3, first 2 shown]
	s_waitcnt vmcnt(3)
	v_mul_f32_e32 v10, v7, v3
	s_waitcnt vmcnt(2)
	v_mul_f32_e32 v11, v7, v12
	s_waitcnt vmcnt(1)
	v_mul_f32_e32 v12, v7, v13
	s_waitcnt vmcnt(0)
	v_mul_f32_e32 v13, v7, v14
	s_branch .LBB10_19
.LBB10_18:                              ;   in Loop: Header=BB10_19 Depth=2
	s_or_b32 exec_lo, exec_lo, s40
	v_add_nc_u32_e32 v2, 16, v2
	s_delay_alu instid0(VALU_DEP_1) | instskip(SKIP_1) | instid1(SALU_CYCLE_1)
	v_cmp_ge_i32_e32 vcc_lo, v2, v9
	s_or_b32 s39, vcc_lo, s39
	s_and_not1_b32 exec_lo, exec_lo, s39
	s_cbranch_execz .LBB10_15
.LBB10_19:                              ;   Parent Loop BB10_16 Depth=1
                                        ; =>  This Loop Header: Depth=2
                                        ;       Child Loop BB10_21 Depth 3
                                        ;       Child Loop BB10_33 Depth 3
	;; [unrolled: 1-line block ×4, first 2 shown]
	v_ashrrev_i32_e32 v3, 31, v2
	v_lshlrev_b32_e32 v14, 2, v2
	s_mov_b32 s40, 0
	s_delay_alu instid0(VALU_DEP_2) | instskip(NEXT) | instid1(VALU_DEP_2)
	v_lshlrev_b64 v[18:19], 2, v[2:3]
	v_or_b32_e32 v16, s37, v14
	v_ashrrev_i32_e32 v15, 31, v14
	v_or_b32_e32 v20, s36, v14
	s_delay_alu instid0(VALU_DEP_3) | instskip(SKIP_2) | instid1(VALU_DEP_3)
	v_ashrrev_i32_e32 v17, 31, v16
	v_add_co_u32 v18, vcc_lo, s28, v18
	v_add_co_ci_u32_e32 v19, vcc_lo, s29, v19, vcc_lo
	v_lshlrev_b64 v[16:17], 2, v[16:17]
	v_lshlrev_b64 v[14:15], 2, v[14:15]
	v_ashrrev_i32_e32 v21, 31, v20
	global_load_b32 v3, v[18:19], off
	v_add_co_u32 v16, vcc_lo, s30, v16
	v_add_co_ci_u32_e32 v17, vcc_lo, s31, v17, vcc_lo
	v_add_co_u32 v14, vcc_lo, s30, v14
	v_add_co_ci_u32_e32 v15, vcc_lo, s31, v15, vcc_lo
	v_lshlrev_b64 v[20:21], 2, v[20:21]
	s_clause 0x1
	global_load_b32 v19, v[16:17], off
	global_load_b32 v18, v[14:15], off
	v_add_co_u32 v16, vcc_lo, s30, v20
	v_add_co_ci_u32_e32 v17, vcc_lo, s31, v21, vcc_lo
	s_clause 0x1
	global_load_b32 v16, v[16:17], off
	global_load_b32 v17, v[14:15], off offset:12
	s_waitcnt vmcnt(4)
	v_subrev_nc_u32_e32 v14, s21, v3
	s_delay_alu instid0(VALU_DEP_1) | instskip(SKIP_3) | instid1(VALU_DEP_1)
	v_mul_lo_u32 v3, 0x89, v14
	s_waitcnt vmcnt(3)
	v_mul_f32_e32 v20, v12, v19
	s_waitcnt vmcnt(2)
	v_dual_fmac_f32 v20, v13, v18 :: v_dual_and_b32 v15, 0xff, v3
	s_delay_alu instid0(VALU_DEP_1)
	v_mov_b32_e32 v21, v15
	s_branch .LBB10_21
.LBB10_20:                              ;   in Loop: Header=BB10_21 Depth=3
	s_or_b32 exec_lo, exec_lo, s41
	s_xor_b32 s41, s42, -1
	s_delay_alu instid0(SALU_CYCLE_1) | instskip(NEXT) | instid1(SALU_CYCLE_1)
	s_and_b32 s41, exec_lo, s41
	s_or_b32 s40, s41, s40
	s_delay_alu instid0(SALU_CYCLE_1)
	s_and_not1_b32 exec_lo, exec_lo, s40
	s_cbranch_execz .LBB10_31
.LBB10_21:                              ;   Parent Loop BB10_16 Depth=1
                                        ;     Parent Loop BB10_19 Depth=2
                                        ; =>    This Inner Loop Header: Depth=3
	s_delay_alu instid0(VALU_DEP_1)
	v_lshl_add_u32 v3, v21, 2, 0
	s_mov_b32 s41, exec_lo
                                        ; implicit-def: $sgpr42
	ds_load_b32 v22, v3
	s_waitcnt lgkmcnt(0)
	v_cmpx_ne_u32_e64 v22, v14
	s_xor_b32 s41, exec_lo, s41
	s_cbranch_execz .LBB10_29
; %bb.22:                               ;   in Loop: Header=BB10_21 Depth=3
	s_mov_b32 s43, exec_lo
                                        ; implicit-def: $sgpr42
	v_cmpx_ne_u32_e64 s3, v22
	s_xor_b32 s43, exec_lo, s43
; %bb.23:                               ;   in Loop: Header=BB10_21 Depth=3
	v_add_nc_u32_e32 v3, 1, v21
	s_mov_b32 s42, -1
	s_delay_alu instid0(VALU_DEP_1)
	v_and_b32_e32 v21, 0xff, v3
                                        ; implicit-def: $vgpr3
; %bb.24:                               ;   in Loop: Header=BB10_21 Depth=3
	s_and_not1_saveexec_b32 s43, s43
	s_cbranch_execz .LBB10_28
; %bb.25:                               ;   in Loop: Header=BB10_21 Depth=3
	v_mov_b32_e32 v22, s3
	s_mov_b32 s44, -1
	s_mov_b32 s45, exec_lo
	ds_cmpstore_rtn_b32 v22, v3, v14, v22
	s_waitcnt lgkmcnt(0)
	v_cmpx_eq_u32_e64 s3, v22
	s_cbranch_execz .LBB10_27
; %bb.26:                               ;   in Loop: Header=BB10_21 Depth=3
	v_mad_u64_u32 v[22:23], null, v21, 12, v[3:4]
	s_xor_b32 s44, exec_lo, -1
	ds_add_f32 v22, v20 offset:1024
.LBB10_27:                              ;   in Loop: Header=BB10_21 Depth=3
	s_or_b32 exec_lo, exec_lo, s45
	s_delay_alu instid0(SALU_CYCLE_1) | instskip(SKIP_1) | instid1(SALU_CYCLE_1)
	s_and_not1_b32 s42, s42, exec_lo
	s_and_b32 s44, s44, exec_lo
	s_or_b32 s42, s42, s44
.LBB10_28:                              ;   in Loop: Header=BB10_21 Depth=3
	s_or_b32 exec_lo, exec_lo, s43
	s_delay_alu instid0(SALU_CYCLE_1)
	s_and_b32 s42, s42, exec_lo
                                        ; implicit-def: $vgpr3
.LBB10_29:                              ;   in Loop: Header=BB10_21 Depth=3
	s_and_not1_saveexec_b32 s41, s41
	s_cbranch_execz .LBB10_20
; %bb.30:                               ;   in Loop: Header=BB10_21 Depth=3
	v_mad_u64_u32 v[22:23], null, v21, 12, v[3:4]
	s_and_not1_b32 s42, s42, exec_lo
	ds_add_f32 v22, v20 offset:1024
	s_branch .LBB10_20
.LBB10_31:                              ;   in Loop: Header=BB10_19 Depth=2
	s_or_b32 exec_lo, exec_lo, s40
	s_waitcnt vmcnt(0)
	v_dual_mul_f32 v20, v12, v17 :: v_dual_mov_b32 v21, v15
	s_mov_b32 s40, 0
	s_delay_alu instid0(VALU_DEP_1)
	v_fmac_f32_e32 v20, v13, v16
	s_branch .LBB10_33
.LBB10_32:                              ;   in Loop: Header=BB10_33 Depth=3
	s_or_b32 exec_lo, exec_lo, s41
	s_xor_b32 s41, s42, -1
	s_delay_alu instid0(SALU_CYCLE_1) | instskip(NEXT) | instid1(SALU_CYCLE_1)
	s_and_b32 s41, exec_lo, s41
	s_or_b32 s40, s41, s40
	s_delay_alu instid0(SALU_CYCLE_1)
	s_and_not1_b32 exec_lo, exec_lo, s40
	s_cbranch_execz .LBB10_43
.LBB10_33:                              ;   Parent Loop BB10_16 Depth=1
                                        ;     Parent Loop BB10_19 Depth=2
                                        ; =>    This Inner Loop Header: Depth=3
	s_delay_alu instid0(VALU_DEP_2)
	v_lshl_add_u32 v3, v21, 2, 0
	s_mov_b32 s41, exec_lo
                                        ; implicit-def: $sgpr42
	ds_load_b32 v22, v3
	s_waitcnt lgkmcnt(0)
	v_cmpx_ne_u32_e64 v22, v14
	s_xor_b32 s41, exec_lo, s41
	s_cbranch_execz .LBB10_41
; %bb.34:                               ;   in Loop: Header=BB10_33 Depth=3
	s_mov_b32 s43, exec_lo
                                        ; implicit-def: $sgpr42
	v_cmpx_ne_u32_e64 s3, v22
	s_xor_b32 s43, exec_lo, s43
; %bb.35:                               ;   in Loop: Header=BB10_33 Depth=3
	v_add_nc_u32_e32 v3, 1, v21
	s_mov_b32 s42, -1
	s_delay_alu instid0(VALU_DEP_1)
	v_and_b32_e32 v21, 0xff, v3
                                        ; implicit-def: $vgpr3
; %bb.36:                               ;   in Loop: Header=BB10_33 Depth=3
	s_and_not1_saveexec_b32 s43, s43
	s_cbranch_execz .LBB10_40
; %bb.37:                               ;   in Loop: Header=BB10_33 Depth=3
	v_mov_b32_e32 v22, s3
	s_mov_b32 s44, -1
	s_mov_b32 s45, exec_lo
	ds_cmpstore_rtn_b32 v22, v3, v14, v22
	s_waitcnt lgkmcnt(0)
	v_cmpx_eq_u32_e64 s3, v22
	s_cbranch_execz .LBB10_39
; %bb.38:                               ;   in Loop: Header=BB10_33 Depth=3
	v_mad_u64_u32 v[22:23], null, v21, 12, v[3:4]
	s_xor_b32 s44, exec_lo, -1
	ds_add_f32 v22, v20 offset:1028
.LBB10_39:                              ;   in Loop: Header=BB10_33 Depth=3
	s_or_b32 exec_lo, exec_lo, s45
	s_delay_alu instid0(SALU_CYCLE_1) | instskip(SKIP_1) | instid1(SALU_CYCLE_1)
	s_and_not1_b32 s42, s42, exec_lo
	s_and_b32 s44, s44, exec_lo
	s_or_b32 s42, s42, s44
.LBB10_40:                              ;   in Loop: Header=BB10_33 Depth=3
	s_or_b32 exec_lo, exec_lo, s43
	s_delay_alu instid0(SALU_CYCLE_1)
	s_and_b32 s42, s42, exec_lo
                                        ; implicit-def: $vgpr3
.LBB10_41:                              ;   in Loop: Header=BB10_33 Depth=3
	s_and_not1_saveexec_b32 s41, s41
	s_cbranch_execz .LBB10_32
; %bb.42:                               ;   in Loop: Header=BB10_33 Depth=3
	v_mad_u64_u32 v[22:23], null, v21, 12, v[3:4]
	s_and_not1_b32 s42, s42, exec_lo
	ds_add_f32 v22, v20 offset:1028
	s_branch .LBB10_32
.LBB10_43:                              ;   in Loop: Header=BB10_19 Depth=2
	s_or_b32 exec_lo, exec_lo, s40
	v_mul_f32_e32 v19, v10, v19
	s_mov_b32 s40, 0
	s_delay_alu instid0(VALU_DEP_1)
	v_fmac_f32_e32 v19, v11, v18
	v_mov_b32_e32 v18, v15
	s_branch .LBB10_45
.LBB10_44:                              ;   in Loop: Header=BB10_45 Depth=3
	s_or_b32 exec_lo, exec_lo, s41
	s_xor_b32 s41, s42, -1
	s_delay_alu instid0(SALU_CYCLE_1) | instskip(NEXT) | instid1(SALU_CYCLE_1)
	s_and_b32 s41, exec_lo, s41
	s_or_b32 s40, s41, s40
	s_delay_alu instid0(SALU_CYCLE_1)
	s_and_not1_b32 exec_lo, exec_lo, s40
	s_cbranch_execz .LBB10_55
.LBB10_45:                              ;   Parent Loop BB10_16 Depth=1
                                        ;     Parent Loop BB10_19 Depth=2
                                        ; =>    This Inner Loop Header: Depth=3
	s_delay_alu instid0(VALU_DEP_1)
	v_lshl_add_u32 v3, v18, 2, 0
	s_mov_b32 s41, exec_lo
                                        ; implicit-def: $sgpr42
	ds_load_b32 v20, v3
	s_waitcnt lgkmcnt(0)
	v_cmpx_ne_u32_e64 v20, v14
	s_xor_b32 s41, exec_lo, s41
	s_cbranch_execz .LBB10_53
; %bb.46:                               ;   in Loop: Header=BB10_45 Depth=3
	s_mov_b32 s43, exec_lo
                                        ; implicit-def: $sgpr42
	v_cmpx_ne_u32_e64 s3, v20
	s_xor_b32 s43, exec_lo, s43
; %bb.47:                               ;   in Loop: Header=BB10_45 Depth=3
	v_add_nc_u32_e32 v3, 1, v18
	s_mov_b32 s42, -1
	s_delay_alu instid0(VALU_DEP_1)
	v_and_b32_e32 v18, 0xff, v3
                                        ; implicit-def: $vgpr3
; %bb.48:                               ;   in Loop: Header=BB10_45 Depth=3
	s_and_not1_saveexec_b32 s43, s43
	s_cbranch_execz .LBB10_52
; %bb.49:                               ;   in Loop: Header=BB10_45 Depth=3
	v_mov_b32_e32 v20, s3
	s_mov_b32 s44, -1
	s_mov_b32 s45, exec_lo
	ds_cmpstore_rtn_b32 v20, v3, v14, v20
	s_waitcnt lgkmcnt(0)
	v_cmpx_eq_u32_e64 s3, v20
	s_cbranch_execz .LBB10_51
; %bb.50:                               ;   in Loop: Header=BB10_45 Depth=3
	v_mad_u64_u32 v[20:21], null, v18, 12, v[3:4]
	s_xor_b32 s44, exec_lo, -1
	ds_add_f32 v20, v19 offset:1032
.LBB10_51:                              ;   in Loop: Header=BB10_45 Depth=3
	s_or_b32 exec_lo, exec_lo, s45
	s_delay_alu instid0(SALU_CYCLE_1) | instskip(SKIP_1) | instid1(SALU_CYCLE_1)
	s_and_not1_b32 s42, s42, exec_lo
	s_and_b32 s44, s44, exec_lo
	s_or_b32 s42, s42, s44
.LBB10_52:                              ;   in Loop: Header=BB10_45 Depth=3
	s_or_b32 exec_lo, exec_lo, s43
	s_delay_alu instid0(SALU_CYCLE_1)
	s_and_b32 s42, s42, exec_lo
                                        ; implicit-def: $vgpr3
.LBB10_53:                              ;   in Loop: Header=BB10_45 Depth=3
	s_and_not1_saveexec_b32 s41, s41
	s_cbranch_execz .LBB10_44
; %bb.54:                               ;   in Loop: Header=BB10_45 Depth=3
	v_mad_u64_u32 v[20:21], null, v18, 12, v[3:4]
	s_and_not1_b32 s42, s42, exec_lo
	ds_add_f32 v20, v19 offset:1032
	s_branch .LBB10_44
.LBB10_55:                              ;   in Loop: Header=BB10_19 Depth=2
	s_or_b32 exec_lo, exec_lo, s40
	v_mul_f32_e32 v17, v10, v17
	s_mov_b32 s40, 0
	s_delay_alu instid0(VALU_DEP_1)
	v_fmac_f32_e32 v17, v11, v16
	s_branch .LBB10_57
.LBB10_56:                              ;   in Loop: Header=BB10_57 Depth=3
	s_or_b32 exec_lo, exec_lo, s41
	s_xor_b32 s41, s42, -1
	s_delay_alu instid0(SALU_CYCLE_1) | instskip(NEXT) | instid1(SALU_CYCLE_1)
	s_and_b32 s41, exec_lo, s41
	s_or_b32 s40, s41, s40
	s_delay_alu instid0(SALU_CYCLE_1)
	s_and_not1_b32 exec_lo, exec_lo, s40
	s_cbranch_execz .LBB10_18
.LBB10_57:                              ;   Parent Loop BB10_16 Depth=1
                                        ;     Parent Loop BB10_19 Depth=2
                                        ; =>    This Inner Loop Header: Depth=3
	v_lshl_add_u32 v3, v15, 2, 0
	s_mov_b32 s41, exec_lo
                                        ; implicit-def: $sgpr42
	ds_load_b32 v16, v3
	s_waitcnt lgkmcnt(0)
	v_cmpx_ne_u32_e64 v16, v14
	s_xor_b32 s41, exec_lo, s41
	s_cbranch_execz .LBB10_65
; %bb.58:                               ;   in Loop: Header=BB10_57 Depth=3
	s_mov_b32 s43, exec_lo
                                        ; implicit-def: $sgpr42
	v_cmpx_ne_u32_e64 s3, v16
	s_xor_b32 s43, exec_lo, s43
; %bb.59:                               ;   in Loop: Header=BB10_57 Depth=3
	v_add_nc_u32_e32 v3, 1, v15
	s_mov_b32 s42, -1
	s_delay_alu instid0(VALU_DEP_1)
	v_and_b32_e32 v15, 0xff, v3
                                        ; implicit-def: $vgpr3
; %bb.60:                               ;   in Loop: Header=BB10_57 Depth=3
	s_and_not1_saveexec_b32 s43, s43
	s_cbranch_execz .LBB10_64
; %bb.61:                               ;   in Loop: Header=BB10_57 Depth=3
	v_mov_b32_e32 v16, s3
	s_mov_b32 s44, -1
	s_mov_b32 s45, exec_lo
	ds_cmpstore_rtn_b32 v16, v3, v14, v16
	s_waitcnt lgkmcnt(0)
	v_cmpx_eq_u32_e64 s3, v16
	s_cbranch_execz .LBB10_63
; %bb.62:                               ;   in Loop: Header=BB10_57 Depth=3
	v_mad_u64_u32 v[18:19], null, v15, 12, v[3:4]
	s_xor_b32 s44, exec_lo, -1
	ds_add_f32 v18, v17 offset:1036
.LBB10_63:                              ;   in Loop: Header=BB10_57 Depth=3
	s_or_b32 exec_lo, exec_lo, s45
	s_delay_alu instid0(SALU_CYCLE_1) | instskip(SKIP_1) | instid1(SALU_CYCLE_1)
	s_and_not1_b32 s42, s42, exec_lo
	s_and_b32 s44, s44, exec_lo
	s_or_b32 s42, s42, s44
.LBB10_64:                              ;   in Loop: Header=BB10_57 Depth=3
	s_or_b32 exec_lo, exec_lo, s43
	s_delay_alu instid0(SALU_CYCLE_1)
	s_and_b32 s42, s42, exec_lo
                                        ; implicit-def: $vgpr3
.LBB10_65:                              ;   in Loop: Header=BB10_57 Depth=3
	s_and_not1_saveexec_b32 s41, s41
	s_cbranch_execz .LBB10_56
; %bb.66:                               ;   in Loop: Header=BB10_57 Depth=3
	v_mad_u64_u32 v[18:19], null, v15, 12, v[3:4]
	s_and_not1_b32 s42, s42, exec_lo
	ds_add_f32 v18, v17 offset:1036
	s_branch .LBB10_56
.LBB10_67:
	s_or_b32 exec_lo, exec_lo, s12
.LBB10_68:
	s_delay_alu instid0(SALU_CYCLE_1)
	s_and_not1_b32 vcc_lo, exec_lo, s33
	s_waitcnt lgkmcnt(0)
	s_barrier
	buffer_gl0_inv
	s_cbranch_vccnz .LBB10_121
; %bb.69:
	s_lshl_b64 s[12:13], s[34:35], 2
	v_subrev_nc_u32_e32 v0, s23, v0
	s_add_u32 s4, s4, s12
	s_addc_u32 s5, s5, s13
	s_load_b64 s[4:5], s[4:5], 0x0
	s_waitcnt lgkmcnt(0)
	v_add_nc_u32_e32 v0, s4, v0
	s_sub_i32 s1, s5, s23
	s_mov_b32 s4, exec_lo
	s_delay_alu instid0(VALU_DEP_1)
	v_cmpx_gt_i32_e64 s1, v0
	s_cbranch_execz .LBB10_120
; %bb.70:
	s_cmp_eq_u32 s0, 0
	s_mov_b32 s5, 0
	s_cselect_b32 s12, 1, 2
	s_cselect_b32 s13, 2, 1
	s_branch .LBB10_72
.LBB10_71:                              ;   in Loop: Header=BB10_72 Depth=1
	s_or_b32 exec_lo, exec_lo, s14
	v_add_nc_u32_e32 v0, 0x100, v0
	s_delay_alu instid0(VALU_DEP_1) | instskip(SKIP_1) | instid1(SALU_CYCLE_1)
	v_cmp_le_i32_e32 vcc_lo, s1, v0
	s_or_b32 s5, vcc_lo, s5
	s_and_not1_b32 exec_lo, exec_lo, s5
	s_cbranch_execz .LBB10_120
.LBB10_72:                              ; =>This Loop Header: Depth=1
                                        ;     Child Loop BB10_74 Depth 2
                                        ;     Child Loop BB10_86 Depth 2
	;; [unrolled: 1-line block ×4, first 2 shown]
	v_ashrrev_i32_e32 v1, 31, v0
	v_lshlrev_b32_e32 v2, 2, v0
	s_mov_b32 s14, 0
	s_delay_alu instid0(VALU_DEP_2) | instskip(NEXT) | instid1(VALU_DEP_2)
	v_lshlrev_b64 v[7:8], 2, v[0:1]
	v_ashrrev_i32_e32 v3, 31, v2
	v_or_b32_e32 v1, s13, v2
	v_or_b32_e32 v11, s12, v2
	s_delay_alu instid0(VALU_DEP_3)
	v_lshlrev_b64 v[9:10], 2, v[2:3]
	v_add_co_u32 v7, vcc_lo, s6, v7
	v_add_co_ci_u32_e32 v8, vcc_lo, s7, v8, vcc_lo
	v_ashrrev_i32_e32 v2, 31, v1
	v_ashrrev_i32_e32 v12, 31, v11
	v_add_co_u32 v13, vcc_lo, s8, v9
	global_load_b32 v3, v[7:8], off
	v_lshlrev_b64 v[1:2], 2, v[1:2]
	v_lshlrev_b64 v[7:8], 2, v[11:12]
	v_add_co_ci_u32_e32 v14, vcc_lo, s9, v10, vcc_lo
	s_delay_alu instid0(VALU_DEP_3) | instskip(NEXT) | instid1(VALU_DEP_4)
	v_add_co_u32 v1, vcc_lo, s8, v1
	v_add_co_ci_u32_e32 v2, vcc_lo, s9, v2, vcc_lo
	s_delay_alu instid0(VALU_DEP_4)
	v_add_co_u32 v9, vcc_lo, s8, v7
	global_load_b32 v15, v[13:14], off
	v_add_co_ci_u32_e32 v10, vcc_lo, s9, v8, vcc_lo
	s_clause 0x2
	global_load_b32 v8, v[1:2], off
	global_load_b32 v9, v[9:10], off
	global_load_b32 v7, v[13:14], off offset:12
	s_waitcnt vmcnt(4)
	v_subrev_nc_u32_e32 v2, s23, v3
	s_delay_alu instid0(VALU_DEP_1) | instskip(SKIP_1) | instid1(VALU_DEP_1)
	v_mul_lo_u32 v1, 0x89, v2
	s_waitcnt vmcnt(3)
	v_dual_mul_f32 v10, v5, v15 :: v_dual_and_b32 v3, 0xff, v1
	s_delay_alu instid0(VALU_DEP_1)
	v_mov_b32_e32 v11, v3
	s_branch .LBB10_74
.LBB10_73:                              ;   in Loop: Header=BB10_74 Depth=2
	s_or_b32 exec_lo, exec_lo, s15
	s_xor_b32 s15, s16, -1
	s_delay_alu instid0(SALU_CYCLE_1) | instskip(NEXT) | instid1(SALU_CYCLE_1)
	s_and_b32 s15, exec_lo, s15
	s_or_b32 s14, s15, s14
	s_delay_alu instid0(SALU_CYCLE_1)
	s_and_not1_b32 exec_lo, exec_lo, s14
	s_cbranch_execz .LBB10_84
.LBB10_74:                              ;   Parent Loop BB10_72 Depth=1
                                        ; =>  This Inner Loop Header: Depth=2
	s_delay_alu instid0(VALU_DEP_1)
	v_lshl_add_u32 v1, v11, 2, 0
	s_mov_b32 s15, exec_lo
                                        ; implicit-def: $sgpr16
	ds_load_b32 v12, v1
	s_waitcnt lgkmcnt(0)
	v_cmpx_ne_u32_e64 v12, v2
	s_xor_b32 s15, exec_lo, s15
	s_cbranch_execz .LBB10_82
; %bb.75:                               ;   in Loop: Header=BB10_74 Depth=2
	s_mov_b32 s17, exec_lo
                                        ; implicit-def: $sgpr16
	v_cmpx_ne_u32_e64 s3, v12
	s_xor_b32 s17, exec_lo, s17
; %bb.76:                               ;   in Loop: Header=BB10_74 Depth=2
	v_add_nc_u32_e32 v1, 1, v11
	s_mov_b32 s16, -1
	s_delay_alu instid0(VALU_DEP_1)
	v_and_b32_e32 v11, 0xff, v1
                                        ; implicit-def: $vgpr1
; %bb.77:                               ;   in Loop: Header=BB10_74 Depth=2
	s_and_not1_saveexec_b32 s17, s17
	s_cbranch_execz .LBB10_81
; %bb.78:                               ;   in Loop: Header=BB10_74 Depth=2
	v_mov_b32_e32 v12, s3
	s_mov_b32 s18, -1
	s_mov_b32 s19, exec_lo
	ds_cmpstore_rtn_b32 v12, v1, v2, v12
	s_waitcnt lgkmcnt(0)
	v_cmpx_eq_u32_e64 s3, v12
	s_cbranch_execz .LBB10_80
; %bb.79:                               ;   in Loop: Header=BB10_74 Depth=2
	v_mad_u64_u32 v[12:13], null, v11, 12, v[1:2]
	s_xor_b32 s18, exec_lo, -1
	ds_add_f32 v12, v10 offset:1024
.LBB10_80:                              ;   in Loop: Header=BB10_74 Depth=2
	s_or_b32 exec_lo, exec_lo, s19
	s_delay_alu instid0(SALU_CYCLE_1) | instskip(SKIP_1) | instid1(SALU_CYCLE_1)
	s_and_not1_b32 s16, s16, exec_lo
	s_and_b32 s18, s18, exec_lo
	s_or_b32 s16, s16, s18
.LBB10_81:                              ;   in Loop: Header=BB10_74 Depth=2
	s_or_b32 exec_lo, exec_lo, s17
	s_delay_alu instid0(SALU_CYCLE_1)
	s_and_b32 s16, s16, exec_lo
                                        ; implicit-def: $vgpr1
.LBB10_82:                              ;   in Loop: Header=BB10_74 Depth=2
	s_and_not1_saveexec_b32 s15, s15
	s_cbranch_execz .LBB10_73
; %bb.83:                               ;   in Loop: Header=BB10_74 Depth=2
	v_mad_u64_u32 v[12:13], null, v11, 12, v[1:2]
	s_and_not1_b32 s16, s16, exec_lo
	ds_add_f32 v12, v10 offset:1024
	s_branch .LBB10_73
.LBB10_84:                              ;   in Loop: Header=BB10_72 Depth=1
	s_or_b32 exec_lo, exec_lo, s14
	s_waitcnt vmcnt(1)
	v_dual_mul_f32 v9, v5, v9 :: v_dual_mov_b32 v10, v3
	s_mov_b32 s14, 0
	s_branch .LBB10_86
.LBB10_85:                              ;   in Loop: Header=BB10_86 Depth=2
	s_or_b32 exec_lo, exec_lo, s15
	s_xor_b32 s15, s16, -1
	s_delay_alu instid0(SALU_CYCLE_1) | instskip(NEXT) | instid1(SALU_CYCLE_1)
	s_and_b32 s15, exec_lo, s15
	s_or_b32 s14, s15, s14
	s_delay_alu instid0(SALU_CYCLE_1)
	s_and_not1_b32 exec_lo, exec_lo, s14
	s_cbranch_execz .LBB10_96
.LBB10_86:                              ;   Parent Loop BB10_72 Depth=1
                                        ; =>  This Inner Loop Header: Depth=2
	s_delay_alu instid0(VALU_DEP_1)
	v_lshl_add_u32 v1, v10, 2, 0
	s_mov_b32 s15, exec_lo
                                        ; implicit-def: $sgpr16
	ds_load_b32 v11, v1
	s_waitcnt lgkmcnt(0)
	v_cmpx_ne_u32_e64 v11, v2
	s_xor_b32 s15, exec_lo, s15
	s_cbranch_execz .LBB10_94
; %bb.87:                               ;   in Loop: Header=BB10_86 Depth=2
	s_mov_b32 s17, exec_lo
                                        ; implicit-def: $sgpr16
	v_cmpx_ne_u32_e64 s3, v11
	s_xor_b32 s17, exec_lo, s17
; %bb.88:                               ;   in Loop: Header=BB10_86 Depth=2
	v_add_nc_u32_e32 v1, 1, v10
	s_mov_b32 s16, -1
	s_delay_alu instid0(VALU_DEP_1)
	v_and_b32_e32 v10, 0xff, v1
                                        ; implicit-def: $vgpr1
; %bb.89:                               ;   in Loop: Header=BB10_86 Depth=2
	s_and_not1_saveexec_b32 s17, s17
	s_cbranch_execz .LBB10_93
; %bb.90:                               ;   in Loop: Header=BB10_86 Depth=2
	v_mov_b32_e32 v11, s3
	s_mov_b32 s18, -1
	s_mov_b32 s19, exec_lo
	ds_cmpstore_rtn_b32 v11, v1, v2, v11
	s_waitcnt lgkmcnt(0)
	v_cmpx_eq_u32_e64 s3, v11
	s_cbranch_execz .LBB10_92
; %bb.91:                               ;   in Loop: Header=BB10_86 Depth=2
	v_mad_u64_u32 v[11:12], null, v10, 12, v[1:2]
	s_xor_b32 s18, exec_lo, -1
	ds_add_f32 v11, v9 offset:1028
.LBB10_92:                              ;   in Loop: Header=BB10_86 Depth=2
	s_or_b32 exec_lo, exec_lo, s19
	s_delay_alu instid0(SALU_CYCLE_1) | instskip(SKIP_1) | instid1(SALU_CYCLE_1)
	s_and_not1_b32 s16, s16, exec_lo
	s_and_b32 s18, s18, exec_lo
	s_or_b32 s16, s16, s18
.LBB10_93:                              ;   in Loop: Header=BB10_86 Depth=2
	s_or_b32 exec_lo, exec_lo, s17
	s_delay_alu instid0(SALU_CYCLE_1)
	s_and_b32 s16, s16, exec_lo
                                        ; implicit-def: $vgpr1
.LBB10_94:                              ;   in Loop: Header=BB10_86 Depth=2
	s_and_not1_saveexec_b32 s15, s15
	s_cbranch_execz .LBB10_85
; %bb.95:                               ;   in Loop: Header=BB10_86 Depth=2
	v_mad_u64_u32 v[11:12], null, v10, 12, v[1:2]
	s_and_not1_b32 s16, s16, exec_lo
	ds_add_f32 v11, v9 offset:1028
	s_branch .LBB10_85
.LBB10_96:                              ;   in Loop: Header=BB10_72 Depth=1
	s_or_b32 exec_lo, exec_lo, s14
	v_dual_mul_f32 v8, v5, v8 :: v_dual_mov_b32 v9, v3
	s_mov_b32 s14, 0
	s_branch .LBB10_98
.LBB10_97:                              ;   in Loop: Header=BB10_98 Depth=2
	s_or_b32 exec_lo, exec_lo, s15
	s_xor_b32 s15, s16, -1
	s_delay_alu instid0(SALU_CYCLE_1) | instskip(NEXT) | instid1(SALU_CYCLE_1)
	s_and_b32 s15, exec_lo, s15
	s_or_b32 s14, s15, s14
	s_delay_alu instid0(SALU_CYCLE_1)
	s_and_not1_b32 exec_lo, exec_lo, s14
	s_cbranch_execz .LBB10_108
.LBB10_98:                              ;   Parent Loop BB10_72 Depth=1
                                        ; =>  This Inner Loop Header: Depth=2
	s_delay_alu instid0(VALU_DEP_1)
	v_lshl_add_u32 v1, v9, 2, 0
	s_mov_b32 s15, exec_lo
                                        ; implicit-def: $sgpr16
	ds_load_b32 v10, v1
	s_waitcnt lgkmcnt(0)
	v_cmpx_ne_u32_e64 v10, v2
	s_xor_b32 s15, exec_lo, s15
	s_cbranch_execz .LBB10_106
; %bb.99:                               ;   in Loop: Header=BB10_98 Depth=2
	s_mov_b32 s17, exec_lo
                                        ; implicit-def: $sgpr16
	v_cmpx_ne_u32_e64 s3, v10
	s_xor_b32 s17, exec_lo, s17
; %bb.100:                              ;   in Loop: Header=BB10_98 Depth=2
	v_add_nc_u32_e32 v1, 1, v9
	s_mov_b32 s16, -1
	s_delay_alu instid0(VALU_DEP_1)
	v_and_b32_e32 v9, 0xff, v1
                                        ; implicit-def: $vgpr1
; %bb.101:                              ;   in Loop: Header=BB10_98 Depth=2
	s_and_not1_saveexec_b32 s17, s17
	s_cbranch_execz .LBB10_105
; %bb.102:                              ;   in Loop: Header=BB10_98 Depth=2
	v_mov_b32_e32 v10, s3
	s_mov_b32 s18, -1
	s_mov_b32 s19, exec_lo
	ds_cmpstore_rtn_b32 v10, v1, v2, v10
	s_waitcnt lgkmcnt(0)
	v_cmpx_eq_u32_e64 s3, v10
	s_cbranch_execz .LBB10_104
; %bb.103:                              ;   in Loop: Header=BB10_98 Depth=2
	v_mad_u64_u32 v[10:11], null, v9, 12, v[1:2]
	s_xor_b32 s18, exec_lo, -1
	ds_add_f32 v10, v8 offset:1032
.LBB10_104:                             ;   in Loop: Header=BB10_98 Depth=2
	s_or_b32 exec_lo, exec_lo, s19
	s_delay_alu instid0(SALU_CYCLE_1) | instskip(SKIP_1) | instid1(SALU_CYCLE_1)
	s_and_not1_b32 s16, s16, exec_lo
	s_and_b32 s18, s18, exec_lo
	s_or_b32 s16, s16, s18
.LBB10_105:                             ;   in Loop: Header=BB10_98 Depth=2
	s_or_b32 exec_lo, exec_lo, s17
	s_delay_alu instid0(SALU_CYCLE_1)
	s_and_b32 s16, s16, exec_lo
                                        ; implicit-def: $vgpr1
.LBB10_106:                             ;   in Loop: Header=BB10_98 Depth=2
	s_and_not1_saveexec_b32 s15, s15
	s_cbranch_execz .LBB10_97
; %bb.107:                              ;   in Loop: Header=BB10_98 Depth=2
	v_mad_u64_u32 v[10:11], null, v9, 12, v[1:2]
	s_and_not1_b32 s16, s16, exec_lo
	ds_add_f32 v10, v8 offset:1032
	s_branch .LBB10_97
.LBB10_108:                             ;   in Loop: Header=BB10_72 Depth=1
	s_or_b32 exec_lo, exec_lo, s14
	s_waitcnt vmcnt(0)
	v_mul_f32_e32 v7, v5, v7
	s_mov_b32 s14, 0
	s_branch .LBB10_110
.LBB10_109:                             ;   in Loop: Header=BB10_110 Depth=2
	s_or_b32 exec_lo, exec_lo, s15
	s_xor_b32 s15, s16, -1
	s_delay_alu instid0(SALU_CYCLE_1) | instskip(NEXT) | instid1(SALU_CYCLE_1)
	s_and_b32 s15, exec_lo, s15
	s_or_b32 s14, s15, s14
	s_delay_alu instid0(SALU_CYCLE_1)
	s_and_not1_b32 exec_lo, exec_lo, s14
	s_cbranch_execz .LBB10_71
.LBB10_110:                             ;   Parent Loop BB10_72 Depth=1
                                        ; =>  This Inner Loop Header: Depth=2
	v_lshl_add_u32 v1, v3, 2, 0
	s_mov_b32 s15, exec_lo
                                        ; implicit-def: $sgpr16
	ds_load_b32 v8, v1
	s_waitcnt lgkmcnt(0)
	v_cmpx_ne_u32_e64 v8, v2
	s_xor_b32 s15, exec_lo, s15
	s_cbranch_execz .LBB10_118
; %bb.111:                              ;   in Loop: Header=BB10_110 Depth=2
	s_mov_b32 s17, exec_lo
                                        ; implicit-def: $sgpr16
	v_cmpx_ne_u32_e64 s3, v8
	s_xor_b32 s17, exec_lo, s17
; %bb.112:                              ;   in Loop: Header=BB10_110 Depth=2
	v_add_nc_u32_e32 v1, 1, v3
	s_mov_b32 s16, -1
	s_delay_alu instid0(VALU_DEP_1)
	v_and_b32_e32 v3, 0xff, v1
                                        ; implicit-def: $vgpr1
; %bb.113:                              ;   in Loop: Header=BB10_110 Depth=2
	s_and_not1_saveexec_b32 s17, s17
	s_cbranch_execz .LBB10_117
; %bb.114:                              ;   in Loop: Header=BB10_110 Depth=2
	v_mov_b32_e32 v8, s3
	s_mov_b32 s18, -1
	s_mov_b32 s19, exec_lo
	ds_cmpstore_rtn_b32 v8, v1, v2, v8
	s_waitcnt lgkmcnt(0)
	v_cmpx_eq_u32_e64 s3, v8
	s_cbranch_execz .LBB10_116
; %bb.115:                              ;   in Loop: Header=BB10_110 Depth=2
	v_mad_u64_u32 v[8:9], null, v3, 12, v[1:2]
	s_xor_b32 s18, exec_lo, -1
	ds_add_f32 v8, v7 offset:1036
.LBB10_116:                             ;   in Loop: Header=BB10_110 Depth=2
	s_or_b32 exec_lo, exec_lo, s19
	s_delay_alu instid0(SALU_CYCLE_1) | instskip(SKIP_1) | instid1(SALU_CYCLE_1)
	s_and_not1_b32 s16, s16, exec_lo
	s_and_b32 s18, s18, exec_lo
	s_or_b32 s16, s16, s18
.LBB10_117:                             ;   in Loop: Header=BB10_110 Depth=2
	s_or_b32 exec_lo, exec_lo, s17
	s_delay_alu instid0(SALU_CYCLE_1)
	s_and_b32 s16, s16, exec_lo
                                        ; implicit-def: $vgpr1
.LBB10_118:                             ;   in Loop: Header=BB10_110 Depth=2
	s_and_not1_saveexec_b32 s15, s15
	s_cbranch_execz .LBB10_109
; %bb.119:                              ;   in Loop: Header=BB10_110 Depth=2
	v_mad_u64_u32 v[8:9], null, v3, 12, v[1:2]
	s_and_not1_b32 s16, s16, exec_lo
	ds_add_f32 v8, v7 offset:1036
	s_branch .LBB10_109
.LBB10_120:
	s_or_b32 exec_lo, exec_lo, s4
.LBB10_121:
	s_waitcnt lgkmcnt(0)
	s_barrier
	buffer_gl0_inv
	s_and_saveexec_b32 s1, s2
	s_cbranch_execz .LBB10_126
; %bb.122:
	ds_load_b32 v2, v6
	s_mov_b32 s1, 0
	s_waitcnt lgkmcnt(0)
	v_cmp_gt_i32_e32 vcc_lo, s3, v2
	s_and_b32 exec_lo, exec_lo, vcc_lo
	s_cbranch_execz .LBB10_126
; %bb.123:
	s_lshl_b64 s[2:3], s[34:35], 2
	s_delay_alu instid0(SALU_CYCLE_1) | instskip(SKIP_4) | instid1(SALU_CYCLE_1)
	s_add_u32 s2, s10, s2
	s_addc_u32 s3, s11, s3
	s_load_b32 s2, s[2:3], 0x0
	s_waitcnt lgkmcnt(0)
	s_sub_i32 s2, s2, s22
	v_mov_b32_e32 v0, s2
.LBB10_124:                             ; =>This Inner Loop Header: Depth=1
	s_add_i32 s2, s1, 0
	s_add_i32 s1, s1, 64
	v_mov_b32_e32 v1, s2
	s_cmpk_lg_i32 s1, 0x400
	ds_load_2addr_b32 v[5:6], v1 offset1:1
	ds_load_2addr_b32 v[7:8], v1 offset0:2 offset1:3
	ds_load_2addr_b32 v[9:10], v1 offset0:4 offset1:5
	;; [unrolled: 1-line block ×7, first 2 shown]
	s_waitcnt lgkmcnt(7)
	v_cmp_gt_i32_e32 vcc_lo, v2, v5
	v_cndmask_b32_e64 v1, 0, 1, vcc_lo
	s_waitcnt lgkmcnt(6)
	v_cmp_gt_i32_e32 vcc_lo, v2, v7
	v_cndmask_b32_e64 v3, 0, 1, vcc_lo
	v_cmp_gt_i32_e32 vcc_lo, v2, v6
	v_add_co_ci_u32_e32 v0, vcc_lo, v0, v1, vcc_lo
	s_waitcnt lgkmcnt(5)
	v_cmp_gt_i32_e32 vcc_lo, v2, v9
	v_cndmask_b32_e64 v1, 0, 1, vcc_lo
	v_cmp_gt_i32_e32 vcc_lo, v2, v8
	v_add_co_ci_u32_e32 v0, vcc_lo, v0, v3, vcc_lo
	;; [unrolled: 5-line block ×7, first 2 shown]
	v_cmp_gt_i32_e32 vcc_lo, v2, v20
	s_delay_alu instid0(VALU_DEP_2)
	v_add_co_ci_u32_e32 v0, vcc_lo, v0, v3, vcc_lo
	s_cbranch_scc1 .LBB10_124
; %bb.125:
	s_cmp_eq_u32 s0, 0
	v_lshlrev_b32_e32 v3, 2, v4
	s_cselect_b32 s0, 2, 1
	s_cselect_b32 s1, 1, 2
	v_or_b32_e32 v5, s0, v4
	v_or_b32_e32 v4, s1, v4
	v_add_nc_u32_e32 v6, 0, v3
	v_add3_u32 v8, 0, 0x400, v3
	v_lshlrev_b32_e32 v7, 2, v0
	v_lshl_add_u32 v5, v5, 2, 0
	v_lshl_add_u32 v4, v4, 2, 0
	v_ashrrev_i32_e32 v1, 31, v0
	v_add_nc_u32_e32 v2, s22, v2
	ds_load_b32 v3, v6 offset:1024
	ds_load_b32 v5, v5 offset:1024
	ds_load_b32 v4, v4 offset:1024
	ds_load_b32 v6, v8 offset:12
	v_ashrrev_i32_e32 v8, 31, v7
	v_lshlrev_b64 v[0:1], 2, v[0:1]
	s_delay_alu instid0(VALU_DEP_2) | instskip(NEXT) | instid1(VALU_DEP_2)
	v_lshlrev_b64 v[7:8], 2, v[7:8]
	v_add_co_u32 v0, vcc_lo, s24, v0
	s_delay_alu instid0(VALU_DEP_3) | instskip(NEXT) | instid1(VALU_DEP_3)
	v_add_co_ci_u32_e32 v1, vcc_lo, s25, v1, vcc_lo
	v_add_co_u32 v7, vcc_lo, s26, v7
	s_delay_alu instid0(VALU_DEP_4)
	v_add_co_ci_u32_e32 v8, vcc_lo, s27, v8, vcc_lo
	global_store_b32 v[0:1], v2, off
	s_waitcnt lgkmcnt(0)
	global_store_b128 v[7:8], v[3:6], off
.LBB10_126:
	s_nop 0
	s_sendmsg sendmsg(MSG_DEALLOC_VGPRS)
	s_endpgm
	.section	.rodata,"a",@progbits
	.p2align	6, 0x0
	.amdhsa_kernel _ZN9rocsparseL30bsrgemm_fill_block_per_row_2x2ILj256ELj16ELj256ELj137EiifEEv20rocsparse_direction_T4_S2_PKS2_S4_NS_24const_host_device_scalarIT5_EEPKT3_S4_PKS6_SA_S4_SC_S7_SA_S4_SC_SA_PS2_PS6_21rocsparse_index_base_SF_SF_SF_bbb
		.amdhsa_group_segment_fixed_size 0
		.amdhsa_private_segment_fixed_size 0
		.amdhsa_kernarg_size 164
		.amdhsa_user_sgpr_count 15
		.amdhsa_user_sgpr_dispatch_ptr 0
		.amdhsa_user_sgpr_queue_ptr 0
		.amdhsa_user_sgpr_kernarg_segment_ptr 1
		.amdhsa_user_sgpr_dispatch_id 0
		.amdhsa_user_sgpr_private_segment_size 0
		.amdhsa_wavefront_size32 1
		.amdhsa_uses_dynamic_stack 0
		.amdhsa_enable_private_segment 0
		.amdhsa_system_sgpr_workgroup_id_x 1
		.amdhsa_system_sgpr_workgroup_id_y 0
		.amdhsa_system_sgpr_workgroup_id_z 0
		.amdhsa_system_sgpr_workgroup_info 0
		.amdhsa_system_vgpr_workitem_id 0
		.amdhsa_next_free_vgpr 24
		.amdhsa_next_free_sgpr 46
		.amdhsa_reserve_vcc 1
		.amdhsa_float_round_mode_32 0
		.amdhsa_float_round_mode_16_64 0
		.amdhsa_float_denorm_mode_32 3
		.amdhsa_float_denorm_mode_16_64 3
		.amdhsa_dx10_clamp 1
		.amdhsa_ieee_mode 1
		.amdhsa_fp16_overflow 0
		.amdhsa_workgroup_processor_mode 1
		.amdhsa_memory_ordered 1
		.amdhsa_forward_progress 0
		.amdhsa_shared_vgpr_count 0
		.amdhsa_exception_fp_ieee_invalid_op 0
		.amdhsa_exception_fp_denorm_src 0
		.amdhsa_exception_fp_ieee_div_zero 0
		.amdhsa_exception_fp_ieee_overflow 0
		.amdhsa_exception_fp_ieee_underflow 0
		.amdhsa_exception_fp_ieee_inexact 0
		.amdhsa_exception_int_div_zero 0
	.end_amdhsa_kernel
	.section	.text._ZN9rocsparseL30bsrgemm_fill_block_per_row_2x2ILj256ELj16ELj256ELj137EiifEEv20rocsparse_direction_T4_S2_PKS2_S4_NS_24const_host_device_scalarIT5_EEPKT3_S4_PKS6_SA_S4_SC_S7_SA_S4_SC_SA_PS2_PS6_21rocsparse_index_base_SF_SF_SF_bbb,"axG",@progbits,_ZN9rocsparseL30bsrgemm_fill_block_per_row_2x2ILj256ELj16ELj256ELj137EiifEEv20rocsparse_direction_T4_S2_PKS2_S4_NS_24const_host_device_scalarIT5_EEPKT3_S4_PKS6_SA_S4_SC_S7_SA_S4_SC_SA_PS2_PS6_21rocsparse_index_base_SF_SF_SF_bbb,comdat
.Lfunc_end10:
	.size	_ZN9rocsparseL30bsrgemm_fill_block_per_row_2x2ILj256ELj16ELj256ELj137EiifEEv20rocsparse_direction_T4_S2_PKS2_S4_NS_24const_host_device_scalarIT5_EEPKT3_S4_PKS6_SA_S4_SC_S7_SA_S4_SC_SA_PS2_PS6_21rocsparse_index_base_SF_SF_SF_bbb, .Lfunc_end10-_ZN9rocsparseL30bsrgemm_fill_block_per_row_2x2ILj256ELj16ELj256ELj137EiifEEv20rocsparse_direction_T4_S2_PKS2_S4_NS_24const_host_device_scalarIT5_EEPKT3_S4_PKS6_SA_S4_SC_S7_SA_S4_SC_SA_PS2_PS6_21rocsparse_index_base_SF_SF_SF_bbb
                                        ; -- End function
	.section	.AMDGPU.csdata,"",@progbits
; Kernel info:
; codeLenInByte = 4104
; NumSgprs: 48
; NumVgprs: 24
; ScratchSize: 0
; MemoryBound: 0
; FloatMode: 240
; IeeeMode: 1
; LDSByteSize: 0 bytes/workgroup (compile time only)
; SGPRBlocks: 5
; VGPRBlocks: 2
; NumSGPRsForWavesPerEU: 48
; NumVGPRsForWavesPerEU: 24
; Occupancy: 16
; WaveLimiterHint : 1
; COMPUTE_PGM_RSRC2:SCRATCH_EN: 0
; COMPUTE_PGM_RSRC2:USER_SGPR: 15
; COMPUTE_PGM_RSRC2:TRAP_HANDLER: 0
; COMPUTE_PGM_RSRC2:TGID_X_EN: 1
; COMPUTE_PGM_RSRC2:TGID_Y_EN: 0
; COMPUTE_PGM_RSRC2:TGID_Z_EN: 0
; COMPUTE_PGM_RSRC2:TIDIG_COMP_CNT: 0
	.section	.text._ZN9rocsparseL30bsrgemm_fill_block_per_row_2x2ILj256ELj16ELj512ELj137EiifEEv20rocsparse_direction_T4_S2_PKS2_S4_NS_24const_host_device_scalarIT5_EEPKT3_S4_PKS6_SA_S4_SC_S7_SA_S4_SC_SA_PS2_PS6_21rocsparse_index_base_SF_SF_SF_bbb,"axG",@progbits,_ZN9rocsparseL30bsrgemm_fill_block_per_row_2x2ILj256ELj16ELj512ELj137EiifEEv20rocsparse_direction_T4_S2_PKS2_S4_NS_24const_host_device_scalarIT5_EEPKT3_S4_PKS6_SA_S4_SC_S7_SA_S4_SC_SA_PS2_PS6_21rocsparse_index_base_SF_SF_SF_bbb,comdat
	.globl	_ZN9rocsparseL30bsrgemm_fill_block_per_row_2x2ILj256ELj16ELj512ELj137EiifEEv20rocsparse_direction_T4_S2_PKS2_S4_NS_24const_host_device_scalarIT5_EEPKT3_S4_PKS6_SA_S4_SC_S7_SA_S4_SC_SA_PS2_PS6_21rocsparse_index_base_SF_SF_SF_bbb ; -- Begin function _ZN9rocsparseL30bsrgemm_fill_block_per_row_2x2ILj256ELj16ELj512ELj137EiifEEv20rocsparse_direction_T4_S2_PKS2_S4_NS_24const_host_device_scalarIT5_EEPKT3_S4_PKS6_SA_S4_SC_S7_SA_S4_SC_SA_PS2_PS6_21rocsparse_index_base_SF_SF_SF_bbb
	.p2align	8
	.type	_ZN9rocsparseL30bsrgemm_fill_block_per_row_2x2ILj256ELj16ELj512ELj137EiifEEv20rocsparse_direction_T4_S2_PKS2_S4_NS_24const_host_device_scalarIT5_EEPKT3_S4_PKS6_SA_S4_SC_S7_SA_S4_SC_SA_PS2_PS6_21rocsparse_index_base_SF_SF_SF_bbb,@function
_ZN9rocsparseL30bsrgemm_fill_block_per_row_2x2ILj256ELj16ELj512ELj137EiifEEv20rocsparse_direction_T4_S2_PKS2_S4_NS_24const_host_device_scalarIT5_EEPKT3_S4_PKS6_SA_S4_SC_S7_SA_S4_SC_SA_PS2_PS6_21rocsparse_index_base_SF_SF_SF_bbb: ; @_ZN9rocsparseL30bsrgemm_fill_block_per_row_2x2ILj256ELj16ELj512ELj137EiifEEv20rocsparse_direction_T4_S2_PKS2_S4_NS_24const_host_device_scalarIT5_EEPKT3_S4_PKS6_SA_S4_SC_S7_SA_S4_SC_SA_PS2_PS6_21rocsparse_index_base_SF_SF_SF_bbb
; %bb.0:
	s_clause 0x2
	s_load_b32 s6, s[0:1], 0xa0
	s_load_b64 s[4:5], s[0:1], 0x20
	s_load_b64 s[2:3], s[0:1], 0x58
	s_mov_b32 s34, s15
	s_waitcnt lgkmcnt(0)
	s_bitcmp1_b32 s6, 0
	s_cselect_b32 s35, -1, 0
	s_bitcmp1_b32 s6, 16
	s_cselect_b32 s7, -1, 0
	s_xor_b32 s8, s35, -1
	s_delay_alu instid0(SALU_CYCLE_1) | instskip(NEXT) | instid1(SALU_CYCLE_1)
	s_or_b32 s8, s8, s7
	s_and_b32 vcc_lo, exec_lo, s8
	s_cbranch_vccnz .LBB11_2
; %bb.1:
	s_load_b32 s4, s[4:5], 0x0
	s_waitcnt lgkmcnt(0)
	v_mov_b32_e32 v5, s4
	s_branch .LBB11_3
.LBB11_2:
	v_cndmask_b32_e64 v5, 0, s4, s35
.LBB11_3:
	s_bitcmp1_b32 s6, 8
	s_cselect_b32 s33, -1, 0
	s_delay_alu instid0(SALU_CYCLE_1) | instskip(NEXT) | instid1(SALU_CYCLE_1)
	s_xor_b32 s4, s33, -1
	s_or_b32 s4, s4, s7
	s_delay_alu instid0(SALU_CYCLE_1)
	s_and_b32 vcc_lo, exec_lo, s4
	s_cbranch_vccnz .LBB11_5
; %bb.4:
	s_load_b32 s2, s[2:3], 0x0
	s_waitcnt lgkmcnt(0)
	v_mov_b32_e32 v4, s2
	s_branch .LBB11_6
.LBB11_5:
	v_cndmask_b32_e64 v4, 0, s2, s33
.LBB11_6:
	s_clause 0x1
	s_load_b128 s[20:23], s[0:1], 0x90
	s_load_b32 s3, s[0:1], 0x8
	v_cmp_gt_u32_e64 s2, 0x200, v0
	v_lshlrev_b32_e32 v2, 2, v0
	v_or_b32_e32 v1, 0xffffff00, v0
	s_mov_b32 s4, exec_lo
	v_cmpx_lt_u32_e32 0x1ff, v0
	s_xor_b32 s4, exec_lo, s4
; %bb.7:
	v_lshlrev_b32_e32 v2, 2, v0
	v_or_b32_e32 v1, 0xffffff00, v0
; %bb.8:
	s_or_saveexec_b32 s40, s4
	s_clause 0x4
	s_load_b128 s[24:27], s[0:1], 0x80
	s_load_b256 s[4:11], s[0:1], 0x60
	s_load_b128 s[28:31], s[0:1], 0x48
	s_load_b128 s[36:39], s[0:1], 0x10
	s_load_b256 s[12:19], s[0:1], 0x28
	s_xor_b32 exec_lo, exec_lo, s40
	s_cbranch_execz .LBB11_12
; %bb.9:
	s_waitcnt lgkmcnt(0)
	v_dual_mov_b32 v6, s3 :: v_dual_add_nc_u32 v3, 0, v2
	v_mov_b32_e32 v7, v1
	s_mov_b32 s41, 0
.LBB11_10:                              ; =>This Inner Loop Header: Depth=1
	s_delay_alu instid0(VALU_DEP_1) | instskip(NEXT) | instid1(VALU_DEP_1)
	v_add_co_u32 v7, s42, 0x100, v7
	s_xor_b32 s42, s42, -1
	ds_store_b32 v3, v6
	v_add_nc_u32_e32 v3, 0x400, v3
	s_and_b32 s42, exec_lo, s42
	s_delay_alu instid0(SALU_CYCLE_1) | instskip(NEXT) | instid1(SALU_CYCLE_1)
	s_or_b32 s41, s42, s41
	s_and_not1_b32 exec_lo, exec_lo, s41
	s_cbranch_execnz .LBB11_10
; %bb.11:
	s_or_b32 exec_lo, exec_lo, s41
.LBB11_12:
	s_delay_alu instid0(SALU_CYCLE_1)
	s_or_b32 exec_lo, exec_lo, s40
	v_add3_u32 v2, v2, 0, 0x800
	v_mov_b32_e32 v3, 0
	s_mov_b32 s40, 0
.LBB11_13:                              ; =>This Inner Loop Header: Depth=1
	v_add_nc_u32_e32 v1, 0x100, v1
	ds_store_b32 v2, v3
	v_add_nc_u32_e32 v2, 0x400, v2
	v_cmp_lt_u32_e32 vcc_lo, 0x6ff, v1
	s_or_b32 s40, vcc_lo, s40
	s_delay_alu instid0(SALU_CYCLE_1)
	s_and_not1_b32 exec_lo, exec_lo, s40
	s_cbranch_execnz .LBB11_13
; %bb.14:
	s_or_b32 exec_lo, exec_lo, s40
	s_waitcnt lgkmcnt(0)
	s_cmp_lg_u64 s[38:39], 0
	s_barrier
	buffer_gl0_inv
	s_cbranch_scc0 .LBB11_16
; %bb.15:
	s_load_b32 s36, s[36:37], 0x0
	s_mov_b32 s37, 0
	s_waitcnt lgkmcnt(0)
	s_add_i32 s36, s36, s34
	s_delay_alu instid0(SALU_CYCLE_1) | instskip(NEXT) | instid1(SALU_CYCLE_1)
	s_lshl_b64 s[36:37], s[36:37], 2
	s_add_u32 s36, s38, s36
	s_addc_u32 s37, s39, s37
	s_load_b32 s34, s[36:37], 0x0
.LBB11_16:
	s_load_b32 s0, s[0:1], 0x0
	s_and_not1_b32 vcc_lo, exec_lo, s35
	s_waitcnt lgkmcnt(0)
	s_ashr_i32 s35, s34, 31
	s_cbranch_vccnz .LBB11_72
; %bb.17:
	s_lshl_b64 s[36:37], s[34:35], 2
	v_lshrrev_b32_e32 v1, 4, v0
	s_add_u32 s12, s12, s36
	s_addc_u32 s13, s13, s37
	s_load_b64 s[12:13], s[12:13], 0x0
	s_delay_alu instid0(VALU_DEP_1) | instskip(SKIP_1) | instid1(VALU_DEP_1)
	v_subrev_nc_u32_e32 v1, s20, v1
	s_waitcnt lgkmcnt(0)
	v_add_nc_u32_e32 v1, s12, v1
	s_sub_i32 s1, s13, s20
	s_mov_b32 s12, exec_lo
	s_delay_alu instid0(VALU_DEP_1)
	v_cmpx_gt_i32_e64 s1, v1
	s_cbranch_execz .LBB11_71
; %bb.18:
	v_and_b32_e32 v2, 15, v0
	s_cmp_eq_u32 s0, 0
	s_mov_b32 s13, 0
	s_cselect_b32 s36, 1, 2
	s_cselect_b32 s37, 2, 1
	v_subrev_nc_u32_e32 v6, s21, v2
	s_branch .LBB11_20
.LBB11_19:                              ;   in Loop: Header=BB11_20 Depth=1
	s_or_b32 exec_lo, exec_lo, s38
	v_add_nc_u32_e32 v1, 16, v1
	s_delay_alu instid0(VALU_DEP_1) | instskip(SKIP_1) | instid1(SALU_CYCLE_1)
	v_cmp_le_i32_e32 vcc_lo, s1, v1
	s_or_b32 s13, vcc_lo, s13
	s_and_not1_b32 exec_lo, exec_lo, s13
	s_cbranch_execz .LBB11_71
.LBB11_20:                              ; =>This Loop Header: Depth=1
                                        ;     Child Loop BB11_23 Depth 2
                                        ;       Child Loop BB11_25 Depth 3
                                        ;       Child Loop BB11_37 Depth 3
	;; [unrolled: 1-line block ×4, first 2 shown]
	v_ashrrev_i32_e32 v2, 31, v1
	s_mov_b32 s38, exec_lo
	s_delay_alu instid0(VALU_DEP_1) | instskip(NEXT) | instid1(VALU_DEP_1)
	v_lshlrev_b64 v[2:3], 2, v[1:2]
	v_add_co_u32 v2, vcc_lo, s14, v2
	s_delay_alu instid0(VALU_DEP_2) | instskip(SKIP_3) | instid1(VALU_DEP_1)
	v_add_co_ci_u32_e32 v3, vcc_lo, s15, v3, vcc_lo
	global_load_b32 v2, v[2:3], off
	s_waitcnt vmcnt(0)
	v_subrev_nc_u32_e32 v2, s20, v2
	v_ashrrev_i32_e32 v3, 31, v2
	s_delay_alu instid0(VALU_DEP_1) | instskip(NEXT) | instid1(VALU_DEP_1)
	v_lshlrev_b64 v[2:3], 2, v[2:3]
	v_add_co_u32 v2, vcc_lo, s18, v2
	s_delay_alu instid0(VALU_DEP_2) | instskip(SKIP_4) | instid1(VALU_DEP_1)
	v_add_co_ci_u32_e32 v3, vcc_lo, s19, v3, vcc_lo
	global_load_b64 v[2:3], v[2:3], off
	s_waitcnt vmcnt(0)
	v_subrev_nc_u32_e32 v7, s21, v3
	v_add_nc_u32_e32 v2, v2, v6
	v_cmpx_lt_i32_e64 v2, v7
	s_cbranch_execz .LBB11_19
; %bb.21:                               ;   in Loop: Header=BB11_20 Depth=1
	v_lshlrev_b32_e32 v8, 2, v1
	s_mov_b32 s39, 0
	s_delay_alu instid0(VALU_DEP_1) | instskip(SKIP_2) | instid1(VALU_DEP_3)
	v_or_b32_e32 v10, s37, v8
	v_ashrrev_i32_e32 v9, 31, v8
	v_or_b32_e32 v12, s36, v8
	v_ashrrev_i32_e32 v11, 31, v10
	s_delay_alu instid0(VALU_DEP_3) | instskip(NEXT) | instid1(VALU_DEP_3)
	v_lshlrev_b64 v[8:9], 2, v[8:9]
	v_ashrrev_i32_e32 v13, 31, v12
	s_delay_alu instid0(VALU_DEP_3) | instskip(NEXT) | instid1(VALU_DEP_2)
	v_lshlrev_b64 v[10:11], 2, v[10:11]
	v_lshlrev_b64 v[12:13], 2, v[12:13]
	s_delay_alu instid0(VALU_DEP_4) | instskip(SKIP_1) | instid1(VALU_DEP_4)
	v_add_co_u32 v8, vcc_lo, s16, v8
	v_add_co_ci_u32_e32 v9, vcc_lo, s17, v9, vcc_lo
	v_add_co_u32 v10, vcc_lo, s16, v10
	v_add_co_ci_u32_e32 v11, vcc_lo, s17, v11, vcc_lo
	;; [unrolled: 2-line block ×3, first 2 shown]
	s_clause 0x3
	global_load_b32 v3, v[8:9], off offset:12
	global_load_b32 v10, v[10:11], off
	global_load_b32 v11, v[12:13], off
	;; [unrolled: 1-line block ×3, first 2 shown]
	s_waitcnt vmcnt(3)
	v_mul_f32_e32 v8, v5, v3
	s_waitcnt vmcnt(2)
	v_mul_f32_e32 v9, v5, v10
	;; [unrolled: 2-line block ×4, first 2 shown]
	s_branch .LBB11_23
.LBB11_22:                              ;   in Loop: Header=BB11_23 Depth=2
	s_or_b32 exec_lo, exec_lo, s40
	v_add_nc_u32_e32 v2, 16, v2
	s_delay_alu instid0(VALU_DEP_1) | instskip(SKIP_1) | instid1(SALU_CYCLE_1)
	v_cmp_ge_i32_e32 vcc_lo, v2, v7
	s_or_b32 s39, vcc_lo, s39
	s_and_not1_b32 exec_lo, exec_lo, s39
	s_cbranch_execz .LBB11_19
.LBB11_23:                              ;   Parent Loop BB11_20 Depth=1
                                        ; =>  This Loop Header: Depth=2
                                        ;       Child Loop BB11_25 Depth 3
                                        ;       Child Loop BB11_37 Depth 3
	;; [unrolled: 1-line block ×4, first 2 shown]
	v_ashrrev_i32_e32 v3, 31, v2
	v_lshlrev_b32_e32 v12, 2, v2
	s_mov_b32 s40, 0
	s_delay_alu instid0(VALU_DEP_2) | instskip(NEXT) | instid1(VALU_DEP_2)
	v_lshlrev_b64 v[16:17], 2, v[2:3]
	v_or_b32_e32 v14, s37, v12
	v_ashrrev_i32_e32 v13, 31, v12
	v_or_b32_e32 v18, s36, v12
	s_delay_alu instid0(VALU_DEP_3) | instskip(SKIP_2) | instid1(VALU_DEP_3)
	v_ashrrev_i32_e32 v15, 31, v14
	v_add_co_u32 v16, vcc_lo, s28, v16
	v_add_co_ci_u32_e32 v17, vcc_lo, s29, v17, vcc_lo
	v_lshlrev_b64 v[14:15], 2, v[14:15]
	v_lshlrev_b64 v[12:13], 2, v[12:13]
	v_ashrrev_i32_e32 v19, 31, v18
	global_load_b32 v3, v[16:17], off
	v_add_co_u32 v14, vcc_lo, s30, v14
	v_add_co_ci_u32_e32 v15, vcc_lo, s31, v15, vcc_lo
	v_add_co_u32 v12, vcc_lo, s30, v12
	v_add_co_ci_u32_e32 v13, vcc_lo, s31, v13, vcc_lo
	v_lshlrev_b64 v[18:19], 2, v[18:19]
	s_clause 0x1
	global_load_b32 v17, v[14:15], off
	global_load_b32 v16, v[12:13], off
	v_add_co_u32 v14, vcc_lo, s30, v18
	v_add_co_ci_u32_e32 v15, vcc_lo, s31, v19, vcc_lo
	s_clause 0x1
	global_load_b32 v14, v[14:15], off
	global_load_b32 v15, v[12:13], off offset:12
	s_waitcnt vmcnt(4)
	v_subrev_nc_u32_e32 v12, s21, v3
	s_delay_alu instid0(VALU_DEP_1) | instskip(SKIP_1) | instid1(VALU_DEP_1)
	v_mul_lo_u32 v3, 0x89, v12
	s_waitcnt vmcnt(3)
	v_dual_mul_f32 v18, v10, v17 :: v_dual_and_b32 v13, 0x1ff, v3
	s_waitcnt vmcnt(2)
	s_delay_alu instid0(VALU_DEP_1)
	v_dual_fmac_f32 v18, v11, v16 :: v_dual_mov_b32 v19, v13
	s_branch .LBB11_25
.LBB11_24:                              ;   in Loop: Header=BB11_25 Depth=3
	s_or_b32 exec_lo, exec_lo, s41
	s_xor_b32 s41, s42, -1
	s_delay_alu instid0(SALU_CYCLE_1) | instskip(NEXT) | instid1(SALU_CYCLE_1)
	s_and_b32 s41, exec_lo, s41
	s_or_b32 s40, s41, s40
	s_delay_alu instid0(SALU_CYCLE_1)
	s_and_not1_b32 exec_lo, exec_lo, s40
	s_cbranch_execz .LBB11_35
.LBB11_25:                              ;   Parent Loop BB11_20 Depth=1
                                        ;     Parent Loop BB11_23 Depth=2
                                        ; =>    This Inner Loop Header: Depth=3
	s_delay_alu instid0(VALU_DEP_1)
	v_lshl_add_u32 v3, v19, 2, 0
	s_mov_b32 s41, exec_lo
                                        ; implicit-def: $sgpr42
	ds_load_b32 v20, v3
	s_waitcnt lgkmcnt(0)
	v_cmpx_ne_u32_e64 v20, v12
	s_xor_b32 s41, exec_lo, s41
	s_cbranch_execz .LBB11_33
; %bb.26:                               ;   in Loop: Header=BB11_25 Depth=3
	s_mov_b32 s43, exec_lo
                                        ; implicit-def: $sgpr42
	v_cmpx_ne_u32_e64 s3, v20
	s_xor_b32 s43, exec_lo, s43
; %bb.27:                               ;   in Loop: Header=BB11_25 Depth=3
	v_add_nc_u32_e32 v3, 1, v19
	s_mov_b32 s42, -1
	s_delay_alu instid0(VALU_DEP_1)
	v_and_b32_e32 v19, 0x1ff, v3
                                        ; implicit-def: $vgpr3
; %bb.28:                               ;   in Loop: Header=BB11_25 Depth=3
	s_and_not1_saveexec_b32 s43, s43
	s_cbranch_execz .LBB11_32
; %bb.29:                               ;   in Loop: Header=BB11_25 Depth=3
	v_mov_b32_e32 v20, s3
	s_mov_b32 s44, -1
	s_mov_b32 s45, exec_lo
	ds_cmpstore_rtn_b32 v20, v3, v12, v20
	s_waitcnt lgkmcnt(0)
	v_cmpx_eq_u32_e64 s3, v20
	s_cbranch_execz .LBB11_31
; %bb.30:                               ;   in Loop: Header=BB11_25 Depth=3
	v_mad_u64_u32 v[20:21], null, v19, 12, v[3:4]
	s_xor_b32 s44, exec_lo, -1
	ds_add_f32 v20, v18 offset:2048
.LBB11_31:                              ;   in Loop: Header=BB11_25 Depth=3
	s_or_b32 exec_lo, exec_lo, s45
	s_delay_alu instid0(SALU_CYCLE_1) | instskip(SKIP_1) | instid1(SALU_CYCLE_1)
	s_and_not1_b32 s42, s42, exec_lo
	s_and_b32 s44, s44, exec_lo
	s_or_b32 s42, s42, s44
.LBB11_32:                              ;   in Loop: Header=BB11_25 Depth=3
	s_or_b32 exec_lo, exec_lo, s43
	s_delay_alu instid0(SALU_CYCLE_1)
	s_and_b32 s42, s42, exec_lo
                                        ; implicit-def: $vgpr3
.LBB11_33:                              ;   in Loop: Header=BB11_25 Depth=3
	s_and_not1_saveexec_b32 s41, s41
	s_cbranch_execz .LBB11_24
; %bb.34:                               ;   in Loop: Header=BB11_25 Depth=3
	v_mad_u64_u32 v[20:21], null, v19, 12, v[3:4]
	s_and_not1_b32 s42, s42, exec_lo
	ds_add_f32 v20, v18 offset:2048
	s_branch .LBB11_24
.LBB11_35:                              ;   in Loop: Header=BB11_23 Depth=2
	s_or_b32 exec_lo, exec_lo, s40
	s_waitcnt vmcnt(0)
	v_dual_mul_f32 v18, v10, v15 :: v_dual_mov_b32 v19, v13
	s_mov_b32 s40, 0
	s_delay_alu instid0(VALU_DEP_1)
	v_fmac_f32_e32 v18, v11, v14
	s_branch .LBB11_37
.LBB11_36:                              ;   in Loop: Header=BB11_37 Depth=3
	s_or_b32 exec_lo, exec_lo, s41
	s_xor_b32 s41, s42, -1
	s_delay_alu instid0(SALU_CYCLE_1) | instskip(NEXT) | instid1(SALU_CYCLE_1)
	s_and_b32 s41, exec_lo, s41
	s_or_b32 s40, s41, s40
	s_delay_alu instid0(SALU_CYCLE_1)
	s_and_not1_b32 exec_lo, exec_lo, s40
	s_cbranch_execz .LBB11_47
.LBB11_37:                              ;   Parent Loop BB11_20 Depth=1
                                        ;     Parent Loop BB11_23 Depth=2
                                        ; =>    This Inner Loop Header: Depth=3
	s_delay_alu instid0(VALU_DEP_2)
	v_lshl_add_u32 v3, v19, 2, 0
	s_mov_b32 s41, exec_lo
                                        ; implicit-def: $sgpr42
	ds_load_b32 v20, v3
	s_waitcnt lgkmcnt(0)
	v_cmpx_ne_u32_e64 v20, v12
	s_xor_b32 s41, exec_lo, s41
	s_cbranch_execz .LBB11_45
; %bb.38:                               ;   in Loop: Header=BB11_37 Depth=3
	s_mov_b32 s43, exec_lo
                                        ; implicit-def: $sgpr42
	v_cmpx_ne_u32_e64 s3, v20
	s_xor_b32 s43, exec_lo, s43
; %bb.39:                               ;   in Loop: Header=BB11_37 Depth=3
	v_add_nc_u32_e32 v3, 1, v19
	s_mov_b32 s42, -1
	s_delay_alu instid0(VALU_DEP_1)
	v_and_b32_e32 v19, 0x1ff, v3
                                        ; implicit-def: $vgpr3
; %bb.40:                               ;   in Loop: Header=BB11_37 Depth=3
	s_and_not1_saveexec_b32 s43, s43
	s_cbranch_execz .LBB11_44
; %bb.41:                               ;   in Loop: Header=BB11_37 Depth=3
	v_mov_b32_e32 v20, s3
	s_mov_b32 s44, -1
	s_mov_b32 s45, exec_lo
	ds_cmpstore_rtn_b32 v20, v3, v12, v20
	s_waitcnt lgkmcnt(0)
	v_cmpx_eq_u32_e64 s3, v20
	s_cbranch_execz .LBB11_43
; %bb.42:                               ;   in Loop: Header=BB11_37 Depth=3
	v_mad_u64_u32 v[20:21], null, v19, 12, v[3:4]
	s_xor_b32 s44, exec_lo, -1
	ds_add_f32 v20, v18 offset:2052
.LBB11_43:                              ;   in Loop: Header=BB11_37 Depth=3
	s_or_b32 exec_lo, exec_lo, s45
	s_delay_alu instid0(SALU_CYCLE_1) | instskip(SKIP_1) | instid1(SALU_CYCLE_1)
	s_and_not1_b32 s42, s42, exec_lo
	s_and_b32 s44, s44, exec_lo
	s_or_b32 s42, s42, s44
.LBB11_44:                              ;   in Loop: Header=BB11_37 Depth=3
	s_or_b32 exec_lo, exec_lo, s43
	s_delay_alu instid0(SALU_CYCLE_1)
	s_and_b32 s42, s42, exec_lo
                                        ; implicit-def: $vgpr3
.LBB11_45:                              ;   in Loop: Header=BB11_37 Depth=3
	s_and_not1_saveexec_b32 s41, s41
	s_cbranch_execz .LBB11_36
; %bb.46:                               ;   in Loop: Header=BB11_37 Depth=3
	v_mad_u64_u32 v[20:21], null, v19, 12, v[3:4]
	s_and_not1_b32 s42, s42, exec_lo
	ds_add_f32 v20, v18 offset:2052
	s_branch .LBB11_36
.LBB11_47:                              ;   in Loop: Header=BB11_23 Depth=2
	s_or_b32 exec_lo, exec_lo, s40
	v_mul_f32_e32 v17, v8, v17
	s_mov_b32 s40, 0
	s_delay_alu instid0(VALU_DEP_1)
	v_fmac_f32_e32 v17, v9, v16
	v_mov_b32_e32 v16, v13
	s_branch .LBB11_49
.LBB11_48:                              ;   in Loop: Header=BB11_49 Depth=3
	s_or_b32 exec_lo, exec_lo, s41
	s_xor_b32 s41, s42, -1
	s_delay_alu instid0(SALU_CYCLE_1) | instskip(NEXT) | instid1(SALU_CYCLE_1)
	s_and_b32 s41, exec_lo, s41
	s_or_b32 s40, s41, s40
	s_delay_alu instid0(SALU_CYCLE_1)
	s_and_not1_b32 exec_lo, exec_lo, s40
	s_cbranch_execz .LBB11_59
.LBB11_49:                              ;   Parent Loop BB11_20 Depth=1
                                        ;     Parent Loop BB11_23 Depth=2
                                        ; =>    This Inner Loop Header: Depth=3
	s_delay_alu instid0(VALU_DEP_1)
	v_lshl_add_u32 v3, v16, 2, 0
	s_mov_b32 s41, exec_lo
                                        ; implicit-def: $sgpr42
	ds_load_b32 v18, v3
	s_waitcnt lgkmcnt(0)
	v_cmpx_ne_u32_e64 v18, v12
	s_xor_b32 s41, exec_lo, s41
	s_cbranch_execz .LBB11_57
; %bb.50:                               ;   in Loop: Header=BB11_49 Depth=3
	s_mov_b32 s43, exec_lo
                                        ; implicit-def: $sgpr42
	v_cmpx_ne_u32_e64 s3, v18
	s_xor_b32 s43, exec_lo, s43
; %bb.51:                               ;   in Loop: Header=BB11_49 Depth=3
	v_add_nc_u32_e32 v3, 1, v16
	s_mov_b32 s42, -1
	s_delay_alu instid0(VALU_DEP_1)
	v_and_b32_e32 v16, 0x1ff, v3
                                        ; implicit-def: $vgpr3
; %bb.52:                               ;   in Loop: Header=BB11_49 Depth=3
	s_and_not1_saveexec_b32 s43, s43
	s_cbranch_execz .LBB11_56
; %bb.53:                               ;   in Loop: Header=BB11_49 Depth=3
	v_mov_b32_e32 v18, s3
	s_mov_b32 s44, -1
	s_mov_b32 s45, exec_lo
	ds_cmpstore_rtn_b32 v18, v3, v12, v18
	s_waitcnt lgkmcnt(0)
	v_cmpx_eq_u32_e64 s3, v18
	s_cbranch_execz .LBB11_55
; %bb.54:                               ;   in Loop: Header=BB11_49 Depth=3
	v_mad_u64_u32 v[18:19], null, v16, 12, v[3:4]
	s_xor_b32 s44, exec_lo, -1
	ds_add_f32 v18, v17 offset:2056
.LBB11_55:                              ;   in Loop: Header=BB11_49 Depth=3
	s_or_b32 exec_lo, exec_lo, s45
	s_delay_alu instid0(SALU_CYCLE_1) | instskip(SKIP_1) | instid1(SALU_CYCLE_1)
	s_and_not1_b32 s42, s42, exec_lo
	s_and_b32 s44, s44, exec_lo
	s_or_b32 s42, s42, s44
.LBB11_56:                              ;   in Loop: Header=BB11_49 Depth=3
	s_or_b32 exec_lo, exec_lo, s43
	s_delay_alu instid0(SALU_CYCLE_1)
	s_and_b32 s42, s42, exec_lo
                                        ; implicit-def: $vgpr3
.LBB11_57:                              ;   in Loop: Header=BB11_49 Depth=3
	s_and_not1_saveexec_b32 s41, s41
	s_cbranch_execz .LBB11_48
; %bb.58:                               ;   in Loop: Header=BB11_49 Depth=3
	v_mad_u64_u32 v[18:19], null, v16, 12, v[3:4]
	s_and_not1_b32 s42, s42, exec_lo
	ds_add_f32 v18, v17 offset:2056
	s_branch .LBB11_48
.LBB11_59:                              ;   in Loop: Header=BB11_23 Depth=2
	s_or_b32 exec_lo, exec_lo, s40
	v_mul_f32_e32 v15, v8, v15
	s_mov_b32 s40, 0
	s_delay_alu instid0(VALU_DEP_1)
	v_fmac_f32_e32 v15, v9, v14
	s_branch .LBB11_61
.LBB11_60:                              ;   in Loop: Header=BB11_61 Depth=3
	s_or_b32 exec_lo, exec_lo, s41
	s_xor_b32 s41, s42, -1
	s_delay_alu instid0(SALU_CYCLE_1) | instskip(NEXT) | instid1(SALU_CYCLE_1)
	s_and_b32 s41, exec_lo, s41
	s_or_b32 s40, s41, s40
	s_delay_alu instid0(SALU_CYCLE_1)
	s_and_not1_b32 exec_lo, exec_lo, s40
	s_cbranch_execz .LBB11_22
.LBB11_61:                              ;   Parent Loop BB11_20 Depth=1
                                        ;     Parent Loop BB11_23 Depth=2
                                        ; =>    This Inner Loop Header: Depth=3
	v_lshl_add_u32 v3, v13, 2, 0
	s_mov_b32 s41, exec_lo
                                        ; implicit-def: $sgpr42
	ds_load_b32 v14, v3
	s_waitcnt lgkmcnt(0)
	v_cmpx_ne_u32_e64 v14, v12
	s_xor_b32 s41, exec_lo, s41
	s_cbranch_execz .LBB11_69
; %bb.62:                               ;   in Loop: Header=BB11_61 Depth=3
	s_mov_b32 s43, exec_lo
                                        ; implicit-def: $sgpr42
	v_cmpx_ne_u32_e64 s3, v14
	s_xor_b32 s43, exec_lo, s43
; %bb.63:                               ;   in Loop: Header=BB11_61 Depth=3
	v_add_nc_u32_e32 v3, 1, v13
	s_mov_b32 s42, -1
	s_delay_alu instid0(VALU_DEP_1)
	v_and_b32_e32 v13, 0x1ff, v3
                                        ; implicit-def: $vgpr3
; %bb.64:                               ;   in Loop: Header=BB11_61 Depth=3
	s_and_not1_saveexec_b32 s43, s43
	s_cbranch_execz .LBB11_68
; %bb.65:                               ;   in Loop: Header=BB11_61 Depth=3
	v_mov_b32_e32 v14, s3
	s_mov_b32 s44, -1
	s_mov_b32 s45, exec_lo
	ds_cmpstore_rtn_b32 v14, v3, v12, v14
	s_waitcnt lgkmcnt(0)
	v_cmpx_eq_u32_e64 s3, v14
	s_cbranch_execz .LBB11_67
; %bb.66:                               ;   in Loop: Header=BB11_61 Depth=3
	v_mad_u64_u32 v[16:17], null, v13, 12, v[3:4]
	s_xor_b32 s44, exec_lo, -1
	ds_add_f32 v16, v15 offset:2060
.LBB11_67:                              ;   in Loop: Header=BB11_61 Depth=3
	s_or_b32 exec_lo, exec_lo, s45
	s_delay_alu instid0(SALU_CYCLE_1) | instskip(SKIP_1) | instid1(SALU_CYCLE_1)
	s_and_not1_b32 s42, s42, exec_lo
	s_and_b32 s44, s44, exec_lo
	s_or_b32 s42, s42, s44
.LBB11_68:                              ;   in Loop: Header=BB11_61 Depth=3
	s_or_b32 exec_lo, exec_lo, s43
	s_delay_alu instid0(SALU_CYCLE_1)
	s_and_b32 s42, s42, exec_lo
                                        ; implicit-def: $vgpr3
.LBB11_69:                              ;   in Loop: Header=BB11_61 Depth=3
	s_and_not1_saveexec_b32 s41, s41
	s_cbranch_execz .LBB11_60
; %bb.70:                               ;   in Loop: Header=BB11_61 Depth=3
	v_mad_u64_u32 v[16:17], null, v13, 12, v[3:4]
	s_and_not1_b32 s42, s42, exec_lo
	ds_add_f32 v16, v15 offset:2060
	s_branch .LBB11_60
.LBB11_71:
	s_or_b32 exec_lo, exec_lo, s12
.LBB11_72:
	s_delay_alu instid0(SALU_CYCLE_1)
	s_and_not1_b32 vcc_lo, exec_lo, s33
	s_waitcnt lgkmcnt(0)
	s_barrier
	buffer_gl0_inv
	s_cbranch_vccnz .LBB11_125
; %bb.73:
	s_lshl_b64 s[12:13], s[34:35], 2
	v_subrev_nc_u32_e32 v1, s23, v0
	s_add_u32 s4, s4, s12
	s_addc_u32 s5, s5, s13
	s_load_b64 s[4:5], s[4:5], 0x0
	s_waitcnt lgkmcnt(0)
	v_add_nc_u32_e32 v1, s4, v1
	s_sub_i32 s1, s5, s23
	s_mov_b32 s4, exec_lo
	s_delay_alu instid0(VALU_DEP_1)
	v_cmpx_gt_i32_e64 s1, v1
	s_cbranch_execz .LBB11_124
; %bb.74:
	s_cmp_eq_u32 s0, 0
	s_mov_b32 s5, 0
	s_cselect_b32 s12, 1, 2
	s_cselect_b32 s13, 2, 1
	s_branch .LBB11_76
.LBB11_75:                              ;   in Loop: Header=BB11_76 Depth=1
	s_or_b32 exec_lo, exec_lo, s14
	v_add_nc_u32_e32 v1, 0x100, v1
	s_delay_alu instid0(VALU_DEP_1) | instskip(SKIP_1) | instid1(SALU_CYCLE_1)
	v_cmp_le_i32_e32 vcc_lo, s1, v1
	s_or_b32 s5, vcc_lo, s5
	s_and_not1_b32 exec_lo, exec_lo, s5
	s_cbranch_execz .LBB11_124
.LBB11_76:                              ; =>This Loop Header: Depth=1
                                        ;     Child Loop BB11_78 Depth 2
                                        ;     Child Loop BB11_90 Depth 2
	;; [unrolled: 1-line block ×4, first 2 shown]
	v_ashrrev_i32_e32 v2, 31, v1
	v_lshlrev_b32_e32 v5, 2, v1
	s_mov_b32 s14, 0
	s_delay_alu instid0(VALU_DEP_2) | instskip(NEXT) | instid1(VALU_DEP_2)
	v_lshlrev_b64 v[2:3], 2, v[1:2]
	v_ashrrev_i32_e32 v6, 31, v5
	v_or_b32_e32 v7, s13, v5
	s_delay_alu instid0(VALU_DEP_2) | instskip(NEXT) | instid1(VALU_DEP_4)
	v_lshlrev_b64 v[9:10], 2, v[5:6]
	v_add_co_u32 v2, vcc_lo, s6, v2
	v_add_co_ci_u32_e32 v3, vcc_lo, s7, v3, vcc_lo
	v_or_b32_e32 v5, s12, v5
	v_ashrrev_i32_e32 v8, 31, v7
	global_load_b32 v11, v[2:3], off
	v_add_co_u32 v2, vcc_lo, s8, v9
	v_ashrrev_i32_e32 v6, 31, v5
	v_lshlrev_b64 v[7:8], 2, v[7:8]
	v_add_co_ci_u32_e32 v3, vcc_lo, s9, v10, vcc_lo
	s_delay_alu instid0(VALU_DEP_3) | instskip(NEXT) | instid1(VALU_DEP_3)
	v_lshlrev_b64 v[5:6], 2, v[5:6]
	v_add_co_u32 v7, vcc_lo, s8, v7
	s_delay_alu instid0(VALU_DEP_4) | instskip(NEXT) | instid1(VALU_DEP_3)
	v_add_co_ci_u32_e32 v8, vcc_lo, s9, v8, vcc_lo
	v_add_co_u32 v5, vcc_lo, s8, v5
	global_load_b32 v9, v[2:3], off
	v_add_co_ci_u32_e32 v6, vcc_lo, s9, v6, vcc_lo
	s_clause 0x2
	global_load_b32 v7, v[7:8], off
	global_load_b32 v8, v[5:6], off
	global_load_b32 v6, v[2:3], off offset:12
	s_waitcnt vmcnt(4)
	v_subrev_nc_u32_e32 v3, s23, v11
	s_delay_alu instid0(VALU_DEP_1) | instskip(NEXT) | instid1(VALU_DEP_1)
	v_mul_lo_u32 v2, 0x89, v3
	v_and_b32_e32 v5, 0x1ff, v2
	s_waitcnt vmcnt(3)
	s_delay_alu instid0(VALU_DEP_1)
	v_dual_mul_f32 v9, v4, v9 :: v_dual_mov_b32 v10, v5
	s_branch .LBB11_78
.LBB11_77:                              ;   in Loop: Header=BB11_78 Depth=2
	s_or_b32 exec_lo, exec_lo, s15
	s_xor_b32 s15, s16, -1
	s_delay_alu instid0(SALU_CYCLE_1) | instskip(NEXT) | instid1(SALU_CYCLE_1)
	s_and_b32 s15, exec_lo, s15
	s_or_b32 s14, s15, s14
	s_delay_alu instid0(SALU_CYCLE_1)
	s_and_not1_b32 exec_lo, exec_lo, s14
	s_cbranch_execz .LBB11_88
.LBB11_78:                              ;   Parent Loop BB11_76 Depth=1
                                        ; =>  This Inner Loop Header: Depth=2
	s_delay_alu instid0(VALU_DEP_1)
	v_lshl_add_u32 v2, v10, 2, 0
	s_mov_b32 s15, exec_lo
                                        ; implicit-def: $sgpr16
	ds_load_b32 v11, v2
	s_waitcnt lgkmcnt(0)
	v_cmpx_ne_u32_e64 v11, v3
	s_xor_b32 s15, exec_lo, s15
	s_cbranch_execz .LBB11_86
; %bb.79:                               ;   in Loop: Header=BB11_78 Depth=2
	s_mov_b32 s17, exec_lo
                                        ; implicit-def: $sgpr16
	v_cmpx_ne_u32_e64 s3, v11
	s_xor_b32 s17, exec_lo, s17
; %bb.80:                               ;   in Loop: Header=BB11_78 Depth=2
	v_add_nc_u32_e32 v2, 1, v10
	s_mov_b32 s16, -1
	s_delay_alu instid0(VALU_DEP_1)
	v_and_b32_e32 v10, 0x1ff, v2
                                        ; implicit-def: $vgpr2
; %bb.81:                               ;   in Loop: Header=BB11_78 Depth=2
	s_and_not1_saveexec_b32 s17, s17
	s_cbranch_execz .LBB11_85
; %bb.82:                               ;   in Loop: Header=BB11_78 Depth=2
	v_mov_b32_e32 v11, s3
	s_mov_b32 s18, -1
	s_mov_b32 s19, exec_lo
	ds_cmpstore_rtn_b32 v11, v2, v3, v11
	s_waitcnt lgkmcnt(0)
	v_cmpx_eq_u32_e64 s3, v11
	s_cbranch_execz .LBB11_84
; %bb.83:                               ;   in Loop: Header=BB11_78 Depth=2
	v_mad_u64_u32 v[11:12], null, v10, 12, v[2:3]
	s_xor_b32 s18, exec_lo, -1
	ds_add_f32 v11, v9 offset:2048
.LBB11_84:                              ;   in Loop: Header=BB11_78 Depth=2
	s_or_b32 exec_lo, exec_lo, s19
	s_delay_alu instid0(SALU_CYCLE_1) | instskip(SKIP_1) | instid1(SALU_CYCLE_1)
	s_and_not1_b32 s16, s16, exec_lo
	s_and_b32 s18, s18, exec_lo
	s_or_b32 s16, s16, s18
.LBB11_85:                              ;   in Loop: Header=BB11_78 Depth=2
	s_or_b32 exec_lo, exec_lo, s17
	s_delay_alu instid0(SALU_CYCLE_1)
	s_and_b32 s16, s16, exec_lo
                                        ; implicit-def: $vgpr2
.LBB11_86:                              ;   in Loop: Header=BB11_78 Depth=2
	s_and_not1_saveexec_b32 s15, s15
	s_cbranch_execz .LBB11_77
; %bb.87:                               ;   in Loop: Header=BB11_78 Depth=2
	v_mad_u64_u32 v[11:12], null, v10, 12, v[2:3]
	s_and_not1_b32 s16, s16, exec_lo
	ds_add_f32 v11, v9 offset:2048
	s_branch .LBB11_77
.LBB11_88:                              ;   in Loop: Header=BB11_76 Depth=1
	s_or_b32 exec_lo, exec_lo, s14
	s_waitcnt vmcnt(1)
	v_dual_mul_f32 v8, v4, v8 :: v_dual_mov_b32 v9, v5
	s_mov_b32 s14, 0
	s_branch .LBB11_90
.LBB11_89:                              ;   in Loop: Header=BB11_90 Depth=2
	s_or_b32 exec_lo, exec_lo, s15
	s_xor_b32 s15, s16, -1
	s_delay_alu instid0(SALU_CYCLE_1) | instskip(NEXT) | instid1(SALU_CYCLE_1)
	s_and_b32 s15, exec_lo, s15
	s_or_b32 s14, s15, s14
	s_delay_alu instid0(SALU_CYCLE_1)
	s_and_not1_b32 exec_lo, exec_lo, s14
	s_cbranch_execz .LBB11_100
.LBB11_90:                              ;   Parent Loop BB11_76 Depth=1
                                        ; =>  This Inner Loop Header: Depth=2
	s_delay_alu instid0(VALU_DEP_1)
	v_lshl_add_u32 v2, v9, 2, 0
	s_mov_b32 s15, exec_lo
                                        ; implicit-def: $sgpr16
	ds_load_b32 v10, v2
	s_waitcnt lgkmcnt(0)
	v_cmpx_ne_u32_e64 v10, v3
	s_xor_b32 s15, exec_lo, s15
	s_cbranch_execz .LBB11_98
; %bb.91:                               ;   in Loop: Header=BB11_90 Depth=2
	s_mov_b32 s17, exec_lo
                                        ; implicit-def: $sgpr16
	v_cmpx_ne_u32_e64 s3, v10
	s_xor_b32 s17, exec_lo, s17
; %bb.92:                               ;   in Loop: Header=BB11_90 Depth=2
	v_add_nc_u32_e32 v2, 1, v9
	s_mov_b32 s16, -1
	s_delay_alu instid0(VALU_DEP_1)
	v_and_b32_e32 v9, 0x1ff, v2
                                        ; implicit-def: $vgpr2
; %bb.93:                               ;   in Loop: Header=BB11_90 Depth=2
	s_and_not1_saveexec_b32 s17, s17
	s_cbranch_execz .LBB11_97
; %bb.94:                               ;   in Loop: Header=BB11_90 Depth=2
	v_mov_b32_e32 v10, s3
	s_mov_b32 s18, -1
	s_mov_b32 s19, exec_lo
	ds_cmpstore_rtn_b32 v10, v2, v3, v10
	s_waitcnt lgkmcnt(0)
	v_cmpx_eq_u32_e64 s3, v10
	s_cbranch_execz .LBB11_96
; %bb.95:                               ;   in Loop: Header=BB11_90 Depth=2
	v_mad_u64_u32 v[10:11], null, v9, 12, v[2:3]
	s_xor_b32 s18, exec_lo, -1
	ds_add_f32 v10, v8 offset:2052
.LBB11_96:                              ;   in Loop: Header=BB11_90 Depth=2
	s_or_b32 exec_lo, exec_lo, s19
	s_delay_alu instid0(SALU_CYCLE_1) | instskip(SKIP_1) | instid1(SALU_CYCLE_1)
	s_and_not1_b32 s16, s16, exec_lo
	s_and_b32 s18, s18, exec_lo
	s_or_b32 s16, s16, s18
.LBB11_97:                              ;   in Loop: Header=BB11_90 Depth=2
	s_or_b32 exec_lo, exec_lo, s17
	s_delay_alu instid0(SALU_CYCLE_1)
	s_and_b32 s16, s16, exec_lo
                                        ; implicit-def: $vgpr2
.LBB11_98:                              ;   in Loop: Header=BB11_90 Depth=2
	s_and_not1_saveexec_b32 s15, s15
	s_cbranch_execz .LBB11_89
; %bb.99:                               ;   in Loop: Header=BB11_90 Depth=2
	v_mad_u64_u32 v[10:11], null, v9, 12, v[2:3]
	s_and_not1_b32 s16, s16, exec_lo
	ds_add_f32 v10, v8 offset:2052
	s_branch .LBB11_89
.LBB11_100:                             ;   in Loop: Header=BB11_76 Depth=1
	s_or_b32 exec_lo, exec_lo, s14
	v_dual_mul_f32 v7, v4, v7 :: v_dual_mov_b32 v8, v5
	s_mov_b32 s14, 0
	s_branch .LBB11_102
.LBB11_101:                             ;   in Loop: Header=BB11_102 Depth=2
	s_or_b32 exec_lo, exec_lo, s15
	s_xor_b32 s15, s16, -1
	s_delay_alu instid0(SALU_CYCLE_1) | instskip(NEXT) | instid1(SALU_CYCLE_1)
	s_and_b32 s15, exec_lo, s15
	s_or_b32 s14, s15, s14
	s_delay_alu instid0(SALU_CYCLE_1)
	s_and_not1_b32 exec_lo, exec_lo, s14
	s_cbranch_execz .LBB11_112
.LBB11_102:                             ;   Parent Loop BB11_76 Depth=1
                                        ; =>  This Inner Loop Header: Depth=2
	s_delay_alu instid0(VALU_DEP_1)
	v_lshl_add_u32 v2, v8, 2, 0
	s_mov_b32 s15, exec_lo
                                        ; implicit-def: $sgpr16
	ds_load_b32 v9, v2
	s_waitcnt lgkmcnt(0)
	v_cmpx_ne_u32_e64 v9, v3
	s_xor_b32 s15, exec_lo, s15
	s_cbranch_execz .LBB11_110
; %bb.103:                              ;   in Loop: Header=BB11_102 Depth=2
	s_mov_b32 s17, exec_lo
                                        ; implicit-def: $sgpr16
	v_cmpx_ne_u32_e64 s3, v9
	s_xor_b32 s17, exec_lo, s17
; %bb.104:                              ;   in Loop: Header=BB11_102 Depth=2
	v_add_nc_u32_e32 v2, 1, v8
	s_mov_b32 s16, -1
	s_delay_alu instid0(VALU_DEP_1)
	v_and_b32_e32 v8, 0x1ff, v2
                                        ; implicit-def: $vgpr2
; %bb.105:                              ;   in Loop: Header=BB11_102 Depth=2
	s_and_not1_saveexec_b32 s17, s17
	s_cbranch_execz .LBB11_109
; %bb.106:                              ;   in Loop: Header=BB11_102 Depth=2
	v_mov_b32_e32 v9, s3
	s_mov_b32 s18, -1
	s_mov_b32 s19, exec_lo
	ds_cmpstore_rtn_b32 v9, v2, v3, v9
	s_waitcnt lgkmcnt(0)
	v_cmpx_eq_u32_e64 s3, v9
	s_cbranch_execz .LBB11_108
; %bb.107:                              ;   in Loop: Header=BB11_102 Depth=2
	v_mad_u64_u32 v[9:10], null, v8, 12, v[2:3]
	s_xor_b32 s18, exec_lo, -1
	ds_add_f32 v9, v7 offset:2056
.LBB11_108:                             ;   in Loop: Header=BB11_102 Depth=2
	s_or_b32 exec_lo, exec_lo, s19
	s_delay_alu instid0(SALU_CYCLE_1) | instskip(SKIP_1) | instid1(SALU_CYCLE_1)
	s_and_not1_b32 s16, s16, exec_lo
	s_and_b32 s18, s18, exec_lo
	s_or_b32 s16, s16, s18
.LBB11_109:                             ;   in Loop: Header=BB11_102 Depth=2
	s_or_b32 exec_lo, exec_lo, s17
	s_delay_alu instid0(SALU_CYCLE_1)
	s_and_b32 s16, s16, exec_lo
                                        ; implicit-def: $vgpr2
.LBB11_110:                             ;   in Loop: Header=BB11_102 Depth=2
	s_and_not1_saveexec_b32 s15, s15
	s_cbranch_execz .LBB11_101
; %bb.111:                              ;   in Loop: Header=BB11_102 Depth=2
	v_mad_u64_u32 v[9:10], null, v8, 12, v[2:3]
	s_and_not1_b32 s16, s16, exec_lo
	ds_add_f32 v9, v7 offset:2056
	s_branch .LBB11_101
.LBB11_112:                             ;   in Loop: Header=BB11_76 Depth=1
	s_or_b32 exec_lo, exec_lo, s14
	s_waitcnt vmcnt(0)
	v_mul_f32_e32 v6, v4, v6
	s_mov_b32 s14, 0
	s_branch .LBB11_114
.LBB11_113:                             ;   in Loop: Header=BB11_114 Depth=2
	s_or_b32 exec_lo, exec_lo, s15
	s_xor_b32 s15, s16, -1
	s_delay_alu instid0(SALU_CYCLE_1) | instskip(NEXT) | instid1(SALU_CYCLE_1)
	s_and_b32 s15, exec_lo, s15
	s_or_b32 s14, s15, s14
	s_delay_alu instid0(SALU_CYCLE_1)
	s_and_not1_b32 exec_lo, exec_lo, s14
	s_cbranch_execz .LBB11_75
.LBB11_114:                             ;   Parent Loop BB11_76 Depth=1
                                        ; =>  This Inner Loop Header: Depth=2
	v_lshl_add_u32 v2, v5, 2, 0
	s_mov_b32 s15, exec_lo
                                        ; implicit-def: $sgpr16
	ds_load_b32 v7, v2
	s_waitcnt lgkmcnt(0)
	v_cmpx_ne_u32_e64 v7, v3
	s_xor_b32 s15, exec_lo, s15
	s_cbranch_execz .LBB11_122
; %bb.115:                              ;   in Loop: Header=BB11_114 Depth=2
	s_mov_b32 s17, exec_lo
                                        ; implicit-def: $sgpr16
	v_cmpx_ne_u32_e64 s3, v7
	s_xor_b32 s17, exec_lo, s17
; %bb.116:                              ;   in Loop: Header=BB11_114 Depth=2
	v_add_nc_u32_e32 v2, 1, v5
	s_mov_b32 s16, -1
	s_delay_alu instid0(VALU_DEP_1)
	v_and_b32_e32 v5, 0x1ff, v2
                                        ; implicit-def: $vgpr2
; %bb.117:                              ;   in Loop: Header=BB11_114 Depth=2
	s_and_not1_saveexec_b32 s17, s17
	s_cbranch_execz .LBB11_121
; %bb.118:                              ;   in Loop: Header=BB11_114 Depth=2
	v_mov_b32_e32 v7, s3
	s_mov_b32 s18, -1
	s_mov_b32 s19, exec_lo
	ds_cmpstore_rtn_b32 v7, v2, v3, v7
	s_waitcnt lgkmcnt(0)
	v_cmpx_eq_u32_e64 s3, v7
	s_cbranch_execz .LBB11_120
; %bb.119:                              ;   in Loop: Header=BB11_114 Depth=2
	v_mad_u64_u32 v[7:8], null, v5, 12, v[2:3]
	s_xor_b32 s18, exec_lo, -1
	ds_add_f32 v7, v6 offset:2060
.LBB11_120:                             ;   in Loop: Header=BB11_114 Depth=2
	s_or_b32 exec_lo, exec_lo, s19
	s_delay_alu instid0(SALU_CYCLE_1) | instskip(SKIP_1) | instid1(SALU_CYCLE_1)
	s_and_not1_b32 s16, s16, exec_lo
	s_and_b32 s18, s18, exec_lo
	s_or_b32 s16, s16, s18
.LBB11_121:                             ;   in Loop: Header=BB11_114 Depth=2
	s_or_b32 exec_lo, exec_lo, s17
	s_delay_alu instid0(SALU_CYCLE_1)
	s_and_b32 s16, s16, exec_lo
                                        ; implicit-def: $vgpr2
.LBB11_122:                             ;   in Loop: Header=BB11_114 Depth=2
	s_and_not1_saveexec_b32 s15, s15
	s_cbranch_execz .LBB11_113
; %bb.123:                              ;   in Loop: Header=BB11_114 Depth=2
	v_mad_u64_u32 v[7:8], null, v5, 12, v[2:3]
	s_and_not1_b32 s16, s16, exec_lo
	ds_add_f32 v7, v6 offset:2060
	s_branch .LBB11_113
.LBB11_124:
	s_or_b32 exec_lo, exec_lo, s4
.LBB11_125:
	s_waitcnt lgkmcnt(0)
	s_barrier
	buffer_gl0_inv
	s_and_saveexec_b32 s1, s2
	s_cbranch_execz .LBB11_132
; %bb.126:
	s_lshl_b64 s[4:5], s[34:35], 2
	s_delay_alu instid0(SALU_CYCLE_1)
	s_add_u32 s4, s10, s4
	s_addc_u32 s5, s11, s5
	s_load_b32 s1, s[4:5], 0x0
	s_waitcnt lgkmcnt(0)
	s_sub_i32 s1, s1, s22
	s_cmp_eq_u32 s0, 0
	s_mov_b32 s0, 0
	s_cselect_b32 s2, 1, 2
	s_cselect_b32 s4, 2, 1
	s_add_i32 s5, 0, 0x800
	s_branch .LBB11_128
.LBB11_127:                             ;   in Loop: Header=BB11_128 Depth=1
	s_or_b32 exec_lo, exec_lo, s6
	v_add_nc_u32_e32 v1, 0x100, v0
	v_cmp_lt_u32_e32 vcc_lo, 0xff, v0
	s_delay_alu instid0(VALU_DEP_2) | instskip(SKIP_1) | instid1(SALU_CYCLE_1)
	v_mov_b32_e32 v0, v1
	s_or_b32 s0, vcc_lo, s0
	s_and_not1_b32 exec_lo, exec_lo, s0
	s_cbranch_execz .LBB11_132
.LBB11_128:                             ; =>This Loop Header: Depth=1
                                        ;     Child Loop BB11_130 Depth 2
	s_delay_alu instid0(VALU_DEP_1)
	v_lshl_add_u32 v1, v0, 2, 0
	s_mov_b32 s6, exec_lo
	ds_load_b32 v3, v1
	s_waitcnt lgkmcnt(0)
	v_cmpx_gt_i32_e64 s3, v3
	s_cbranch_execz .LBB11_127
; %bb.129:                              ;   in Loop: Header=BB11_128 Depth=1
	v_mov_b32_e32 v1, s1
	s_mov_b32 s7, 0
.LBB11_130:                             ;   Parent Loop BB11_128 Depth=1
                                        ; =>  This Inner Loop Header: Depth=2
	s_delay_alu instid0(SALU_CYCLE_1)
	s_add_i32 s8, s7, 0
	s_add_i32 s7, s7, 64
	v_mov_b32_e32 v2, s8
	s_cmpk_lg_i32 s7, 0x800
	ds_load_2addr_b32 v[4:5], v2 offset1:1
	ds_load_2addr_b32 v[6:7], v2 offset0:2 offset1:3
	ds_load_2addr_b32 v[8:9], v2 offset0:4 offset1:5
	;; [unrolled: 1-line block ×7, first 2 shown]
	s_waitcnt lgkmcnt(7)
	v_cmp_gt_i32_e32 vcc_lo, v3, v4
	v_cndmask_b32_e64 v2, 0, 1, vcc_lo
	s_waitcnt lgkmcnt(6)
	v_cmp_gt_i32_e32 vcc_lo, v3, v6
	v_cndmask_b32_e64 v4, 0, 1, vcc_lo
	v_cmp_gt_i32_e32 vcc_lo, v3, v5
	v_add_co_ci_u32_e32 v1, vcc_lo, v1, v2, vcc_lo
	s_waitcnt lgkmcnt(5)
	v_cmp_gt_i32_e32 vcc_lo, v3, v8
	v_cndmask_b32_e64 v2, 0, 1, vcc_lo
	v_cmp_gt_i32_e32 vcc_lo, v3, v7
	v_add_co_ci_u32_e32 v1, vcc_lo, v1, v4, vcc_lo
	;; [unrolled: 5-line block ×7, first 2 shown]
	v_cmp_gt_i32_e32 vcc_lo, v3, v19
	s_delay_alu instid0(VALU_DEP_2)
	v_add_co_ci_u32_e32 v1, vcc_lo, v1, v4, vcc_lo
	s_cbranch_scc1 .LBB11_130
; %bb.131:                              ;   in Loop: Header=BB11_128 Depth=1
	v_lshl_add_u32 v4, v0, 4, s5
	v_add_nc_u32_e32 v12, s22, v3
	s_delay_alu instid0(VALU_DEP_3) | instskip(SKIP_3) | instid1(VALU_DEP_1)
	v_lshlrev_b32_e32 v6, 2, v1
	ds_load_2addr_b32 v[8:9], v4 offset1:3
	v_lshlrev_b32_e32 v2, 2, v0
	v_ashrrev_i32_e32 v7, 31, v6
	v_lshlrev_b64 v[6:7], 2, v[6:7]
	s_waitcnt lgkmcnt(0)
	v_mov_b32_e32 v3, v8
	v_or_b32_e32 v5, s2, v2
	v_or_b32_e32 v2, s4, v2
	s_delay_alu instid0(VALU_DEP_2) | instskip(NEXT) | instid1(VALU_DEP_2)
	v_lshl_add_u32 v4, v5, 2, s5
	v_lshl_add_u32 v5, v2, 2, s5
	v_ashrrev_i32_e32 v2, 31, v1
	ds_load_b32 v4, v4
	ds_load_b32 v5, v5
	v_lshlrev_b64 v[1:2], 2, v[1:2]
	s_delay_alu instid0(VALU_DEP_1) | instskip(NEXT) | instid1(VALU_DEP_2)
	v_add_co_u32 v1, vcc_lo, s24, v1
	v_add_co_ci_u32_e32 v2, vcc_lo, s25, v2, vcc_lo
	v_add_co_u32 v10, vcc_lo, s26, v6
	v_add_co_ci_u32_e32 v11, vcc_lo, s27, v7, vcc_lo
	v_mov_b32_e32 v6, v9
	global_store_b32 v[1:2], v12, off
	s_waitcnt lgkmcnt(0)
	global_store_b128 v[10:11], v[3:6], off
	s_branch .LBB11_127
.LBB11_132:
	s_nop 0
	s_sendmsg sendmsg(MSG_DEALLOC_VGPRS)
	s_endpgm
	.section	.rodata,"a",@progbits
	.p2align	6, 0x0
	.amdhsa_kernel _ZN9rocsparseL30bsrgemm_fill_block_per_row_2x2ILj256ELj16ELj512ELj137EiifEEv20rocsparse_direction_T4_S2_PKS2_S4_NS_24const_host_device_scalarIT5_EEPKT3_S4_PKS6_SA_S4_SC_S7_SA_S4_SC_SA_PS2_PS6_21rocsparse_index_base_SF_SF_SF_bbb
		.amdhsa_group_segment_fixed_size 0
		.amdhsa_private_segment_fixed_size 0
		.amdhsa_kernarg_size 164
		.amdhsa_user_sgpr_count 15
		.amdhsa_user_sgpr_dispatch_ptr 0
		.amdhsa_user_sgpr_queue_ptr 0
		.amdhsa_user_sgpr_kernarg_segment_ptr 1
		.amdhsa_user_sgpr_dispatch_id 0
		.amdhsa_user_sgpr_private_segment_size 0
		.amdhsa_wavefront_size32 1
		.amdhsa_uses_dynamic_stack 0
		.amdhsa_enable_private_segment 0
		.amdhsa_system_sgpr_workgroup_id_x 1
		.amdhsa_system_sgpr_workgroup_id_y 0
		.amdhsa_system_sgpr_workgroup_id_z 0
		.amdhsa_system_sgpr_workgroup_info 0
		.amdhsa_system_vgpr_workitem_id 0
		.amdhsa_next_free_vgpr 22
		.amdhsa_next_free_sgpr 46
		.amdhsa_reserve_vcc 1
		.amdhsa_float_round_mode_32 0
		.amdhsa_float_round_mode_16_64 0
		.amdhsa_float_denorm_mode_32 3
		.amdhsa_float_denorm_mode_16_64 3
		.amdhsa_dx10_clamp 1
		.amdhsa_ieee_mode 1
		.amdhsa_fp16_overflow 0
		.amdhsa_workgroup_processor_mode 1
		.amdhsa_memory_ordered 1
		.amdhsa_forward_progress 0
		.amdhsa_shared_vgpr_count 0
		.amdhsa_exception_fp_ieee_invalid_op 0
		.amdhsa_exception_fp_denorm_src 0
		.amdhsa_exception_fp_ieee_div_zero 0
		.amdhsa_exception_fp_ieee_overflow 0
		.amdhsa_exception_fp_ieee_underflow 0
		.amdhsa_exception_fp_ieee_inexact 0
		.amdhsa_exception_int_div_zero 0
	.end_amdhsa_kernel
	.section	.text._ZN9rocsparseL30bsrgemm_fill_block_per_row_2x2ILj256ELj16ELj512ELj137EiifEEv20rocsparse_direction_T4_S2_PKS2_S4_NS_24const_host_device_scalarIT5_EEPKT3_S4_PKS6_SA_S4_SC_S7_SA_S4_SC_SA_PS2_PS6_21rocsparse_index_base_SF_SF_SF_bbb,"axG",@progbits,_ZN9rocsparseL30bsrgemm_fill_block_per_row_2x2ILj256ELj16ELj512ELj137EiifEEv20rocsparse_direction_T4_S2_PKS2_S4_NS_24const_host_device_scalarIT5_EEPKT3_S4_PKS6_SA_S4_SC_S7_SA_S4_SC_SA_PS2_PS6_21rocsparse_index_base_SF_SF_SF_bbb,comdat
.Lfunc_end11:
	.size	_ZN9rocsparseL30bsrgemm_fill_block_per_row_2x2ILj256ELj16ELj512ELj137EiifEEv20rocsparse_direction_T4_S2_PKS2_S4_NS_24const_host_device_scalarIT5_EEPKT3_S4_PKS6_SA_S4_SC_S7_SA_S4_SC_SA_PS2_PS6_21rocsparse_index_base_SF_SF_SF_bbb, .Lfunc_end11-_ZN9rocsparseL30bsrgemm_fill_block_per_row_2x2ILj256ELj16ELj512ELj137EiifEEv20rocsparse_direction_T4_S2_PKS2_S4_NS_24const_host_device_scalarIT5_EEPKT3_S4_PKS6_SA_S4_SC_S7_SA_S4_SC_SA_PS2_PS6_21rocsparse_index_base_SF_SF_SF_bbb
                                        ; -- End function
	.section	.AMDGPU.csdata,"",@progbits
; Kernel info:
; codeLenInByte = 4268
; NumSgprs: 48
; NumVgprs: 22
; ScratchSize: 0
; MemoryBound: 0
; FloatMode: 240
; IeeeMode: 1
; LDSByteSize: 0 bytes/workgroup (compile time only)
; SGPRBlocks: 5
; VGPRBlocks: 2
; NumSGPRsForWavesPerEU: 48
; NumVGPRsForWavesPerEU: 22
; Occupancy: 16
; WaveLimiterHint : 1
; COMPUTE_PGM_RSRC2:SCRATCH_EN: 0
; COMPUTE_PGM_RSRC2:USER_SGPR: 15
; COMPUTE_PGM_RSRC2:TRAP_HANDLER: 0
; COMPUTE_PGM_RSRC2:TGID_X_EN: 1
; COMPUTE_PGM_RSRC2:TGID_Y_EN: 0
; COMPUTE_PGM_RSRC2:TGID_Z_EN: 0
; COMPUTE_PGM_RSRC2:TIDIG_COMP_CNT: 0
	.section	.text._ZN9rocsparseL38bsrgemm_block_per_row_atomic_multipassILj256ELj256ELj2EiifEEv20rocsparse_direction_T3_S2_PKS2_S4_NS_24const_host_device_scalarIT4_EEPKT2_S4_PKS6_SA_S4_SC_S7_SA_S4_SC_SA_PS2_PS6_PS8_21rocsparse_index_base_SG_SG_SG_bbb,"axG",@progbits,_ZN9rocsparseL38bsrgemm_block_per_row_atomic_multipassILj256ELj256ELj2EiifEEv20rocsparse_direction_T3_S2_PKS2_S4_NS_24const_host_device_scalarIT4_EEPKT2_S4_PKS6_SA_S4_SC_S7_SA_S4_SC_SA_PS2_PS6_PS8_21rocsparse_index_base_SG_SG_SG_bbb,comdat
	.globl	_ZN9rocsparseL38bsrgemm_block_per_row_atomic_multipassILj256ELj256ELj2EiifEEv20rocsparse_direction_T3_S2_PKS2_S4_NS_24const_host_device_scalarIT4_EEPKT2_S4_PKS6_SA_S4_SC_S7_SA_S4_SC_SA_PS2_PS6_PS8_21rocsparse_index_base_SG_SG_SG_bbb ; -- Begin function _ZN9rocsparseL38bsrgemm_block_per_row_atomic_multipassILj256ELj256ELj2EiifEEv20rocsparse_direction_T3_S2_PKS2_S4_NS_24const_host_device_scalarIT4_EEPKT2_S4_PKS6_SA_S4_SC_S7_SA_S4_SC_SA_PS2_PS6_PS8_21rocsparse_index_base_SG_SG_SG_bbb
	.p2align	8
	.type	_ZN9rocsparseL38bsrgemm_block_per_row_atomic_multipassILj256ELj256ELj2EiifEEv20rocsparse_direction_T3_S2_PKS2_S4_NS_24const_host_device_scalarIT4_EEPKT2_S4_PKS6_SA_S4_SC_S7_SA_S4_SC_SA_PS2_PS6_PS8_21rocsparse_index_base_SG_SG_SG_bbb,@function
_ZN9rocsparseL38bsrgemm_block_per_row_atomic_multipassILj256ELj256ELj2EiifEEv20rocsparse_direction_T3_S2_PKS2_S4_NS_24const_host_device_scalarIT4_EEPKT2_S4_PKS6_SA_S4_SC_S7_SA_S4_SC_SA_PS2_PS6_PS8_21rocsparse_index_base_SG_SG_SG_bbb: ; @_ZN9rocsparseL38bsrgemm_block_per_row_atomic_multipassILj256ELj256ELj2EiifEEv20rocsparse_direction_T3_S2_PKS2_S4_NS_24const_host_device_scalarIT4_EEPKT2_S4_PKS6_SA_S4_SC_S7_SA_S4_SC_SA_PS2_PS6_PS8_21rocsparse_index_base_SG_SG_SG_bbb
; %bb.0:
	s_clause 0x3
	s_load_b32 s3, s[0:1], 0xa8
	s_load_b128 s[36:39], s[0:1], 0x98
	s_load_b64 s[6:7], s[0:1], 0x20
	s_load_b64 s[4:5], s[0:1], 0x58
	s_mov_b32 s2, s15
	s_waitcnt lgkmcnt(0)
	s_bitcmp1_b32 s3, 0
	s_cselect_b32 s12, -1, 0
	s_bitcmp1_b32 s3, 16
	s_cselect_b32 s8, -1, 0
	s_xor_b32 s9, s12, -1
	s_delay_alu instid0(SALU_CYCLE_1) | instskip(NEXT) | instid1(SALU_CYCLE_1)
	s_or_b32 s9, s9, s8
	s_and_b32 vcc_lo, exec_lo, s9
	s_cbranch_vccnz .LBB12_2
; %bb.1:
	s_load_b32 s6, s[6:7], 0x0
	s_waitcnt lgkmcnt(0)
	v_mov_b32_e32 v12, s6
	s_branch .LBB12_3
.LBB12_2:
	v_cndmask_b32_e64 v12, 0, s6, s12
.LBB12_3:
	s_load_b64 s[6:7], s[0:1], 0x18
	s_bitcmp1_b32 s3, 8
	s_cselect_b32 s15, -1, 0
	s_delay_alu instid0(SALU_CYCLE_1) | instskip(NEXT) | instid1(SALU_CYCLE_1)
	s_xor_b32 s3, s15, -1
	s_or_b32 s3, s3, s8
	s_delay_alu instid0(SALU_CYCLE_1)
	s_and_b32 vcc_lo, exec_lo, s3
	s_cbranch_vccnz .LBB12_5
; %bb.4:
	s_load_b32 s3, s[4:5], 0x0
	s_waitcnt lgkmcnt(0)
	v_mov_b32_e32 v13, s3
	s_load_b64 s[4:5], s[0:1], 0x28
	s_cmp_eq_u64 s[6:7], 0
	s_cbranch_scc0 .LBB12_6
	s_branch .LBB12_7
.LBB12_5:
	v_cndmask_b32_e64 v13, 0, s4, s15
	s_load_b64 s[4:5], s[0:1], 0x28
	s_waitcnt lgkmcnt(0)
	s_cmp_eq_u64 s[6:7], 0
	s_cbranch_scc1 .LBB12_7
.LBB12_6:
	s_load_b64 s[8:9], s[0:1], 0x10
	s_waitcnt lgkmcnt(0)
	s_load_b32 s3, s[8:9], 0x0
	s_waitcnt lgkmcnt(0)
	s_add_i32 s2, s3, s2
	s_mov_b32 s3, 0
	s_delay_alu instid0(SALU_CYCLE_1) | instskip(NEXT) | instid1(SALU_CYCLE_1)
	s_lshl_b64 s[2:3], s[2:3], 2
	s_add_u32 s2, s6, s2
	s_addc_u32 s3, s7, s3
	s_load_b32 s2, s[2:3], 0x0
.LBB12_7:
	s_mov_b32 s33, 0
	s_and_not1_b32 vcc_lo, exec_lo, s12
	s_mov_b32 s50, 0
	s_cbranch_vccz .LBB12_10
; %bb.8:
	s_and_not1_b32 vcc_lo, exec_lo, s12
	s_cbranch_vccz .LBB12_11
.LBB12_9:
	s_load_b128 s[40:43], s[0:1], 0x0
	s_waitcnt lgkmcnt(0)
	s_cmp_lt_i32 s41, 1
	s_cbranch_scc0 .LBB12_12
	s_branch .LBB12_98
.LBB12_10:
	s_waitcnt lgkmcnt(0)
	s_ashr_i32 s3, s2, 31
	s_delay_alu instid0(SALU_CYCLE_1) | instskip(NEXT) | instid1(SALU_CYCLE_1)
	s_lshl_b64 s[6:7], s[2:3], 2
	s_add_u32 s6, s4, s6
	s_addc_u32 s7, s5, s7
	s_load_b32 s3, s[6:7], 0x0
	s_waitcnt lgkmcnt(0)
	s_sub_i32 s50, s3, s36
	s_and_not1_b32 vcc_lo, exec_lo, s12
	s_cbranch_vccnz .LBB12_9
.LBB12_11:
	s_waitcnt lgkmcnt(0)
	s_ashr_i32 s3, s2, 31
	s_delay_alu instid0(SALU_CYCLE_1) | instskip(NEXT) | instid1(SALU_CYCLE_1)
	s_lshl_b64 s[6:7], s[2:3], 2
	s_add_u32 s4, s4, s6
	s_addc_u32 s5, s5, s7
	s_load_b32 s3, s[4:5], 0x4
	s_waitcnt lgkmcnt(0)
	s_sub_i32 s33, s3, s36
	s_load_b128 s[40:43], s[0:1], 0x0
	s_waitcnt lgkmcnt(0)
	s_cmp_lt_i32 s41, 1
	s_cbranch_scc1 .LBB12_98
.LBB12_12:
	s_clause 0x4
	s_load_b256 s[16:23], s[0:1], 0x60
	s_load_b64 s[34:35], s[0:1], 0x90
	s_load_b128 s[44:47], s[0:1], 0x80
	s_load_b64 s[48:49], s[0:1], 0x50
	s_load_b256 s[24:31], s[0:1], 0x30
	s_ashr_i32 s3, s2, 31
	v_dual_mov_b32 v36, 0x100 :: v_dual_and_b32 v1, 1, v0
	s_lshl_b64 s[52:53], s[2:3], 2
	v_bfe_u32 v2, v0, 1, 1
	v_lshrrev_b32_e32 v14, 2, v0
	v_cmp_gt_u32_e64 s0, 0x100, v0
	v_cmp_eq_u32_e64 s1, 0, v0
	v_cmp_lt_u32_e64 s4, 3, v0
	v_max_i32_e32 v5, v1, v2
	v_lshlrev_b32_e32 v6, 4, v14
	v_lshlrev_b32_e32 v7, 2, v2
	v_cmp_lt_u32_e64 s5, 7, v0
	v_cmp_lt_u32_e64 s6, 15, v0
	;; [unrolled: 1-line block ×3, first 2 shown]
	s_waitcnt lgkmcnt(0)
	s_add_u32 s2, s22, s52
	s_addc_u32 s3, s23, s53
	v_add_co_u32 v4, s22, v0, -1
	s_load_b32 s11, s[2:3], 0x0
	v_cmp_ne_u32_e64 s2, 0, v0
	v_cmp_lt_u32_e64 s3, 1, v0
	s_delay_alu instid0(VALU_DEP_3)
	v_lshl_add_u32 v20, v4, 2, 0x1000
	v_cmp_lt_u32_e64 s8, 63, v0
	v_cmp_lt_u32_e64 s9, 0x7f, v0
	v_subrev_nc_u32_e32 v18, s39, v14
	v_or3_b32 v28, v6, v7, 0x1400
	v_mov_b32_e32 v35, 0
	v_dual_mov_b32 v33, 0 :: v_dual_mov_b32 v34, 1
	s_waitcnt lgkmcnt(0)
	s_sub_i32 s13, s11, s38
	s_cmp_lt_i32 s50, s33
	v_cmp_gt_i32_e64 s11, s42, v5
	s_cselect_b32 s14, -1, 0
	s_cmp_eq_u32 s40, 0
	v_and_b32_e32 v5, 0xfc, v0
	s_cselect_b32 vcc_lo, -1, 0
	v_dual_cndmask_b32 v4, v2, v1 :: v_dual_and_b32 v3, 3, v0
	v_and_b32_e32 v16, 2, v0
	s_cmp_lg_u32 s40, 0
	v_dual_mov_b32 v32, s13 :: v_dual_lshlrev_b32 v15, 2, v0
	s_delay_alu instid0(VALU_DEP_3)
	v_cmp_eq_u32_e64 s10, 3, v3
	s_cselect_b32 s23, -1, 0
	s_cmp_gt_i32 s42, 0
	v_cndmask_b32_e32 v3, v1, v2, vcc_lo
	v_or3_b32 v8, v5, v16, v1
	s_cselect_b32 s40, -1, 0
	s_add_u32 s16, s16, s52
	s_addc_u32 s17, s17, s53
	s_and_b32 s43, s12, s14
	s_movk_i32 s12, 0x3f8
	v_or_b32_e32 v17, 0x1400, v15
	v_or_b32_e32 v19, 0x1000, v15
	v_add_nc_u32_e32 v21, 0xff8, v15
	v_add_nc_u32_e32 v22, 0xff0, v15
	;; [unrolled: 1-line block ×7, first 2 shown]
	v_or_b32_e32 v0, 0xffffff00, v0
	v_and_or_b32 v29, v15, s12, 0x1400
	v_lshlrev_b32_e32 v30, 2, v8
	v_or_b32_e32 v31, 0x1000, v5
	s_mul_i32 s52, s42, s42
	s_add_u32 s51, s28, 4
	s_addc_u32 s53, s29, 0
	s_lshl_b32 s54, s52, 6
	s_branch .LBB12_14
.LBB12_13:                              ;   in Loop: Header=BB12_14 Depth=1
	s_set_inst_prefetch_distance 0x2
	s_or_b32 exec_lo, exec_lo, s12
	s_waitcnt_vscnt null, 0x0
	s_barrier
	buffer_gl0_inv
	ds_load_b32 v35, v33 offset:6144
	v_add_nc_u32_e32 v32, v7, v32
	s_waitcnt lgkmcnt(0)
	s_barrier
	buffer_gl0_inv
	v_cmp_le_i32_e32 vcc_lo, s41, v35
	v_add_nc_u32_e32 v36, 0x100, v35
	s_cbranch_vccnz .LBB12_98
.LBB12_14:                              ; =>This Loop Header: Depth=1
                                        ;     Child Loop BB12_17 Depth 2
                                        ;     Child Loop BB12_23 Depth 2
                                        ;       Child Loop BB12_36 Depth 3
                                        ;         Child Loop BB12_45 Depth 4
                                        ;         Child Loop BB12_50 Depth 4
                                        ;     Child Loop BB12_61 Depth 2
                                        ;     Child Loop BB12_70 Depth 2
	;; [unrolled: 1-line block ×3, first 2 shown]
	s_and_saveexec_b32 s12, s0
	s_cbranch_execz .LBB12_16
; %bb.15:                               ;   in Loop: Header=BB12_14 Depth=1
	ds_store_b32 v19, v33
.LBB12_16:                              ;   in Loop: Header=BB12_14 Depth=1
	s_or_b32 exec_lo, exec_lo, s12
	v_dual_mov_b32 v5, v15 :: v_dual_mov_b32 v6, v0
	s_mov_b32 s12, 0
.LBB12_17:                              ;   Parent Loop BB12_14 Depth=1
                                        ; =>  This Inner Loop Header: Depth=2
	s_delay_alu instid0(VALU_DEP_1) | instskip(SKIP_4) | instid1(SALU_CYCLE_1)
	v_add_nc_u32_e32 v6, 0x100, v6
	ds_store_b32 v5, v33
	v_add_nc_u32_e32 v5, 0x400, v5
	v_cmp_lt_u32_e32 vcc_lo, 0x2ff, v6
	s_or_b32 s12, vcc_lo, s12
	s_and_not1_b32 exec_lo, exec_lo, s12
	s_cbranch_execnz .LBB12_17
; %bb.18:                               ;   in Loop: Header=BB12_14 Depth=1
	s_or_b32 exec_lo, exec_lo, s12
	s_and_saveexec_b32 s12, s1
	s_cbranch_execz .LBB12_20
; %bb.19:                               ;   in Loop: Header=BB12_14 Depth=1
	v_mov_b32_e32 v5, s41
	ds_store_b32 v33, v5 offset:6144
.LBB12_20:                              ;   in Loop: Header=BB12_14 Depth=1
	s_or_b32 exec_lo, exec_lo, s12
	v_mov_b32_e32 v37, s41
	s_and_not1_b32 vcc_lo, exec_lo, s43
	s_waitcnt lgkmcnt(0)
	s_barrier
	buffer_gl0_inv
	s_cbranch_vccnz .LBB12_56
; %bb.21:                               ;   in Loop: Header=BB12_14 Depth=1
	v_cmp_ne_u32_e64 s12, 0, v35
	v_mov_b32_e32 v37, s41
	s_mov_b32 s55, s50
	s_branch .LBB12_23
.LBB12_22:                              ;   in Loop: Header=BB12_23 Depth=2
	s_or_b32 exec_lo, exec_lo, s14
	s_add_i32 s55, s55, 64
	s_delay_alu instid0(SALU_CYCLE_1)
	s_cmp_lt_i32 s55, s33
	s_cbranch_scc0 .LBB12_56
.LBB12_23:                              ;   Parent Loop BB12_14 Depth=1
                                        ; =>  This Loop Header: Depth=2
                                        ;       Child Loop BB12_36 Depth 3
                                        ;         Child Loop BB12_45 Depth 4
                                        ;         Child Loop BB12_50 Depth 4
	v_add_nc_u32_e32 v5, s55, v14
	s_waitcnt_vscnt null, 0x0
	s_barrier
	buffer_gl0_inv
	v_cmp_gt_i32_e64 s13, s33, v5
	s_delay_alu instid0(VALU_DEP_1)
	s_and_saveexec_b32 s14, s13
	s_cbranch_execz .LBB12_27
; %bb.24:                               ;   in Loop: Header=BB12_23 Depth=2
	v_mov_b32_e32 v6, 0
	s_and_saveexec_b32 s56, s11
	s_cbranch_execz .LBB12_26
; %bb.25:                               ;   in Loop: Header=BB12_23 Depth=2
	v_mad_u64_u32 v[6:7], null, v5, s42, v[2:3]
	s_delay_alu instid0(VALU_DEP_1) | instskip(NEXT) | instid1(VALU_DEP_1)
	v_mad_u64_u32 v[7:8], null, v6, s42, v[1:2]
	v_ashrrev_i32_e32 v8, 31, v7
	s_delay_alu instid0(VALU_DEP_1) | instskip(NEXT) | instid1(VALU_DEP_1)
	v_lshlrev_b64 v[6:7], 2, v[7:8]
	v_add_co_u32 v6, vcc_lo, s26, v6
	s_delay_alu instid0(VALU_DEP_2)
	v_add_co_ci_u32_e32 v7, vcc_lo, s27, v7, vcc_lo
	global_load_b32 v6, v[6:7], off
.LBB12_26:                              ;   in Loop: Header=BB12_23 Depth=2
	s_or_b32 exec_lo, exec_lo, s56
	s_waitcnt vmcnt(0)
	ds_store_b32 v17, v6
.LBB12_27:                              ;   in Loop: Header=BB12_23 Depth=2
	s_or_b32 exec_lo, exec_lo, s14
	v_mov_b32_e32 v7, 0
	s_waitcnt lgkmcnt(0)
	s_barrier
	buffer_gl0_inv
	s_and_saveexec_b32 s56, s13
	s_cbranch_execz .LBB12_53
; %bb.28:                               ;   in Loop: Header=BB12_23 Depth=2
	v_ashrrev_i32_e32 v6, 31, v5
	s_delay_alu instid0(VALU_DEP_1) | instskip(NEXT) | instid1(VALU_DEP_1)
	v_lshlrev_b64 v[6:7], 2, v[5:6]
	v_add_co_u32 v8, vcc_lo, s24, v6
	s_delay_alu instid0(VALU_DEP_2) | instskip(SKIP_4) | instid1(VALU_DEP_1)
	v_add_co_ci_u32_e32 v9, vcc_lo, s25, v7, vcc_lo
	s_and_b32 vcc_lo, exec_lo, s12
	global_load_b32 v8, v[8:9], off
	s_waitcnt vmcnt(0)
	v_subrev_nc_u32_e32 v8, s36, v8
	v_ashrrev_i32_e32 v9, 31, v8
	s_cbranch_vccz .LBB12_55
; %bb.29:                               ;   in Loop: Header=BB12_23 Depth=2
	v_add_co_u32 v6, vcc_lo, s34, v6
	v_add_co_ci_u32_e32 v7, vcc_lo, s35, v7, vcc_lo
	global_load_b32 v7, v[6:7], off
	s_cbranch_execnz .LBB12_31
.LBB12_30:                              ;   in Loop: Header=BB12_23 Depth=2
	s_waitcnt vmcnt(0)
	s_delay_alu instid0(VALU_DEP_1) | instskip(NEXT) | instid1(VALU_DEP_1)
	v_lshlrev_b64 v[6:7], 2, v[8:9]
	v_add_co_u32 v6, vcc_lo, s28, v6
	s_delay_alu instid0(VALU_DEP_2)
	v_add_co_ci_u32_e32 v7, vcc_lo, s29, v7, vcc_lo
	global_load_b32 v6, v[6:7], off
	s_waitcnt vmcnt(0)
	v_subrev_nc_u32_e32 v7, s37, v6
.LBB12_31:                              ;   in Loop: Header=BB12_23 Depth=2
	v_lshlrev_b64 v[8:9], 2, v[8:9]
	s_mov_b32 s57, exec_lo
	s_delay_alu instid0(VALU_DEP_1) | instskip(NEXT) | instid1(VALU_DEP_2)
	v_add_co_u32 v8, vcc_lo, s51, v8
	v_add_co_ci_u32_e32 v9, vcc_lo, s53, v9, vcc_lo
	global_load_b32 v6, v[8:9], off
	s_waitcnt vmcnt(0)
	v_subrev_nc_u32_e32 v6, s37, v6
	s_delay_alu instid0(VALU_DEP_1)
	v_cmpx_lt_i32_e64 v7, v6
	s_cbranch_execz .LBB12_52
; %bb.32:                               ;   in Loop: Header=BB12_23 Depth=2
	v_mad_u64_u32 v[8:9], null, s42, v7, v[1:2]
	v_mad_u64_u32 v[9:10], null, s52, v7, v[1:2]
	v_mov_b32_e32 v39, v7
	s_mov_b32 s58, 0
	s_delay_alu instid0(VALU_DEP_3)
	v_mul_lo_u32 v38, s42, v8
	s_branch .LBB12_36
.LBB12_33:                              ;   in Loop: Header=BB12_36 Depth=3
	v_or3_b32 v8, v8, v16, v1
	s_delay_alu instid0(VALU_DEP_2) | instskip(NEXT) | instid1(VALU_DEP_2)
	v_mul_f32_e32 v10, v12, v40
	v_lshlrev_b32_e32 v8, 2, v8
	ds_add_f32 v8, v10
.LBB12_34:                              ;   in Loop: Header=BB12_36 Depth=3
	s_or_b32 exec_lo, exec_lo, s61
	s_delay_alu instid0(SALU_CYCLE_1)
	s_or_b32 s59, s59, exec_lo
.LBB12_35:                              ;   in Loop: Header=BB12_36 Depth=3
	s_or_b32 exec_lo, exec_lo, s60
	v_add_nc_u32_e32 v7, 1, v7
	s_xor_b32 s14, s59, -1
	v_add_nc_u32_e32 v38, s52, v38
	v_add_nc_u32_e32 v9, s52, v9
	s_delay_alu instid0(VALU_DEP_3) | instskip(SKIP_1) | instid1(SALU_CYCLE_1)
	v_cmp_ge_i32_e32 vcc_lo, v7, v6
	s_or_b32 s14, s14, vcc_lo
	s_and_b32 s14, exec_lo, s14
	s_delay_alu instid0(SALU_CYCLE_1) | instskip(NEXT) | instid1(SALU_CYCLE_1)
	s_or_b32 s58, s14, s58
	s_and_not1_b32 exec_lo, exec_lo, s58
	s_cbranch_execz .LBB12_51
.LBB12_36:                              ;   Parent Loop BB12_14 Depth=1
                                        ;     Parent Loop BB12_23 Depth=2
                                        ; =>    This Loop Header: Depth=3
                                        ;         Child Loop BB12_45 Depth 4
                                        ;         Child Loop BB12_50 Depth 4
	v_ashrrev_i32_e32 v8, 31, v7
                                        ; implicit-def: $sgpr59
	s_delay_alu instid0(VALU_DEP_1) | instskip(NEXT) | instid1(VALU_DEP_1)
	v_lshlrev_b64 v[10:11], 2, v[7:8]
	v_add_co_u32 v10, vcc_lo, s30, v10
	s_delay_alu instid0(VALU_DEP_2) | instskip(SKIP_3) | instid1(VALU_DEP_1)
	v_add_co_ci_u32_e32 v11, vcc_lo, s31, v11, vcc_lo
	global_load_b32 v8, v[10:11], off
	s_waitcnt vmcnt(0)
	v_subrev_nc_u32_e32 v8, s37, v8
	v_cmp_lt_i32_e64 s14, v8, v35
	v_cmp_ge_i32_e32 vcc_lo, v8, v36
	s_delay_alu instid0(VALU_DEP_2) | instskip(NEXT) | instid1(SALU_CYCLE_1)
	s_or_b32 s14, s14, vcc_lo
	s_and_saveexec_b32 s60, s14
	s_delay_alu instid0(SALU_CYCLE_1)
	s_xor_b32 s14, exec_lo, s60
	s_cbranch_execz .LBB12_40
; %bb.37:                               ;   in Loop: Header=BB12_36 Depth=3
	s_mov_b32 s59, -1
	s_and_saveexec_b32 s60, vcc_lo
; %bb.38:                               ;   in Loop: Header=BB12_36 Depth=3
	v_min_i32_e32 v37, v8, v37
	v_mov_b32_e32 v39, v7
	s_xor_b32 s59, exec_lo, -1
; %bb.39:                               ;   in Loop: Header=BB12_36 Depth=3
	s_or_b32 exec_lo, exec_lo, s60
	s_delay_alu instid0(SALU_CYCLE_1)
	s_and_b32 s59, s59, exec_lo
                                        ; implicit-def: $vgpr8
.LBB12_40:                              ;   in Loop: Header=BB12_36 Depth=3
	s_and_not1_saveexec_b32 s60, s14
	s_cbranch_execz .LBB12_35
; %bb.41:                               ;   in Loop: Header=BB12_36 Depth=3
	v_sub_nc_u32_e32 v8, v8, v35
	s_delay_alu instid0(VALU_DEP_1)
	v_lshlrev_b32_e32 v8, 2, v8
	ds_store_b32 v8, v34 offset:4096
	s_and_saveexec_b32 s61, s11
	s_cbranch_execz .LBB12_34
; %bb.42:                               ;   in Loop: Header=BB12_36 Depth=3
	v_cndmask_b32_e64 v10, 0, 1, s40
	s_and_not1_b32 vcc_lo, exec_lo, s23
	s_delay_alu instid0(VALU_DEP_1)
	v_cmp_ne_u32_e64 s14, 1, v10
	s_cbranch_vccnz .LBB12_47
; %bb.43:                               ;   in Loop: Header=BB12_36 Depth=3
	v_mov_b32_e32 v40, 0
	s_delay_alu instid0(VALU_DEP_2)
	s_and_b32 vcc_lo, exec_lo, s14
	s_cbranch_vccnz .LBB12_46
; %bb.44:                               ;   in Loop: Header=BB12_36 Depth=3
	v_dual_mov_b32 v10, v38 :: v_dual_mov_b32 v41, v28
	s_mov_b32 s14, s42
.LBB12_45:                              ;   Parent Loop BB12_14 Depth=1
                                        ;     Parent Loop BB12_23 Depth=2
                                        ;       Parent Loop BB12_36 Depth=3
                                        ; =>      This Inner Loop Header: Depth=4
	s_delay_alu instid0(VALU_DEP_1) | instskip(SKIP_1) | instid1(SALU_CYCLE_1)
	v_ashrrev_i32_e32 v11, 31, v10
	s_add_i32 s14, s14, -1
	s_cmp_lg_u32 s14, 0
	s_delay_alu instid0(VALU_DEP_1) | instskip(SKIP_1) | instid1(VALU_DEP_2)
	v_lshlrev_b64 v[42:43], 2, v[10:11]
	v_add_nc_u32_e32 v10, 1, v10
	v_add_co_u32 v42, vcc_lo, s48, v42
	s_delay_alu instid0(VALU_DEP_3)
	v_add_co_ci_u32_e32 v43, vcc_lo, s49, v43, vcc_lo
	global_load_b32 v11, v[42:43], off
	ds_load_b32 v42, v41
	s_waitcnt vmcnt(0) lgkmcnt(0)
	v_dual_fmac_f32 v40, v42, v11 :: v_dual_add_nc_u32 v41, 8, v41
	s_cbranch_scc1 .LBB12_45
.LBB12_46:                              ;   in Loop: Header=BB12_36 Depth=3
	s_cbranch_execnz .LBB12_33
	s_branch .LBB12_48
.LBB12_47:                              ;   in Loop: Header=BB12_36 Depth=3
                                        ; implicit-def: $vgpr40
.LBB12_48:                              ;   in Loop: Header=BB12_36 Depth=3
	v_mov_b32_e32 v40, 0
	s_and_not1_b32 vcc_lo, exec_lo, s40
	s_cbranch_vccnz .LBB12_33
; %bb.49:                               ;   in Loop: Header=BB12_36 Depth=3
	v_mov_b32_e32 v41, v29
	v_mov_b32_e32 v10, v9
	s_mov_b32 s14, s42
	.p2align	6
.LBB12_50:                              ;   Parent Loop BB12_14 Depth=1
                                        ;     Parent Loop BB12_23 Depth=2
                                        ;       Parent Loop BB12_36 Depth=3
                                        ; =>      This Inner Loop Header: Depth=4
	s_delay_alu instid0(VALU_DEP_1) | instskip(SKIP_1) | instid1(SALU_CYCLE_1)
	v_ashrrev_i32_e32 v11, 31, v10
	s_add_i32 s14, s14, -1
	s_cmp_eq_u32 s14, 0
	s_delay_alu instid0(VALU_DEP_1) | instskip(SKIP_1) | instid1(VALU_DEP_2)
	v_lshlrev_b64 v[42:43], 2, v[10:11]
	v_add_nc_u32_e32 v10, s42, v10
	v_add_co_u32 v42, vcc_lo, s48, v42
	s_delay_alu instid0(VALU_DEP_3)
	v_add_co_ci_u32_e32 v43, vcc_lo, s49, v43, vcc_lo
	global_load_b32 v11, v[42:43], off
	ds_load_b32 v42, v41
	s_waitcnt vmcnt(0) lgkmcnt(0)
	v_dual_fmac_f32 v40, v42, v11 :: v_dual_add_nc_u32 v41, 4, v41
	s_cbranch_scc0 .LBB12_50
	s_branch .LBB12_33
.LBB12_51:                              ;   in Loop: Header=BB12_23 Depth=2
	s_or_b32 exec_lo, exec_lo, s58
	v_mov_b32_e32 v7, v39
.LBB12_52:                              ;   in Loop: Header=BB12_23 Depth=2
	s_or_b32 exec_lo, exec_lo, s57
.LBB12_53:                              ;   in Loop: Header=BB12_23 Depth=2
	s_delay_alu instid0(SALU_CYCLE_1)
	s_or_b32 exec_lo, exec_lo, s56
	s_waitcnt lgkmcnt(0)
	s_barrier
	buffer_gl0_inv
	s_and_saveexec_b32 s14, s13
	s_cbranch_execz .LBB12_22
; %bb.54:                               ;   in Loop: Header=BB12_23 Depth=2
	v_ashrrev_i32_e32 v6, 31, v5
	s_delay_alu instid0(VALU_DEP_1) | instskip(NEXT) | instid1(VALU_DEP_1)
	v_lshlrev_b64 v[5:6], 2, v[5:6]
	v_add_co_u32 v5, vcc_lo, s34, v5
	s_delay_alu instid0(VALU_DEP_2)
	v_add_co_ci_u32_e32 v6, vcc_lo, s35, v6, vcc_lo
	global_store_b32 v[5:6], v7, off
	s_branch .LBB12_22
.LBB12_55:                              ;   in Loop: Header=BB12_23 Depth=2
                                        ; implicit-def: $vgpr7
	s_branch .LBB12_30
.LBB12_56:                              ;   in Loop: Header=BB12_14 Depth=1
	s_and_not1_b32 vcc_lo, exec_lo, s15
	s_cbranch_vccnz .LBB12_68
; %bb.57:                               ;   in Loop: Header=BB12_14 Depth=1
	s_load_b64 s[12:13], s[16:17], 0x0
	s_mov_b32 s14, exec_lo
	s_waitcnt lgkmcnt(0)
	v_add_nc_u32_e32 v5, s12, v18
	s_sub_i32 s55, s13, s39
	s_delay_alu instid0(VALU_DEP_1) | instid1(SALU_CYCLE_1)
	v_cmpx_gt_i32_e64 s55, v5
	s_cbranch_execz .LBB12_67
; %bb.58:                               ;   in Loop: Header=BB12_14 Depth=1
	v_mad_u64_u32 v[6:7], null, s42, v5, v[3:4]
	s_mov_b32 s56, 0
	s_delay_alu instid0(VALU_DEP_1)
	v_mad_u64_u32 v[7:8], null, s42, v6, v[4:5]
	s_branch .LBB12_61
.LBB12_59:                              ;   in Loop: Header=BB12_61 Depth=2
	s_or_b32 exec_lo, exec_lo, s57
	s_delay_alu instid0(SALU_CYCLE_1)
	s_or_b32 s12, s12, exec_lo
.LBB12_60:                              ;   in Loop: Header=BB12_61 Depth=2
	s_or_b32 exec_lo, exec_lo, s13
	v_add_nc_u32_e32 v5, 64, v5
	s_xor_b32 s12, s12, -1
	v_add_nc_u32_e32 v7, s54, v7
	s_delay_alu instid0(VALU_DEP_2) | instskip(SKIP_1) | instid1(SALU_CYCLE_1)
	v_cmp_le_i32_e32 vcc_lo, s55, v5
	s_or_b32 s12, vcc_lo, s12
	s_and_b32 s12, exec_lo, s12
	s_delay_alu instid0(SALU_CYCLE_1) | instskip(NEXT) | instid1(SALU_CYCLE_1)
	s_or_b32 s56, s12, s56
	s_and_not1_b32 exec_lo, exec_lo, s56
	s_cbranch_execz .LBB12_66
.LBB12_61:                              ;   Parent Loop BB12_14 Depth=1
                                        ; =>  This Inner Loop Header: Depth=2
	v_ashrrev_i32_e32 v6, 31, v5
	s_delay_alu instid0(VALU_DEP_1) | instskip(NEXT) | instid1(VALU_DEP_1)
	v_lshlrev_b64 v[8:9], 2, v[5:6]
	v_add_co_u32 v8, vcc_lo, s18, v8
	s_delay_alu instid0(VALU_DEP_2) | instskip(SKIP_3) | instid1(VALU_DEP_1)
	v_add_co_ci_u32_e32 v9, vcc_lo, s19, v9, vcc_lo
	global_load_b32 v6, v[8:9], off
	s_waitcnt vmcnt(0)
	v_subrev_nc_u32_e32 v6, s39, v6
	v_cmp_lt_i32_e64 s12, v6, v35
	v_cmp_ge_i32_e64 s13, v6, v36
	v_cmp_lt_i32_e32 vcc_lo, v6, v36
	s_delay_alu instid0(VALU_DEP_2) | instskip(NEXT) | instid1(SALU_CYCLE_1)
	s_or_b32 s13, s12, s13
                                        ; implicit-def: $sgpr12
	s_and_saveexec_b32 s57, s13
	s_delay_alu instid0(SALU_CYCLE_1)
	s_xor_b32 s13, exec_lo, s57
; %bb.62:                               ;   in Loop: Header=BB12_61 Depth=2
	v_min_i32_e32 v6, v6, v37
	s_and_b32 s12, vcc_lo, exec_lo
	s_delay_alu instid0(VALU_DEP_1)
	v_cndmask_b32_e32 v37, v6, v37, vcc_lo
                                        ; implicit-def: $vgpr6
; %bb.63:                               ;   in Loop: Header=BB12_61 Depth=2
	s_and_not1_saveexec_b32 s13, s13
	s_cbranch_execz .LBB12_60
; %bb.64:                               ;   in Loop: Header=BB12_61 Depth=2
	v_sub_nc_u32_e32 v6, v6, v35
	s_delay_alu instid0(VALU_DEP_1)
	v_lshlrev_b32_e32 v6, 2, v6
	ds_store_b32 v6, v34 offset:4096
	s_and_saveexec_b32 s57, s11
	s_cbranch_execz .LBB12_59
; %bb.65:                               ;   in Loop: Header=BB12_61 Depth=2
	v_ashrrev_i32_e32 v8, 31, v7
	v_or3_b32 v6, v6, v16, v1
	s_delay_alu instid0(VALU_DEP_2) | instskip(NEXT) | instid1(VALU_DEP_2)
	v_lshlrev_b64 v[8:9], 2, v[7:8]
	v_lshlrev_b32_e32 v6, 2, v6
	s_delay_alu instid0(VALU_DEP_2) | instskip(NEXT) | instid1(VALU_DEP_3)
	v_add_co_u32 v8, vcc_lo, s20, v8
	v_add_co_ci_u32_e32 v9, vcc_lo, s21, v9, vcc_lo
	global_load_b32 v8, v[8:9], off
	s_waitcnt vmcnt(0)
	v_mul_f32_e32 v8, v13, v8
	ds_add_f32 v6, v8
	s_branch .LBB12_59
.LBB12_66:                              ;   in Loop: Header=BB12_14 Depth=1
	s_or_b32 exec_lo, exec_lo, s56
.LBB12_67:                              ;   in Loop: Header=BB12_14 Depth=1
	s_delay_alu instid0(SALU_CYCLE_1)
	s_or_b32 exec_lo, exec_lo, s14
.LBB12_68:                              ;   in Loop: Header=BB12_14 Depth=1
	s_and_saveexec_b32 s12, s10
	s_cbranch_execz .LBB12_73
; %bb.69:                               ;   in Loop: Header=BB12_14 Depth=1
	s_mov_b32 s14, exec_lo
	s_brev_b32 s13, -2
.LBB12_70:                              ;   Parent Loop BB12_14 Depth=1
                                        ; =>  This Inner Loop Header: Depth=2
	s_ctz_i32_b32 s55, s14
	s_delay_alu instid0(SALU_CYCLE_1) | instskip(SKIP_1) | instid1(SALU_CYCLE_1)
	v_readlane_b32 s56, v37, s55
	s_lshl_b32 s55, 1, s55
	s_and_not1_b32 s14, s14, s55
	s_delay_alu instid0(VALU_DEP_1)
	s_min_i32 s13, s13, s56
	s_cmp_lg_u32 s14, 0
	s_cbranch_scc1 .LBB12_70
; %bb.71:                               ;   in Loop: Header=BB12_14 Depth=1
	v_mbcnt_lo_u32_b32 v5, exec_lo, 0
	s_mov_b32 s14, exec_lo
	s_delay_alu instid0(VALU_DEP_1)
	v_cmpx_eq_u32_e32 0, v5
	s_xor_b32 s14, exec_lo, s14
	s_cbranch_execz .LBB12_73
; %bb.72:                               ;   in Loop: Header=BB12_14 Depth=1
	v_mov_b32_e32 v5, s13
	ds_min_i32 v33, v5 offset:6144
.LBB12_73:                              ;   in Loop: Header=BB12_14 Depth=1
	s_or_b32 exec_lo, exec_lo, s12
	s_waitcnt lgkmcnt(0)
	s_waitcnt_vscnt null, 0x0
	s_barrier
	buffer_gl0_inv
	ds_load_b32 v5, v19
	s_waitcnt lgkmcnt(0)
	s_barrier
	buffer_gl0_inv
	s_and_saveexec_b32 s12, s2
	s_cbranch_execz .LBB12_75
; %bb.74:                               ;   in Loop: Header=BB12_14 Depth=1
	ds_load_b32 v6, v20
	s_waitcnt lgkmcnt(0)
	v_add_nc_u32_e32 v5, v6, v5
.LBB12_75:                              ;   in Loop: Header=BB12_14 Depth=1
	s_or_b32 exec_lo, exec_lo, s12
	s_barrier
	buffer_gl0_inv
	ds_store_b32 v19, v5
	s_waitcnt lgkmcnt(0)
	s_barrier
	buffer_gl0_inv
	s_and_saveexec_b32 s12, s3
	s_cbranch_execz .LBB12_77
; %bb.76:                               ;   in Loop: Header=BB12_14 Depth=1
	ds_load_b32 v6, v21
	s_waitcnt lgkmcnt(0)
	v_add_nc_u32_e32 v5, v6, v5
.LBB12_77:                              ;   in Loop: Header=BB12_14 Depth=1
	s_or_b32 exec_lo, exec_lo, s12
	s_barrier
	buffer_gl0_inv
	ds_store_b32 v19, v5
	;; [unrolled: 14-line block ×8, first 2 shown]
	s_waitcnt lgkmcnt(0)
	s_barrier
	buffer_gl0_inv
	ds_load_b32 v7, v33 offset:5116
	v_mov_b32_e32 v6, 0
	s_and_saveexec_b32 s12, s22
	s_cbranch_execz .LBB12_91
; %bb.90:                               ;   in Loop: Header=BB12_14 Depth=1
	ds_load_b32 v6, v20
.LBB12_91:                              ;   in Loop: Header=BB12_14 Depth=1
	s_or_b32 exec_lo, exec_lo, s12
	s_waitcnt lgkmcnt(0)
	v_cmp_eq_u32_e32 vcc_lo, v5, v6
	s_barrier
	buffer_gl0_inv
	s_and_b32 s13, s22, vcc_lo
	s_delay_alu instid0(SALU_CYCLE_1)
	s_and_saveexec_b32 s12, s13
	s_cbranch_execz .LBB12_93
; %bb.92:                               ;   in Loop: Header=BB12_14 Depth=1
	ds_store_b32 v19, v33
.LBB12_93:                              ;   in Loop: Header=BB12_14 Depth=1
	s_or_b32 exec_lo, exec_lo, s12
	v_dual_mov_b32 v11, v30 :: v_dual_add_nc_u32 v8, -1, v32
	v_dual_mov_b32 v10, v31 :: v_dual_add_nc_u32 v9, s38, v35
	v_mov_b32_e32 v35, v14
	s_mov_b32 s12, 0
	s_waitcnt lgkmcnt(0)
	s_barrier
	buffer_gl0_inv
	s_set_inst_prefetch_distance 0x1
	s_branch .LBB12_95
	.p2align	6
.LBB12_94:                              ;   in Loop: Header=BB12_95 Depth=2
	s_or_b32 exec_lo, exec_lo, s13
	v_add_nc_u32_e32 v5, 64, v35
	v_cmp_lt_u32_e32 vcc_lo, 0xbf, v35
	v_add_nc_u32_e32 v11, 0x400, v11
	s_delay_alu instid0(VALU_DEP_3) | instskip(SKIP_1) | instid1(SALU_CYCLE_1)
	v_dual_mov_b32 v35, v5 :: v_dual_add_nc_u32 v10, 0x100, v10
	s_or_b32 s12, vcc_lo, s12
	s_and_not1_b32 exec_lo, exec_lo, s12
	s_cbranch_execz .LBB12_13
.LBB12_95:                              ;   Parent Loop BB12_14 Depth=1
                                        ; =>  This Inner Loop Header: Depth=2
	ds_load_b32 v5, v10
	s_mov_b32 s13, exec_lo
	s_waitcnt lgkmcnt(0)
	v_cmpx_ne_u32_e32 0, v5
	s_cbranch_execz .LBB12_94
; %bb.96:                               ;   in Loop: Header=BB12_95 Depth=2
	v_add_nc_u32_e32 v5, v8, v5
	s_delay_alu instid0(VALU_DEP_1) | instskip(NEXT) | instid1(VALU_DEP_1)
	v_ashrrev_i32_e32 v6, 31, v5
	v_lshlrev_b64 v[36:37], 2, v[5:6]
	v_add_nc_u32_e32 v6, v9, v35
	s_delay_alu instid0(VALU_DEP_2) | instskip(NEXT) | instid1(VALU_DEP_3)
	v_add_co_u32 v36, vcc_lo, s44, v36
	v_add_co_ci_u32_e32 v37, vcc_lo, s45, v37, vcc_lo
	global_store_b32 v[36:37], v6, off
	s_and_b32 exec_lo, exec_lo, s11
	s_cbranch_execz .LBB12_94
; %bb.97:                               ;   in Loop: Header=BB12_95 Depth=2
	v_mad_u64_u32 v[36:37], null, v5, s42, v[3:4]
	s_delay_alu instid0(VALU_DEP_1) | instskip(SKIP_2) | instid1(VALU_DEP_1)
	v_mad_u64_u32 v[5:6], null, v36, s42, v[4:5]
	ds_load_b32 v36, v11
	v_ashrrev_i32_e32 v6, 31, v5
	v_lshlrev_b64 v[5:6], 2, v[5:6]
	s_delay_alu instid0(VALU_DEP_1) | instskip(NEXT) | instid1(VALU_DEP_2)
	v_add_co_u32 v5, vcc_lo, s46, v5
	v_add_co_ci_u32_e32 v6, vcc_lo, s47, v6, vcc_lo
	s_waitcnt lgkmcnt(0)
	global_store_b32 v[5:6], v36, off
	s_branch .LBB12_94
.LBB12_98:
	s_endpgm
	.section	.rodata,"a",@progbits
	.p2align	6, 0x0
	.amdhsa_kernel _ZN9rocsparseL38bsrgemm_block_per_row_atomic_multipassILj256ELj256ELj2EiifEEv20rocsparse_direction_T3_S2_PKS2_S4_NS_24const_host_device_scalarIT4_EEPKT2_S4_PKS6_SA_S4_SC_S7_SA_S4_SC_SA_PS2_PS6_PS8_21rocsparse_index_base_SG_SG_SG_bbb
		.amdhsa_group_segment_fixed_size 6148
		.amdhsa_private_segment_fixed_size 0
		.amdhsa_kernarg_size 172
		.amdhsa_user_sgpr_count 15
		.amdhsa_user_sgpr_dispatch_ptr 0
		.amdhsa_user_sgpr_queue_ptr 0
		.amdhsa_user_sgpr_kernarg_segment_ptr 1
		.amdhsa_user_sgpr_dispatch_id 0
		.amdhsa_user_sgpr_private_segment_size 0
		.amdhsa_wavefront_size32 1
		.amdhsa_uses_dynamic_stack 0
		.amdhsa_enable_private_segment 0
		.amdhsa_system_sgpr_workgroup_id_x 1
		.amdhsa_system_sgpr_workgroup_id_y 0
		.amdhsa_system_sgpr_workgroup_id_z 0
		.amdhsa_system_sgpr_workgroup_info 0
		.amdhsa_system_vgpr_workitem_id 0
		.amdhsa_next_free_vgpr 44
		.amdhsa_next_free_sgpr 62
		.amdhsa_reserve_vcc 1
		.amdhsa_float_round_mode_32 0
		.amdhsa_float_round_mode_16_64 0
		.amdhsa_float_denorm_mode_32 3
		.amdhsa_float_denorm_mode_16_64 3
		.amdhsa_dx10_clamp 1
		.amdhsa_ieee_mode 1
		.amdhsa_fp16_overflow 0
		.amdhsa_workgroup_processor_mode 1
		.amdhsa_memory_ordered 1
		.amdhsa_forward_progress 0
		.amdhsa_shared_vgpr_count 0
		.amdhsa_exception_fp_ieee_invalid_op 0
		.amdhsa_exception_fp_denorm_src 0
		.amdhsa_exception_fp_ieee_div_zero 0
		.amdhsa_exception_fp_ieee_overflow 0
		.amdhsa_exception_fp_ieee_underflow 0
		.amdhsa_exception_fp_ieee_inexact 0
		.amdhsa_exception_int_div_zero 0
	.end_amdhsa_kernel
	.section	.text._ZN9rocsparseL38bsrgemm_block_per_row_atomic_multipassILj256ELj256ELj2EiifEEv20rocsparse_direction_T3_S2_PKS2_S4_NS_24const_host_device_scalarIT4_EEPKT2_S4_PKS6_SA_S4_SC_S7_SA_S4_SC_SA_PS2_PS6_PS8_21rocsparse_index_base_SG_SG_SG_bbb,"axG",@progbits,_ZN9rocsparseL38bsrgemm_block_per_row_atomic_multipassILj256ELj256ELj2EiifEEv20rocsparse_direction_T3_S2_PKS2_S4_NS_24const_host_device_scalarIT4_EEPKT2_S4_PKS6_SA_S4_SC_S7_SA_S4_SC_SA_PS2_PS6_PS8_21rocsparse_index_base_SG_SG_SG_bbb,comdat
.Lfunc_end12:
	.size	_ZN9rocsparseL38bsrgemm_block_per_row_atomic_multipassILj256ELj256ELj2EiifEEv20rocsparse_direction_T3_S2_PKS2_S4_NS_24const_host_device_scalarIT4_EEPKT2_S4_PKS6_SA_S4_SC_S7_SA_S4_SC_SA_PS2_PS6_PS8_21rocsparse_index_base_SG_SG_SG_bbb, .Lfunc_end12-_ZN9rocsparseL38bsrgemm_block_per_row_atomic_multipassILj256ELj256ELj2EiifEEv20rocsparse_direction_T3_S2_PKS2_S4_NS_24const_host_device_scalarIT4_EEPKT2_S4_PKS6_SA_S4_SC_S7_SA_S4_SC_SA_PS2_PS6_PS8_21rocsparse_index_base_SG_SG_SG_bbb
                                        ; -- End function
	.section	.AMDGPU.csdata,"",@progbits
; Kernel info:
; codeLenInByte = 3488
; NumSgprs: 64
; NumVgprs: 44
; ScratchSize: 0
; MemoryBound: 0
; FloatMode: 240
; IeeeMode: 1
; LDSByteSize: 6148 bytes/workgroup (compile time only)
; SGPRBlocks: 7
; VGPRBlocks: 5
; NumSGPRsForWavesPerEU: 64
; NumVGPRsForWavesPerEU: 44
; Occupancy: 16
; WaveLimiterHint : 1
; COMPUTE_PGM_RSRC2:SCRATCH_EN: 0
; COMPUTE_PGM_RSRC2:USER_SGPR: 15
; COMPUTE_PGM_RSRC2:TRAP_HANDLER: 0
; COMPUTE_PGM_RSRC2:TGID_X_EN: 1
; COMPUTE_PGM_RSRC2:TGID_Y_EN: 0
; COMPUTE_PGM_RSRC2:TGID_Z_EN: 0
; COMPUTE_PGM_RSRC2:TIDIG_COMP_CNT: 0
	.section	.text._ZN9rocsparseL23bsrgemm_fill_wf_per_rowILj256ELj64ELj8ELj137ELj4EiifEEv20rocsparse_direction_T5_S2_S2_PKS2_S4_NS_24const_host_device_scalarIT6_EEPKT4_S4_PKS6_SA_S4_SC_S7_SA_S4_SC_SA_PS2_PS6_21rocsparse_index_base_SF_SF_SF_bbb,"axG",@progbits,_ZN9rocsparseL23bsrgemm_fill_wf_per_rowILj256ELj64ELj8ELj137ELj4EiifEEv20rocsparse_direction_T5_S2_S2_PKS2_S4_NS_24const_host_device_scalarIT6_EEPKT4_S4_PKS6_SA_S4_SC_S7_SA_S4_SC_SA_PS2_PS6_21rocsparse_index_base_SF_SF_SF_bbb,comdat
	.globl	_ZN9rocsparseL23bsrgemm_fill_wf_per_rowILj256ELj64ELj8ELj137ELj4EiifEEv20rocsparse_direction_T5_S2_S2_PKS2_S4_NS_24const_host_device_scalarIT6_EEPKT4_S4_PKS6_SA_S4_SC_S7_SA_S4_SC_SA_PS2_PS6_21rocsparse_index_base_SF_SF_SF_bbb ; -- Begin function _ZN9rocsparseL23bsrgemm_fill_wf_per_rowILj256ELj64ELj8ELj137ELj4EiifEEv20rocsparse_direction_T5_S2_S2_PKS2_S4_NS_24const_host_device_scalarIT6_EEPKT4_S4_PKS6_SA_S4_SC_S7_SA_S4_SC_SA_PS2_PS6_21rocsparse_index_base_SF_SF_SF_bbb
	.p2align	8
	.type	_ZN9rocsparseL23bsrgemm_fill_wf_per_rowILj256ELj64ELj8ELj137ELj4EiifEEv20rocsparse_direction_T5_S2_S2_PKS2_S4_NS_24const_host_device_scalarIT6_EEPKT4_S4_PKS6_SA_S4_SC_S7_SA_S4_SC_SA_PS2_PS6_21rocsparse_index_base_SF_SF_SF_bbb,@function
_ZN9rocsparseL23bsrgemm_fill_wf_per_rowILj256ELj64ELj8ELj137ELj4EiifEEv20rocsparse_direction_T5_S2_S2_PKS2_S4_NS_24const_host_device_scalarIT6_EEPKT4_S4_PKS6_SA_S4_SC_S7_SA_S4_SC_SA_PS2_PS6_21rocsparse_index_base_SF_SF_SF_bbb: ; @_ZN9rocsparseL23bsrgemm_fill_wf_per_rowILj256ELj64ELj8ELj137ELj4EiifEEv20rocsparse_direction_T5_S2_S2_PKS2_S4_NS_24const_host_device_scalarIT6_EEPKT4_S4_PKS6_SA_S4_SC_S7_SA_S4_SC_SA_PS2_PS6_21rocsparse_index_base_SF_SF_SF_bbb
; %bb.0:
	s_clause 0x2
	s_load_b32 s6, s[0:1], 0xa0
	s_load_b64 s[4:5], s[0:1], 0x20
	s_load_b64 s[2:3], s[0:1], 0x58
	s_waitcnt lgkmcnt(0)
	s_bitcmp1_b32 s6, 0
	s_cselect_b32 s13, -1, 0
	s_bitcmp1_b32 s6, 16
	s_cselect_b32 s7, -1, 0
	s_xor_b32 s8, s13, -1
	s_delay_alu instid0(SALU_CYCLE_1) | instskip(NEXT) | instid1(SALU_CYCLE_1)
	s_or_b32 s8, s8, s7
	s_and_b32 vcc_lo, exec_lo, s8
	s_cbranch_vccnz .LBB13_2
; %bb.1:
	s_load_b32 s4, s[4:5], 0x0
	s_waitcnt lgkmcnt(0)
	v_mov_b32_e32 v26, s4
	s_branch .LBB13_3
.LBB13_2:
	v_cndmask_b32_e64 v26, 0, s4, s13
.LBB13_3:
	s_load_b128 s[36:39], s[0:1], 0x90
	s_bitcmp1_b32 s6, 8
	s_cselect_b32 s12, -1, 0
	s_delay_alu instid0(SALU_CYCLE_1) | instskip(NEXT) | instid1(SALU_CYCLE_1)
	s_xor_b32 s4, s12, -1
	s_or_b32 s4, s4, s7
	s_delay_alu instid0(SALU_CYCLE_1)
	s_and_b32 vcc_lo, exec_lo, s4
	s_cbranch_vccnz .LBB13_5
; %bb.4:
	s_load_b32 s2, s[2:3], 0x0
	s_waitcnt lgkmcnt(0)
	v_mov_b32_e32 v22, s2
	s_branch .LBB13_6
.LBB13_5:
	v_cndmask_b32_e64 v22, 0, s2, s12
.LBB13_6:
	s_clause 0x4
	s_load_b128 s[40:43], s[0:1], 0x80
	s_load_b256 s[16:23], s[0:1], 0x60
	s_load_b128 s[44:47], s[0:1], 0x48
	s_load_b256 s[4:11], s[0:1], 0x0
	s_load_b256 s[24:31], s[0:1], 0x28
	v_lshrrev_b32_e32 v23, 6, v0
	v_and_b32_e32 v1, 63, v0
	s_mov_b32 s0, exec_lo
	s_delay_alu instid0(VALU_DEP_2) | instskip(NEXT) | instid1(VALU_DEP_2)
	v_lshl_or_b32 v21, v23, 5, 0x800
	v_cmpx_gt_u32_e32 8, v1
	s_cbranch_execz .LBB13_8
; %bb.7:
	s_delay_alu instid0(VALU_DEP_2)
	v_lshl_add_u32 v2, v1, 2, v21
	s_waitcnt lgkmcnt(0)
	v_mov_b32_e32 v3, s6
	ds_store_b32 v2, v3
.LBB13_8:
	s_or_b32 exec_lo, exec_lo, s0
	v_lshlrev_b32_e32 v24, 9, v23
	v_or_b32_e32 v2, 0xffffffc0, v1
	v_mov_b32_e32 v4, 0
	s_mov_b32 s0, 0
	s_delay_alu instid0(VALU_DEP_3)
	v_lshl_or_b32 v3, v1, 2, v24
.LBB13_9:                               ; =>This Inner Loop Header: Depth=1
	s_delay_alu instid0(VALU_DEP_3) | instskip(NEXT) | instid1(VALU_DEP_1)
	v_add_co_u32 v2, s1, v2, 64
	s_xor_b32 s1, s1, -1
	ds_store_b32 v3, v4
	v_add_nc_u32_e32 v3, 0x100, v3
	s_and_b32 s1, exec_lo, s1
	s_delay_alu instid0(SALU_CYCLE_1) | instskip(NEXT) | instid1(SALU_CYCLE_1)
	s_or_b32 s0, s1, s0
	s_and_not1_b32 exec_lo, exec_lo, s0
	s_cbranch_execnz .LBB13_9
; %bb.10:
	s_or_b32 exec_lo, exec_lo, s0
	v_lshl_or_b32 v2, s15, 2, v23
	s_waitcnt lgkmcnt(0)
	s_barrier
	buffer_gl0_inv
	s_mov_b32 s0, exec_lo
	v_cmpx_gt_i32_e64 s5, v2
	s_cbranch_execz .LBB13_67
; %bb.11:
	s_cmp_eq_u64 s[10:11], 0
	s_cbranch_scc1 .LBB13_13
; %bb.12:
	s_load_b32 s0, s[8:9], 0x0
	s_waitcnt lgkmcnt(0)
	v_add_nc_u32_e32 v2, s0, v2
	s_delay_alu instid0(VALU_DEP_1) | instskip(NEXT) | instid1(VALU_DEP_1)
	v_ashrrev_i32_e32 v3, 31, v2
	v_lshlrev_b64 v[2:3], 2, v[2:3]
	s_delay_alu instid0(VALU_DEP_1) | instskip(NEXT) | instid1(VALU_DEP_2)
	v_add_co_u32 v2, vcc_lo, s10, v2
	v_add_co_ci_u32_e32 v3, vcc_lo, s11, v3, vcc_lo
	global_load_b32 v2, v[2:3], off
.LBB13_13:
	s_waitcnt vmcnt(0)
	v_ashrrev_i32_e32 v3, 31, v2
	v_lshrrev_b32_e32 v25, 4, v1
	v_and_b32_e32 v1, 3, v0
	s_and_not1_b32 vcc_lo, exec_lo, s13
	s_delay_alu instid0(VALU_DEP_3)
	v_lshlrev_b64 v[3:4], 2, v[2:3]
	v_bfe_u32 v2, v0, 2, 2
	s_cbranch_vccnz .LBB13_44
; %bb.14:
	s_delay_alu instid0(VALU_DEP_2) | instskip(NEXT) | instid1(VALU_DEP_3)
	v_add_co_u32 v5, vcc_lo, s24, v3
	v_add_co_ci_u32_e32 v6, vcc_lo, s25, v4, vcc_lo
	v_subrev_nc_u32_e32 v7, s36, v25
	s_mov_b32 s2, exec_lo
	global_load_b64 v[5:6], v[5:6], off
	s_waitcnt vmcnt(0)
	v_subrev_nc_u32_e32 v27, s36, v6
	v_add_nc_u32_e32 v5, v5, v7
	s_delay_alu instid0(VALU_DEP_1)
	v_cmpx_lt_i32_e64 v5, v27
	s_cbranch_execz .LBB13_43
; %bb.15:
	v_mad_u64_u32 v[6:7], null, s7, v5, v[2:3]
	v_max_i32_e32 v8, v1, v2
	s_cmp_lg_u32 s4, 0
	s_mul_i32 s5, s7, s7
	s_cselect_b32 s3, -1, 0
	s_cmp_gt_i32 s7, 0
	v_cmp_gt_i32_e64 s0, s7, v8
	v_mad_u64_u32 v[7:8], null, s5, v5, v[2:3]
	v_mul_lo_u32 v8, s7, v6
	s_cselect_b32 s8, -1, 0
	v_and_b32_e32 v28, 15, v0
	v_cndmask_b32_e64 v29, 0, 1, s8
	s_mov_b32 s9, 0
	s_lshl_b32 s10, s5, 2
	s_branch .LBB13_17
.LBB13_16:                              ;   in Loop: Header=BB13_17 Depth=1
	s_or_b32 exec_lo, exec_lo, s11
	v_add_nc_u32_e32 v5, 4, v5
	v_add_nc_u32_e32 v7, s10, v7
	;; [unrolled: 1-line block ×3, first 2 shown]
	s_delay_alu instid0(VALU_DEP_3) | instskip(SKIP_1) | instid1(SALU_CYCLE_1)
	v_cmp_ge_i32_e32 vcc_lo, v5, v27
	s_or_b32 s9, vcc_lo, s9
	s_and_not1_b32 exec_lo, exec_lo, s9
	s_cbranch_execz .LBB13_43
.LBB13_17:                              ; =>This Loop Header: Depth=1
                                        ;     Child Loop BB13_20 Depth 2
                                        ;       Child Loop BB13_24 Depth 3
                                        ;       Child Loop BB13_30 Depth 3
	;; [unrolled: 1-line block ×3, first 2 shown]
	v_ashrrev_i32_e32 v6, 31, v5
	s_mov_b32 s11, exec_lo
	s_delay_alu instid0(VALU_DEP_1) | instskip(NEXT) | instid1(VALU_DEP_1)
	v_lshlrev_b64 v[9:10], 2, v[5:6]
	v_add_co_u32 v9, vcc_lo, s26, v9
	s_delay_alu instid0(VALU_DEP_2) | instskip(SKIP_3) | instid1(VALU_DEP_1)
	v_add_co_ci_u32_e32 v10, vcc_lo, s27, v10, vcc_lo
	global_load_b32 v6, v[9:10], off
	s_waitcnt vmcnt(0)
	v_subrev_nc_u32_e32 v9, s36, v6
	v_ashrrev_i32_e32 v10, 31, v9
	s_delay_alu instid0(VALU_DEP_1) | instskip(NEXT) | instid1(VALU_DEP_1)
	v_lshlrev_b64 v[9:10], 2, v[9:10]
	v_add_co_u32 v9, vcc_lo, s30, v9
	s_delay_alu instid0(VALU_DEP_2)
	v_add_co_ci_u32_e32 v10, vcc_lo, s31, v10, vcc_lo
	global_load_b64 v[10:11], v[9:10], off
	s_waitcnt vmcnt(0)
	v_cmpx_lt_i32_e64 v10, v11
	s_cbranch_execz .LBB13_16
; %bb.18:                               ;   in Loop: Header=BB13_17 Depth=1
	v_subrev_nc_u32_e32 v10, s37, v10
	v_ashrrev_i32_e32 v9, 31, v8
	v_subrev_nc_u32_e32 v6, s37, v11
	s_mov_b32 s13, 0
	s_delay_alu instid0(VALU_DEP_3) | instskip(NEXT) | instid1(VALU_DEP_3)
	v_mad_u64_u32 v[14:15], null, s7, v10, v[1:2]
	v_lshlrev_b64 v[15:16], 2, v[8:9]
	v_mad_u64_u32 v[12:13], null, s5, v10, v[1:2]
	s_delay_alu instid0(VALU_DEP_2) | instskip(NEXT) | instid1(VALU_DEP_4)
	v_add_co_u32 v15, vcc_lo, s28, v15
	v_mul_lo_u32 v13, s7, v14
	s_delay_alu instid0(VALU_DEP_4)
	v_add_co_ci_u32_e32 v16, vcc_lo, s29, v16, vcc_lo
	s_branch .LBB13_20
.LBB13_19:                              ;   in Loop: Header=BB13_20 Depth=2
	s_or_b32 exec_lo, exec_lo, s14
	v_add_nc_u32_e32 v10, 1, v10
	s_delay_alu instid0(VALU_DEP_3) | instskip(SKIP_1) | instid1(VALU_DEP_3)
	v_add_nc_u32_e32 v13, s5, v13
	v_add_nc_u32_e32 v12, s5, v12
	v_cmp_ge_i32_e32 vcc_lo, v10, v6
	s_or_b32 s13, vcc_lo, s13
	s_delay_alu instid0(SALU_CYCLE_1)
	s_and_not1_b32 exec_lo, exec_lo, s13
	s_cbranch_execz .LBB13_16
.LBB13_20:                              ;   Parent Loop BB13_17 Depth=1
                                        ; =>  This Loop Header: Depth=2
                                        ;       Child Loop BB13_24 Depth 3
                                        ;       Child Loop BB13_30 Depth 3
	;; [unrolled: 1-line block ×3, first 2 shown]
	s_and_saveexec_b32 s14, s0
	s_cbranch_execz .LBB13_19
; %bb.21:                               ;   in Loop: Header=BB13_20 Depth=2
	v_ashrrev_i32_e32 v11, 31, v10
	v_cmp_ne_u32_e64 s1, 1, v29
	s_delay_alu instid0(VALU_DEP_2) | instskip(NEXT) | instid1(VALU_DEP_1)
	v_lshlrev_b64 v[17:18], 2, v[10:11]
	v_add_co_u32 v17, vcc_lo, s44, v17
	s_delay_alu instid0(VALU_DEP_2)
	v_add_co_ci_u32_e32 v18, vcc_lo, s45, v18, vcc_lo
	s_and_not1_b32 vcc_lo, exec_lo, s3
	global_load_b32 v9, v[17:18], off
	s_cbranch_vccnz .LBB13_26
; %bb.22:                               ;   in Loop: Header=BB13_20 Depth=2
	s_and_b32 vcc_lo, exec_lo, s1
	s_cbranch_vccnz .LBB13_27
; %bb.23:                               ;   in Loop: Header=BB13_20 Depth=2
	v_ashrrev_i32_e32 v14, 31, v13
	v_mov_b32_e32 v11, 0
	v_mov_b32_e32 v19, v7
	s_mov_b32 s1, s7
	s_delay_alu instid0(VALU_DEP_3) | instskip(NEXT) | instid1(VALU_DEP_1)
	v_lshlrev_b64 v[17:18], 2, v[13:14]
	v_add_co_u32 v17, vcc_lo, s46, v17
	s_delay_alu instid0(VALU_DEP_2)
	v_add_co_ci_u32_e32 v18, vcc_lo, s47, v18, vcc_lo
	.p2align	6
.LBB13_24:                              ;   Parent Loop BB13_17 Depth=1
                                        ;     Parent Loop BB13_20 Depth=2
                                        ; =>    This Inner Loop Header: Depth=3
	v_ashrrev_i32_e32 v20, 31, v19
	s_add_i32 s1, s1, -1
	s_delay_alu instid0(SALU_CYCLE_1) | instskip(NEXT) | instid1(VALU_DEP_1)
	s_cmp_lg_u32 s1, 0
	v_lshlrev_b64 v[30:31], 2, v[19:20]
	v_add_nc_u32_e32 v19, s7, v19
	s_delay_alu instid0(VALU_DEP_2) | instskip(NEXT) | instid1(VALU_DEP_3)
	v_add_co_u32 v30, vcc_lo, s28, v30
	v_add_co_ci_u32_e32 v31, vcc_lo, s29, v31, vcc_lo
	global_load_b32 v14, v[17:18], off
	global_load_b32 v20, v[30:31], off
	v_add_co_u32 v17, vcc_lo, v17, 4
	v_add_co_ci_u32_e32 v18, vcc_lo, 0, v18, vcc_lo
	s_waitcnt vmcnt(0)
	v_fmac_f32_e32 v11, v20, v14
	s_cbranch_scc1 .LBB13_24
; %bb.25:                               ;   in Loop: Header=BB13_20 Depth=2
	s_cbranch_execz .LBB13_28
	s_branch .LBB13_31
.LBB13_26:                              ;   in Loop: Header=BB13_20 Depth=2
                                        ; implicit-def: $vgpr11
	s_branch .LBB13_28
.LBB13_27:                              ;   in Loop: Header=BB13_20 Depth=2
	v_mov_b32_e32 v11, 0
	s_cbranch_execnz .LBB13_31
.LBB13_28:                              ;   in Loop: Header=BB13_20 Depth=2
	v_mov_b32_e32 v11, 0
	s_and_not1_b32 vcc_lo, exec_lo, s8
	s_cbranch_vccnz .LBB13_31
; %bb.29:                               ;   in Loop: Header=BB13_20 Depth=2
	v_dual_mov_b32 v18, v16 :: v_dual_mov_b32 v17, v15
	v_mov_b32_e32 v19, v12
	s_mov_b32 s1, s7
	.p2align	6
.LBB13_30:                              ;   Parent Loop BB13_17 Depth=1
                                        ;     Parent Loop BB13_20 Depth=2
                                        ; =>    This Inner Loop Header: Depth=3
	s_delay_alu instid0(VALU_DEP_1) | instskip(SKIP_1) | instid1(SALU_CYCLE_1)
	v_ashrrev_i32_e32 v20, 31, v19
	s_add_i32 s1, s1, -1
	s_cmp_eq_u32 s1, 0
	s_delay_alu instid0(VALU_DEP_1) | instskip(SKIP_1) | instid1(VALU_DEP_2)
	v_lshlrev_b64 v[30:31], 2, v[19:20]
	v_add_nc_u32_e32 v19, s7, v19
	v_add_co_u32 v30, vcc_lo, s46, v30
	s_delay_alu instid0(VALU_DEP_3)
	v_add_co_ci_u32_e32 v31, vcc_lo, s47, v31, vcc_lo
	global_load_b32 v14, v[17:18], off
	global_load_b32 v20, v[30:31], off
	v_add_co_u32 v17, vcc_lo, v17, 4
	v_add_co_ci_u32_e32 v18, vcc_lo, 0, v18, vcc_lo
	s_waitcnt vmcnt(0)
	v_fmac_f32_e32 v11, v14, v20
	s_cbranch_scc0 .LBB13_30
.LBB13_31:                              ;   in Loop: Header=BB13_20 Depth=2
	s_waitcnt vmcnt(0)
	v_subrev_nc_u32_e32 v9, s37, v9
	s_delay_alu instid0(VALU_DEP_2) | instskip(SKIP_1) | instid1(VALU_DEP_2)
	v_mul_f32_e32 v11, v26, v11
	s_mov_b32 s1, 0
	v_and_b32_e32 v14, 7, v9
	s_branch .LBB13_33
.LBB13_32:                              ;   in Loop: Header=BB13_33 Depth=3
	s_or_b32 exec_lo, exec_lo, s15
	s_xor_b32 s15, s24, -1
	s_delay_alu instid0(SALU_CYCLE_1) | instskip(NEXT) | instid1(SALU_CYCLE_1)
	s_and_b32 s15, exec_lo, s15
	s_or_b32 s1, s15, s1
	s_delay_alu instid0(SALU_CYCLE_1)
	s_and_not1_b32 exec_lo, exec_lo, s1
	s_cbranch_execz .LBB13_19
.LBB13_33:                              ;   Parent Loop BB13_17 Depth=1
                                        ;     Parent Loop BB13_20 Depth=2
                                        ; =>    This Inner Loop Header: Depth=3
	s_delay_alu instid0(VALU_DEP_1)
	v_lshl_add_u32 v17, v14, 2, v21
	s_mov_b32 s15, exec_lo
                                        ; implicit-def: $sgpr24
	ds_load_b32 v18, v17
	s_waitcnt lgkmcnt(0)
	v_cmpx_ne_u32_e64 v18, v9
	s_xor_b32 s15, exec_lo, s15
	s_cbranch_execz .LBB13_41
; %bb.34:                               ;   in Loop: Header=BB13_33 Depth=3
	s_mov_b32 s25, exec_lo
                                        ; implicit-def: $sgpr24
	v_cmpx_ne_u32_e64 s6, v18
	s_xor_b32 s25, exec_lo, s25
; %bb.35:                               ;   in Loop: Header=BB13_33 Depth=3
	v_add_nc_u32_e32 v14, 1, v14
	s_mov_b32 s24, -1
                                        ; implicit-def: $vgpr17
	s_delay_alu instid0(VALU_DEP_1)
	v_and_b32_e32 v14, 7, v14
; %bb.36:                               ;   in Loop: Header=BB13_33 Depth=3
	s_and_not1_saveexec_b32 s25, s25
	s_cbranch_execz .LBB13_40
; %bb.37:                               ;   in Loop: Header=BB13_33 Depth=3
	v_mov_b32_e32 v18, s6
	s_mov_b32 s34, -1
	s_mov_b32 s33, exec_lo
	ds_cmpstore_rtn_b32 v17, v17, v9, v18
	s_waitcnt lgkmcnt(0)
	v_cmpx_eq_u32_e64 s6, v17
	s_cbranch_execz .LBB13_39
; %bb.38:                               ;   in Loop: Header=BB13_33 Depth=3
	v_lshlrev_b32_e32 v17, 2, v28
	s_xor_b32 s34, exec_lo, -1
	s_delay_alu instid0(VALU_DEP_1) | instskip(NEXT) | instid1(VALU_DEP_1)
	v_lshl_or_b32 v17, v14, 6, v17
	v_add_nc_u32_e32 v17, v24, v17
	ds_add_f32 v17, v11
.LBB13_39:                              ;   in Loop: Header=BB13_33 Depth=3
	s_or_b32 exec_lo, exec_lo, s33
	s_delay_alu instid0(SALU_CYCLE_1) | instskip(SKIP_1) | instid1(SALU_CYCLE_1)
	s_and_not1_b32 s24, s24, exec_lo
	s_and_b32 s33, s34, exec_lo
	s_or_b32 s24, s24, s33
.LBB13_40:                              ;   in Loop: Header=BB13_33 Depth=3
	s_or_b32 exec_lo, exec_lo, s25
	s_delay_alu instid0(SALU_CYCLE_1)
	s_and_b32 s24, s24, exec_lo
.LBB13_41:                              ;   in Loop: Header=BB13_33 Depth=3
	s_and_not1_saveexec_b32 s15, s15
	s_cbranch_execz .LBB13_32
; %bb.42:                               ;   in Loop: Header=BB13_33 Depth=3
	v_lshlrev_b32_e32 v17, 2, v28
	s_and_not1_b32 s24, s24, exec_lo
	s_delay_alu instid0(VALU_DEP_1) | instskip(NEXT) | instid1(VALU_DEP_1)
	v_lshl_or_b32 v17, v14, 6, v17
	v_add_nc_u32_e32 v17, v24, v17
	ds_add_f32 v17, v11
	s_branch .LBB13_32
.LBB13_43:
	s_or_b32 exec_lo, exec_lo, s2
.LBB13_44:
	s_delay_alu instid0(SALU_CYCLE_1)
	s_and_not1_b32 vcc_lo, exec_lo, s12
	s_waitcnt lgkmcnt(0)
	s_barrier
	buffer_gl0_inv
	s_cbranch_vccnz .LBB13_62
; %bb.45:
	v_add_co_u32 v5, vcc_lo, s16, v3
	v_add_co_ci_u32_e32 v6, vcc_lo, s17, v4, vcc_lo
	v_subrev_nc_u32_e32 v7, s39, v25
	s_mov_b32 s1, exec_lo
	global_load_b64 v[5:6], v[5:6], off
	s_waitcnt vmcnt(0)
	v_subrev_nc_u32_e32 v8, s39, v6
	v_add_nc_u32_e32 v5, v5, v7
	s_delay_alu instid0(VALU_DEP_1)
	v_cmpx_lt_i32_e64 v5, v8
	s_cbranch_execz .LBB13_61
; %bb.46:
	v_max_i32_e32 v6, v1, v2
	v_and_b32_e32 v9, 15, v0
	s_cmp_eq_u32 s4, 0
	s_mov_b32 s2, 0
	s_cselect_b32 s0, -1, 0
	v_cmp_gt_i32_e32 vcc_lo, s7, v6
	v_cndmask_b32_e64 v0, v1, v2, s0
	v_cndmask_b32_e64 v7, v2, v1, s0
	v_lshlrev_b32_e32 v9, 2, v9
	s_branch .LBB13_48
.LBB13_47:                              ;   in Loop: Header=BB13_48 Depth=1
	s_or_b32 exec_lo, exec_lo, s3
	v_add_nc_u32_e32 v5, 4, v5
	s_delay_alu instid0(VALU_DEP_1) | instskip(NEXT) | instid1(VALU_DEP_1)
	v_cmp_ge_i32_e64 s0, v5, v8
	s_or_b32 s2, s0, s2
	s_delay_alu instid0(SALU_CYCLE_1)
	s_and_not1_b32 exec_lo, exec_lo, s2
	s_cbranch_execz .LBB13_61
.LBB13_48:                              ; =>This Loop Header: Depth=1
                                        ;     Child Loop BB13_51 Depth 2
	s_and_saveexec_b32 s3, vcc_lo
	s_cbranch_execz .LBB13_47
; %bb.49:                               ;   in Loop: Header=BB13_48 Depth=1
	v_mad_u64_u32 v[10:11], null, v5, s7, v[0:1]
	v_ashrrev_i32_e32 v6, 31, v5
	s_mov_b32 s5, 0
	s_delay_alu instid0(VALU_DEP_1) | instskip(NEXT) | instid1(VALU_DEP_3)
	v_lshlrev_b64 v[13:14], 2, v[5:6]
	v_mad_u64_u32 v[11:12], null, v10, s7, v[7:8]
	s_delay_alu instid0(VALU_DEP_1) | instskip(NEXT) | instid1(VALU_DEP_1)
	v_ashrrev_i32_e32 v12, 31, v11
	v_lshlrev_b64 v[10:11], 2, v[11:12]
	s_delay_alu instid0(VALU_DEP_4) | instskip(NEXT) | instid1(VALU_DEP_1)
	v_add_co_u32 v12, s0, s18, v13
	v_add_co_ci_u32_e64 v13, s0, s19, v14, s0
	s_delay_alu instid0(VALU_DEP_3) | instskip(NEXT) | instid1(VALU_DEP_1)
	v_add_co_u32 v10, s0, s20, v10
	v_add_co_ci_u32_e64 v11, s0, s21, v11, s0
	global_load_b32 v6, v[12:13], off
	global_load_b32 v10, v[10:11], off
	s_waitcnt vmcnt(1)
	v_subrev_nc_u32_e32 v6, s39, v6
	s_waitcnt vmcnt(0)
	v_mul_f32_e32 v10, v22, v10
	s_delay_alu instid0(VALU_DEP_2)
	v_and_b32_e32 v11, 7, v6
	s_branch .LBB13_51
.LBB13_50:                              ;   in Loop: Header=BB13_51 Depth=2
	s_or_b32 exec_lo, exec_lo, s0
	s_xor_b32 s0, s9, -1
	s_delay_alu instid0(SALU_CYCLE_1) | instskip(NEXT) | instid1(SALU_CYCLE_1)
	s_and_b32 s0, exec_lo, s0
	s_or_b32 s5, s0, s5
	s_delay_alu instid0(SALU_CYCLE_1)
	s_and_not1_b32 exec_lo, exec_lo, s5
	s_cbranch_execz .LBB13_47
.LBB13_51:                              ;   Parent Loop BB13_48 Depth=1
                                        ; =>  This Inner Loop Header: Depth=2
	s_delay_alu instid0(VALU_DEP_1)
	v_lshl_add_u32 v12, v11, 2, v21
	s_mov_b32 s8, exec_lo
                                        ; implicit-def: $sgpr9
	ds_load_b32 v13, v12
	s_waitcnt lgkmcnt(0)
	v_cmpx_ne_u32_e64 v13, v6
	s_xor_b32 s8, exec_lo, s8
	s_cbranch_execz .LBB13_59
; %bb.52:                               ;   in Loop: Header=BB13_51 Depth=2
	v_cmp_ne_u32_e64 s0, s6, v13
                                        ; implicit-def: $sgpr9
	s_delay_alu instid0(VALU_DEP_1) | instskip(NEXT) | instid1(SALU_CYCLE_1)
	s_and_saveexec_b32 s10, s0
	s_xor_b32 s0, exec_lo, s10
; %bb.53:                               ;   in Loop: Header=BB13_51 Depth=2
	v_add_nc_u32_e32 v11, 1, v11
	s_mov_b32 s9, -1
                                        ; implicit-def: $vgpr12
	s_delay_alu instid0(VALU_DEP_1)
	v_and_b32_e32 v11, 7, v11
; %bb.54:                               ;   in Loop: Header=BB13_51 Depth=2
	s_and_not1_saveexec_b32 s10, s0
	s_cbranch_execz .LBB13_58
; %bb.55:                               ;   in Loop: Header=BB13_51 Depth=2
	v_mov_b32_e32 v13, s6
	s_mov_b32 s11, -1
	s_mov_b32 s12, exec_lo
	ds_cmpstore_rtn_b32 v12, v12, v6, v13
	s_waitcnt lgkmcnt(0)
	v_cmpx_eq_u32_e64 s6, v12
	s_cbranch_execz .LBB13_57
; %bb.56:                               ;   in Loop: Header=BB13_51 Depth=2
	v_lshl_or_b32 v12, v11, 6, v9
	s_xor_b32 s11, exec_lo, -1
	s_delay_alu instid0(VALU_DEP_1)
	v_add_nc_u32_e32 v12, v24, v12
	ds_add_f32 v12, v10
.LBB13_57:                              ;   in Loop: Header=BB13_51 Depth=2
	s_or_b32 exec_lo, exec_lo, s12
	s_delay_alu instid0(SALU_CYCLE_1) | instskip(SKIP_1) | instid1(SALU_CYCLE_1)
	s_and_not1_b32 s0, s9, exec_lo
	s_and_b32 s9, s11, exec_lo
	s_or_b32 s9, s0, s9
.LBB13_58:                              ;   in Loop: Header=BB13_51 Depth=2
	s_or_b32 exec_lo, exec_lo, s10
	s_delay_alu instid0(SALU_CYCLE_1)
	s_and_b32 s9, s9, exec_lo
.LBB13_59:                              ;   in Loop: Header=BB13_51 Depth=2
	s_and_not1_saveexec_b32 s0, s8
	s_cbranch_execz .LBB13_50
; %bb.60:                               ;   in Loop: Header=BB13_51 Depth=2
	v_lshl_or_b32 v12, v11, 6, v9
	s_and_not1_b32 s9, s9, exec_lo
	s_delay_alu instid0(VALU_DEP_1)
	v_add_nc_u32_e32 v12, v24, v12
	ds_add_f32 v12, v10
	s_branch .LBB13_50
.LBB13_61:
	s_or_b32 exec_lo, exec_lo, s1
.LBB13_62:
	v_add_co_u32 v3, vcc_lo, s22, v3
	v_add_co_ci_u32_e32 v4, vcc_lo, s23, v4, vcc_lo
	s_waitcnt lgkmcnt(0)
	s_barrier
	buffer_gl0_inv
	global_load_b32 v3, v[3:4], off
	s_cmp_eq_u32 s4, 0
	v_max_i32_e32 v5, v1, v2
	s_cselect_b32 vcc_lo, -1, 0
	v_dual_cndmask_b32 v4, v2, v1 :: v_dual_lshlrev_b32 v7, 5, v23
	v_cndmask_b32_e32 v0, v1, v2, vcc_lo
	v_lshlrev_b32_e32 v8, 2, v25
	v_cmp_gt_i32_e32 vcc_lo, s7, v5
	s_mov_b32 s1, 0
	v_lshlrev_b32_e32 v4, 2, v4
	s_delay_alu instid0(VALU_DEP_3) | instskip(NEXT) | instid1(VALU_DEP_2)
	v_or3_b32 v7, v7, v8, 0x800
	v_lshl_or_b32 v4, v25, 6, v4
	s_delay_alu instid0(VALU_DEP_1) | instskip(SKIP_1) | instid1(VALU_DEP_2)
	v_lshl_or_b32 v4, v0, 4, v4
	v_or_b32_e32 v0, -4, v25
	v_add_nc_u32_e32 v5, v24, v4
	s_waitcnt vmcnt(0)
	v_subrev_nc_u32_e32 v6, s38, v3
	s_branch .LBB13_64
.LBB13_63:                              ;   in Loop: Header=BB13_64 Depth=1
	s_or_b32 exec_lo, exec_lo, s2
	v_add_co_u32 v0, s0, v0, 4
	s_delay_alu instid0(VALU_DEP_1) | instskip(SKIP_3) | instid1(SALU_CYCLE_1)
	s_xor_b32 s0, s0, -1
	v_add_nc_u32_e32 v5, 0x100, v5
	v_add_nc_u32_e32 v7, 16, v7
	s_and_b32 s0, exec_lo, s0
	s_or_b32 s1, s0, s1
	s_delay_alu instid0(SALU_CYCLE_1)
	s_and_not1_b32 exec_lo, exec_lo, s1
	s_cbranch_execz .LBB13_67
.LBB13_64:                              ; =>This Inner Loop Header: Depth=1
	ds_load_b32 v8, v7
	s_mov_b32 s2, exec_lo
	s_waitcnt lgkmcnt(0)
	v_cmpx_gt_i32_e64 s6, v8
	s_cbranch_execz .LBB13_63
; %bb.65:                               ;   in Loop: Header=BB13_64 Depth=1
	ds_load_b128 v[9:12], v21
	ds_load_b128 v[13:16], v21 offset:16
	s_waitcnt lgkmcnt(1)
	v_cmp_gt_i32_e64 s0, v8, v9
	s_delay_alu instid0(VALU_DEP_1) | instskip(SKIP_1) | instid1(VALU_DEP_1)
	v_cndmask_b32_e64 v3, 0, 1, s0
	v_cmp_gt_i32_e64 s0, v8, v11
	v_cndmask_b32_e64 v4, 0, 1, s0
	v_cmp_gt_i32_e64 s0, v8, v10
	s_delay_alu instid0(VALU_DEP_1) | instskip(SKIP_2) | instid1(VALU_DEP_1)
	v_add_co_ci_u32_e64 v3, s0, v6, v3, s0
	s_waitcnt lgkmcnt(0)
	v_cmp_gt_i32_e64 s0, v8, v13
	v_cndmask_b32_e64 v9, 0, 1, s0
	v_cmp_gt_i32_e64 s0, v8, v12
	s_delay_alu instid0(VALU_DEP_1) | instskip(SKIP_1) | instid1(VALU_DEP_1)
	v_add_co_ci_u32_e64 v3, s0, v3, v4, s0
	v_cmp_gt_i32_e64 s0, v8, v15
	v_cndmask_b32_e64 v4, 0, 1, s0
	v_cmp_gt_i32_e64 s0, v8, v14
	s_delay_alu instid0(VALU_DEP_1) | instskip(SKIP_1) | instid1(VALU_DEP_1)
	v_add_co_ci_u32_e64 v3, s0, v3, v9, s0
	v_cmp_gt_i32_e64 s0, v8, v16
	v_add_co_ci_u32_e64 v3, s0, v3, v4, s0
	s_delay_alu instid0(VALU_DEP_1) | instskip(NEXT) | instid1(VALU_DEP_1)
	v_ashrrev_i32_e32 v4, 31, v3
	v_lshlrev_b64 v[9:10], 2, v[3:4]
	v_add_nc_u32_e32 v4, s38, v8
	s_delay_alu instid0(VALU_DEP_2) | instskip(NEXT) | instid1(VALU_DEP_1)
	v_add_co_u32 v8, s0, s40, v9
	v_add_co_ci_u32_e64 v9, s0, s41, v10, s0
	global_store_b32 v[8:9], v4, off
	s_and_b32 exec_lo, exec_lo, vcc_lo
	s_cbranch_execz .LBB13_63
; %bb.66:                               ;   in Loop: Header=BB13_64 Depth=1
	v_mad_u64_u32 v[8:9], null, v3, s7, v[2:3]
	s_delay_alu instid0(VALU_DEP_1) | instskip(SKIP_2) | instid1(VALU_DEP_1)
	v_mad_u64_u32 v[3:4], null, v8, s7, v[1:2]
	ds_load_b32 v8, v5
	v_ashrrev_i32_e32 v4, 31, v3
	v_lshlrev_b64 v[3:4], 2, v[3:4]
	s_delay_alu instid0(VALU_DEP_1) | instskip(NEXT) | instid1(VALU_DEP_1)
	v_add_co_u32 v3, s0, s42, v3
	v_add_co_ci_u32_e64 v4, s0, s43, v4, s0
	s_waitcnt lgkmcnt(0)
	global_store_b32 v[3:4], v8, off
	s_branch .LBB13_63
.LBB13_67:
	s_nop 0
	s_sendmsg sendmsg(MSG_DEALLOC_VGPRS)
	s_endpgm
	.section	.rodata,"a",@progbits
	.p2align	6, 0x0
	.amdhsa_kernel _ZN9rocsparseL23bsrgemm_fill_wf_per_rowILj256ELj64ELj8ELj137ELj4EiifEEv20rocsparse_direction_T5_S2_S2_PKS2_S4_NS_24const_host_device_scalarIT6_EEPKT4_S4_PKS6_SA_S4_SC_S7_SA_S4_SC_SA_PS2_PS6_21rocsparse_index_base_SF_SF_SF_bbb
		.amdhsa_group_segment_fixed_size 2176
		.amdhsa_private_segment_fixed_size 0
		.amdhsa_kernarg_size 164
		.amdhsa_user_sgpr_count 15
		.amdhsa_user_sgpr_dispatch_ptr 0
		.amdhsa_user_sgpr_queue_ptr 0
		.amdhsa_user_sgpr_kernarg_segment_ptr 1
		.amdhsa_user_sgpr_dispatch_id 0
		.amdhsa_user_sgpr_private_segment_size 0
		.amdhsa_wavefront_size32 1
		.amdhsa_uses_dynamic_stack 0
		.amdhsa_enable_private_segment 0
		.amdhsa_system_sgpr_workgroup_id_x 1
		.amdhsa_system_sgpr_workgroup_id_y 0
		.amdhsa_system_sgpr_workgroup_id_z 0
		.amdhsa_system_sgpr_workgroup_info 0
		.amdhsa_system_vgpr_workitem_id 0
		.amdhsa_next_free_vgpr 32
		.amdhsa_next_free_sgpr 48
		.amdhsa_reserve_vcc 1
		.amdhsa_float_round_mode_32 0
		.amdhsa_float_round_mode_16_64 0
		.amdhsa_float_denorm_mode_32 3
		.amdhsa_float_denorm_mode_16_64 3
		.amdhsa_dx10_clamp 1
		.amdhsa_ieee_mode 1
		.amdhsa_fp16_overflow 0
		.amdhsa_workgroup_processor_mode 1
		.amdhsa_memory_ordered 1
		.amdhsa_forward_progress 0
		.amdhsa_shared_vgpr_count 0
		.amdhsa_exception_fp_ieee_invalid_op 0
		.amdhsa_exception_fp_denorm_src 0
		.amdhsa_exception_fp_ieee_div_zero 0
		.amdhsa_exception_fp_ieee_overflow 0
		.amdhsa_exception_fp_ieee_underflow 0
		.amdhsa_exception_fp_ieee_inexact 0
		.amdhsa_exception_int_div_zero 0
	.end_amdhsa_kernel
	.section	.text._ZN9rocsparseL23bsrgemm_fill_wf_per_rowILj256ELj64ELj8ELj137ELj4EiifEEv20rocsparse_direction_T5_S2_S2_PKS2_S4_NS_24const_host_device_scalarIT6_EEPKT4_S4_PKS6_SA_S4_SC_S7_SA_S4_SC_SA_PS2_PS6_21rocsparse_index_base_SF_SF_SF_bbb,"axG",@progbits,_ZN9rocsparseL23bsrgemm_fill_wf_per_rowILj256ELj64ELj8ELj137ELj4EiifEEv20rocsparse_direction_T5_S2_S2_PKS2_S4_NS_24const_host_device_scalarIT6_EEPKT4_S4_PKS6_SA_S4_SC_S7_SA_S4_SC_SA_PS2_PS6_21rocsparse_index_base_SF_SF_SF_bbb,comdat
.Lfunc_end13:
	.size	_ZN9rocsparseL23bsrgemm_fill_wf_per_rowILj256ELj64ELj8ELj137ELj4EiifEEv20rocsparse_direction_T5_S2_S2_PKS2_S4_NS_24const_host_device_scalarIT6_EEPKT4_S4_PKS6_SA_S4_SC_S7_SA_S4_SC_SA_PS2_PS6_21rocsparse_index_base_SF_SF_SF_bbb, .Lfunc_end13-_ZN9rocsparseL23bsrgemm_fill_wf_per_rowILj256ELj64ELj8ELj137ELj4EiifEEv20rocsparse_direction_T5_S2_S2_PKS2_S4_NS_24const_host_device_scalarIT6_EEPKT4_S4_PKS6_SA_S4_SC_S7_SA_S4_SC_SA_PS2_PS6_21rocsparse_index_base_SF_SF_SF_bbb
                                        ; -- End function
	.section	.AMDGPU.csdata,"",@progbits
; Kernel info:
; codeLenInByte = 2636
; NumSgprs: 50
; NumVgprs: 32
; ScratchSize: 0
; MemoryBound: 0
; FloatMode: 240
; IeeeMode: 1
; LDSByteSize: 2176 bytes/workgroup (compile time only)
; SGPRBlocks: 6
; VGPRBlocks: 3
; NumSGPRsForWavesPerEU: 50
; NumVGPRsForWavesPerEU: 32
; Occupancy: 16
; WaveLimiterHint : 1
; COMPUTE_PGM_RSRC2:SCRATCH_EN: 0
; COMPUTE_PGM_RSRC2:USER_SGPR: 15
; COMPUTE_PGM_RSRC2:TRAP_HANDLER: 0
; COMPUTE_PGM_RSRC2:TGID_X_EN: 1
; COMPUTE_PGM_RSRC2:TGID_Y_EN: 0
; COMPUTE_PGM_RSRC2:TGID_Z_EN: 0
; COMPUTE_PGM_RSRC2:TIDIG_COMP_CNT: 0
	.section	.text._ZN9rocsparseL23bsrgemm_fill_wf_per_rowILj256ELj64ELj16ELj137ELj4EiifEEv20rocsparse_direction_T5_S2_S2_PKS2_S4_NS_24const_host_device_scalarIT6_EEPKT4_S4_PKS6_SA_S4_SC_S7_SA_S4_SC_SA_PS2_PS6_21rocsparse_index_base_SF_SF_SF_bbb,"axG",@progbits,_ZN9rocsparseL23bsrgemm_fill_wf_per_rowILj256ELj64ELj16ELj137ELj4EiifEEv20rocsparse_direction_T5_S2_S2_PKS2_S4_NS_24const_host_device_scalarIT6_EEPKT4_S4_PKS6_SA_S4_SC_S7_SA_S4_SC_SA_PS2_PS6_21rocsparse_index_base_SF_SF_SF_bbb,comdat
	.globl	_ZN9rocsparseL23bsrgemm_fill_wf_per_rowILj256ELj64ELj16ELj137ELj4EiifEEv20rocsparse_direction_T5_S2_S2_PKS2_S4_NS_24const_host_device_scalarIT6_EEPKT4_S4_PKS6_SA_S4_SC_S7_SA_S4_SC_SA_PS2_PS6_21rocsparse_index_base_SF_SF_SF_bbb ; -- Begin function _ZN9rocsparseL23bsrgemm_fill_wf_per_rowILj256ELj64ELj16ELj137ELj4EiifEEv20rocsparse_direction_T5_S2_S2_PKS2_S4_NS_24const_host_device_scalarIT6_EEPKT4_S4_PKS6_SA_S4_SC_S7_SA_S4_SC_SA_PS2_PS6_21rocsparse_index_base_SF_SF_SF_bbb
	.p2align	8
	.type	_ZN9rocsparseL23bsrgemm_fill_wf_per_rowILj256ELj64ELj16ELj137ELj4EiifEEv20rocsparse_direction_T5_S2_S2_PKS2_S4_NS_24const_host_device_scalarIT6_EEPKT4_S4_PKS6_SA_S4_SC_S7_SA_S4_SC_SA_PS2_PS6_21rocsparse_index_base_SF_SF_SF_bbb,@function
_ZN9rocsparseL23bsrgemm_fill_wf_per_rowILj256ELj64ELj16ELj137ELj4EiifEEv20rocsparse_direction_T5_S2_S2_PKS2_S4_NS_24const_host_device_scalarIT6_EEPKT4_S4_PKS6_SA_S4_SC_S7_SA_S4_SC_SA_PS2_PS6_21rocsparse_index_base_SF_SF_SF_bbb: ; @_ZN9rocsparseL23bsrgemm_fill_wf_per_rowILj256ELj64ELj16ELj137ELj4EiifEEv20rocsparse_direction_T5_S2_S2_PKS2_S4_NS_24const_host_device_scalarIT6_EEPKT4_S4_PKS6_SA_S4_SC_S7_SA_S4_SC_SA_PS2_PS6_21rocsparse_index_base_SF_SF_SF_bbb
; %bb.0:
	s_clause 0x2
	s_load_b32 s6, s[0:1], 0xa0
	s_load_b64 s[4:5], s[0:1], 0x20
	s_load_b64 s[2:3], s[0:1], 0x58
	s_waitcnt lgkmcnt(0)
	s_bitcmp1_b32 s6, 0
	s_cselect_b32 s13, -1, 0
	s_bitcmp1_b32 s6, 16
	s_cselect_b32 s7, -1, 0
	s_xor_b32 s8, s13, -1
	s_delay_alu instid0(SALU_CYCLE_1) | instskip(NEXT) | instid1(SALU_CYCLE_1)
	s_or_b32 s8, s8, s7
	s_and_b32 vcc_lo, exec_lo, s8
	s_cbranch_vccnz .LBB14_2
; %bb.1:
	s_load_b32 s4, s[4:5], 0x0
	s_waitcnt lgkmcnt(0)
	v_mov_b32_e32 v26, s4
	s_branch .LBB14_3
.LBB14_2:
	v_cndmask_b32_e64 v26, 0, s4, s13
.LBB14_3:
	s_load_b128 s[36:39], s[0:1], 0x90
	s_bitcmp1_b32 s6, 8
	s_cselect_b32 s12, -1, 0
	s_delay_alu instid0(SALU_CYCLE_1) | instskip(NEXT) | instid1(SALU_CYCLE_1)
	s_xor_b32 s4, s12, -1
	s_or_b32 s4, s4, s7
	s_delay_alu instid0(SALU_CYCLE_1)
	s_and_b32 vcc_lo, exec_lo, s4
	s_cbranch_vccnz .LBB14_5
; %bb.4:
	s_load_b32 s2, s[2:3], 0x0
	s_waitcnt lgkmcnt(0)
	v_mov_b32_e32 v22, s2
	s_branch .LBB14_6
.LBB14_5:
	v_cndmask_b32_e64 v22, 0, s2, s12
.LBB14_6:
	s_clause 0x4
	s_load_b128 s[40:43], s[0:1], 0x80
	s_load_b256 s[16:23], s[0:1], 0x60
	s_load_b128 s[44:47], s[0:1], 0x48
	s_load_b256 s[4:11], s[0:1], 0x0
	s_load_b256 s[24:31], s[0:1], 0x28
	s_movk_i32 s0, 0xc0
	v_and_b32_e32 v1, 63, v0
	v_lshrrev_b32_e32 v23, 6, v0
	v_and_or_b32 v21, v0, s0, 0x1000
	s_mov_b32 s0, exec_lo
	s_delay_alu instid0(VALU_DEP_3)
	v_cmpx_gt_u32_e32 16, v1
	s_cbranch_execz .LBB14_8
; %bb.7:
	s_delay_alu instid0(VALU_DEP_2)
	v_lshl_add_u32 v2, v1, 2, v21
	s_waitcnt lgkmcnt(0)
	v_mov_b32_e32 v3, s6
	ds_store_b32 v2, v3
.LBB14_8:
	s_or_b32 exec_lo, exec_lo, s0
	v_lshlrev_b32_e32 v24, 10, v23
	v_or_b32_e32 v2, 0xffffffc0, v1
	v_mov_b32_e32 v4, 0
	s_mov_b32 s0, 0
	s_delay_alu instid0(VALU_DEP_3)
	v_lshl_or_b32 v3, v1, 2, v24
.LBB14_9:                               ; =>This Inner Loop Header: Depth=1
	s_delay_alu instid0(VALU_DEP_3) | instskip(SKIP_4) | instid1(SALU_CYCLE_1)
	v_add_nc_u32_e32 v2, 64, v2
	ds_store_b32 v3, v4
	v_add_nc_u32_e32 v3, 0x100, v3
	v_cmp_lt_u32_e32 vcc_lo, 0xbf, v2
	s_or_b32 s0, vcc_lo, s0
	s_and_not1_b32 exec_lo, exec_lo, s0
	s_cbranch_execnz .LBB14_9
; %bb.10:
	s_or_b32 exec_lo, exec_lo, s0
	v_lshl_or_b32 v2, s15, 2, v23
	s_waitcnt lgkmcnt(0)
	s_barrier
	buffer_gl0_inv
	s_mov_b32 s0, exec_lo
	v_cmpx_gt_i32_e64 s5, v2
	s_cbranch_execz .LBB14_67
; %bb.11:
	s_cmp_eq_u64 s[10:11], 0
	s_cbranch_scc1 .LBB14_13
; %bb.12:
	s_load_b32 s0, s[8:9], 0x0
	s_waitcnt lgkmcnt(0)
	v_add_nc_u32_e32 v2, s0, v2
	s_delay_alu instid0(VALU_DEP_1) | instskip(NEXT) | instid1(VALU_DEP_1)
	v_ashrrev_i32_e32 v3, 31, v2
	v_lshlrev_b64 v[2:3], 2, v[2:3]
	s_delay_alu instid0(VALU_DEP_1) | instskip(NEXT) | instid1(VALU_DEP_2)
	v_add_co_u32 v2, vcc_lo, s10, v2
	v_add_co_ci_u32_e32 v3, vcc_lo, s11, v3, vcc_lo
	global_load_b32 v2, v[2:3], off
.LBB14_13:
	s_waitcnt vmcnt(0)
	v_ashrrev_i32_e32 v3, 31, v2
	v_lshrrev_b32_e32 v25, 4, v1
	v_and_b32_e32 v1, 3, v0
	s_and_not1_b32 vcc_lo, exec_lo, s13
	s_delay_alu instid0(VALU_DEP_3)
	v_lshlrev_b64 v[3:4], 2, v[2:3]
	v_bfe_u32 v2, v0, 2, 2
	s_cbranch_vccnz .LBB14_44
; %bb.14:
	s_delay_alu instid0(VALU_DEP_2) | instskip(NEXT) | instid1(VALU_DEP_3)
	v_add_co_u32 v5, vcc_lo, s24, v3
	v_add_co_ci_u32_e32 v6, vcc_lo, s25, v4, vcc_lo
	v_subrev_nc_u32_e32 v7, s36, v25
	s_mov_b32 s2, exec_lo
	global_load_b64 v[5:6], v[5:6], off
	s_waitcnt vmcnt(0)
	v_subrev_nc_u32_e32 v27, s36, v6
	v_add_nc_u32_e32 v5, v5, v7
	s_delay_alu instid0(VALU_DEP_1)
	v_cmpx_lt_i32_e64 v5, v27
	s_cbranch_execz .LBB14_43
; %bb.15:
	v_mad_u64_u32 v[6:7], null, s7, v5, v[2:3]
	v_max_i32_e32 v8, v1, v2
	s_cmp_lg_u32 s4, 0
	s_mul_i32 s5, s7, s7
	s_cselect_b32 s3, -1, 0
	s_cmp_gt_i32 s7, 0
	v_cmp_gt_i32_e64 s0, s7, v8
	v_mad_u64_u32 v[7:8], null, s5, v5, v[2:3]
	v_mul_lo_u32 v8, s7, v6
	s_cselect_b32 s8, -1, 0
	v_and_b32_e32 v28, 15, v0
	v_cndmask_b32_e64 v29, 0, 1, s8
	s_mov_b32 s9, 0
	s_lshl_b32 s10, s5, 2
	s_branch .LBB14_17
.LBB14_16:                              ;   in Loop: Header=BB14_17 Depth=1
	s_or_b32 exec_lo, exec_lo, s11
	v_add_nc_u32_e32 v5, 4, v5
	v_add_nc_u32_e32 v7, s10, v7
	;; [unrolled: 1-line block ×3, first 2 shown]
	s_delay_alu instid0(VALU_DEP_3) | instskip(SKIP_1) | instid1(SALU_CYCLE_1)
	v_cmp_ge_i32_e32 vcc_lo, v5, v27
	s_or_b32 s9, vcc_lo, s9
	s_and_not1_b32 exec_lo, exec_lo, s9
	s_cbranch_execz .LBB14_43
.LBB14_17:                              ; =>This Loop Header: Depth=1
                                        ;     Child Loop BB14_20 Depth 2
                                        ;       Child Loop BB14_24 Depth 3
                                        ;       Child Loop BB14_30 Depth 3
	;; [unrolled: 1-line block ×3, first 2 shown]
	v_ashrrev_i32_e32 v6, 31, v5
	s_mov_b32 s11, exec_lo
	s_delay_alu instid0(VALU_DEP_1) | instskip(NEXT) | instid1(VALU_DEP_1)
	v_lshlrev_b64 v[9:10], 2, v[5:6]
	v_add_co_u32 v9, vcc_lo, s26, v9
	s_delay_alu instid0(VALU_DEP_2) | instskip(SKIP_3) | instid1(VALU_DEP_1)
	v_add_co_ci_u32_e32 v10, vcc_lo, s27, v10, vcc_lo
	global_load_b32 v6, v[9:10], off
	s_waitcnt vmcnt(0)
	v_subrev_nc_u32_e32 v9, s36, v6
	v_ashrrev_i32_e32 v10, 31, v9
	s_delay_alu instid0(VALU_DEP_1) | instskip(NEXT) | instid1(VALU_DEP_1)
	v_lshlrev_b64 v[9:10], 2, v[9:10]
	v_add_co_u32 v9, vcc_lo, s30, v9
	s_delay_alu instid0(VALU_DEP_2)
	v_add_co_ci_u32_e32 v10, vcc_lo, s31, v10, vcc_lo
	global_load_b64 v[10:11], v[9:10], off
	s_waitcnt vmcnt(0)
	v_cmpx_lt_i32_e64 v10, v11
	s_cbranch_execz .LBB14_16
; %bb.18:                               ;   in Loop: Header=BB14_17 Depth=1
	v_subrev_nc_u32_e32 v10, s37, v10
	v_ashrrev_i32_e32 v9, 31, v8
	v_subrev_nc_u32_e32 v6, s37, v11
	s_mov_b32 s13, 0
	s_delay_alu instid0(VALU_DEP_3) | instskip(NEXT) | instid1(VALU_DEP_3)
	v_mad_u64_u32 v[14:15], null, s7, v10, v[1:2]
	v_lshlrev_b64 v[15:16], 2, v[8:9]
	v_mad_u64_u32 v[12:13], null, s5, v10, v[1:2]
	s_delay_alu instid0(VALU_DEP_2) | instskip(NEXT) | instid1(VALU_DEP_4)
	v_add_co_u32 v15, vcc_lo, s28, v15
	v_mul_lo_u32 v13, s7, v14
	s_delay_alu instid0(VALU_DEP_4)
	v_add_co_ci_u32_e32 v16, vcc_lo, s29, v16, vcc_lo
	s_branch .LBB14_20
.LBB14_19:                              ;   in Loop: Header=BB14_20 Depth=2
	s_or_b32 exec_lo, exec_lo, s14
	v_add_nc_u32_e32 v10, 1, v10
	s_delay_alu instid0(VALU_DEP_3) | instskip(SKIP_1) | instid1(VALU_DEP_3)
	v_add_nc_u32_e32 v13, s5, v13
	v_add_nc_u32_e32 v12, s5, v12
	v_cmp_ge_i32_e32 vcc_lo, v10, v6
	s_or_b32 s13, vcc_lo, s13
	s_delay_alu instid0(SALU_CYCLE_1)
	s_and_not1_b32 exec_lo, exec_lo, s13
	s_cbranch_execz .LBB14_16
.LBB14_20:                              ;   Parent Loop BB14_17 Depth=1
                                        ; =>  This Loop Header: Depth=2
                                        ;       Child Loop BB14_24 Depth 3
                                        ;       Child Loop BB14_30 Depth 3
	;; [unrolled: 1-line block ×3, first 2 shown]
	s_and_saveexec_b32 s14, s0
	s_cbranch_execz .LBB14_19
; %bb.21:                               ;   in Loop: Header=BB14_20 Depth=2
	v_ashrrev_i32_e32 v11, 31, v10
	v_cmp_ne_u32_e64 s1, 1, v29
	s_delay_alu instid0(VALU_DEP_2) | instskip(NEXT) | instid1(VALU_DEP_1)
	v_lshlrev_b64 v[17:18], 2, v[10:11]
	v_add_co_u32 v17, vcc_lo, s44, v17
	s_delay_alu instid0(VALU_DEP_2)
	v_add_co_ci_u32_e32 v18, vcc_lo, s45, v18, vcc_lo
	s_and_not1_b32 vcc_lo, exec_lo, s3
	global_load_b32 v9, v[17:18], off
	s_cbranch_vccnz .LBB14_26
; %bb.22:                               ;   in Loop: Header=BB14_20 Depth=2
	s_and_b32 vcc_lo, exec_lo, s1
	s_cbranch_vccnz .LBB14_27
; %bb.23:                               ;   in Loop: Header=BB14_20 Depth=2
	v_ashrrev_i32_e32 v14, 31, v13
	v_mov_b32_e32 v11, 0
	v_mov_b32_e32 v19, v7
	s_mov_b32 s1, s7
	s_delay_alu instid0(VALU_DEP_3) | instskip(NEXT) | instid1(VALU_DEP_1)
	v_lshlrev_b64 v[17:18], 2, v[13:14]
	v_add_co_u32 v17, vcc_lo, s46, v17
	s_delay_alu instid0(VALU_DEP_2)
	v_add_co_ci_u32_e32 v18, vcc_lo, s47, v18, vcc_lo
	.p2align	6
.LBB14_24:                              ;   Parent Loop BB14_17 Depth=1
                                        ;     Parent Loop BB14_20 Depth=2
                                        ; =>    This Inner Loop Header: Depth=3
	v_ashrrev_i32_e32 v20, 31, v19
	s_add_i32 s1, s1, -1
	s_delay_alu instid0(SALU_CYCLE_1) | instskip(NEXT) | instid1(VALU_DEP_1)
	s_cmp_lg_u32 s1, 0
	v_lshlrev_b64 v[30:31], 2, v[19:20]
	v_add_nc_u32_e32 v19, s7, v19
	s_delay_alu instid0(VALU_DEP_2) | instskip(NEXT) | instid1(VALU_DEP_3)
	v_add_co_u32 v30, vcc_lo, s28, v30
	v_add_co_ci_u32_e32 v31, vcc_lo, s29, v31, vcc_lo
	global_load_b32 v14, v[17:18], off
	global_load_b32 v20, v[30:31], off
	v_add_co_u32 v17, vcc_lo, v17, 4
	v_add_co_ci_u32_e32 v18, vcc_lo, 0, v18, vcc_lo
	s_waitcnt vmcnt(0)
	v_fmac_f32_e32 v11, v20, v14
	s_cbranch_scc1 .LBB14_24
; %bb.25:                               ;   in Loop: Header=BB14_20 Depth=2
	s_cbranch_execz .LBB14_28
	s_branch .LBB14_31
.LBB14_26:                              ;   in Loop: Header=BB14_20 Depth=2
                                        ; implicit-def: $vgpr11
	s_branch .LBB14_28
.LBB14_27:                              ;   in Loop: Header=BB14_20 Depth=2
	v_mov_b32_e32 v11, 0
	s_cbranch_execnz .LBB14_31
.LBB14_28:                              ;   in Loop: Header=BB14_20 Depth=2
	v_mov_b32_e32 v11, 0
	s_and_not1_b32 vcc_lo, exec_lo, s8
	s_cbranch_vccnz .LBB14_31
; %bb.29:                               ;   in Loop: Header=BB14_20 Depth=2
	v_dual_mov_b32 v18, v16 :: v_dual_mov_b32 v17, v15
	v_mov_b32_e32 v19, v12
	s_mov_b32 s1, s7
	.p2align	6
.LBB14_30:                              ;   Parent Loop BB14_17 Depth=1
                                        ;     Parent Loop BB14_20 Depth=2
                                        ; =>    This Inner Loop Header: Depth=3
	s_delay_alu instid0(VALU_DEP_1) | instskip(SKIP_1) | instid1(SALU_CYCLE_1)
	v_ashrrev_i32_e32 v20, 31, v19
	s_add_i32 s1, s1, -1
	s_cmp_eq_u32 s1, 0
	s_delay_alu instid0(VALU_DEP_1) | instskip(SKIP_1) | instid1(VALU_DEP_2)
	v_lshlrev_b64 v[30:31], 2, v[19:20]
	v_add_nc_u32_e32 v19, s7, v19
	v_add_co_u32 v30, vcc_lo, s46, v30
	s_delay_alu instid0(VALU_DEP_3)
	v_add_co_ci_u32_e32 v31, vcc_lo, s47, v31, vcc_lo
	global_load_b32 v14, v[17:18], off
	global_load_b32 v20, v[30:31], off
	v_add_co_u32 v17, vcc_lo, v17, 4
	v_add_co_ci_u32_e32 v18, vcc_lo, 0, v18, vcc_lo
	s_waitcnt vmcnt(0)
	v_fmac_f32_e32 v11, v14, v20
	s_cbranch_scc0 .LBB14_30
.LBB14_31:                              ;   in Loop: Header=BB14_20 Depth=2
	s_waitcnt vmcnt(0)
	v_subrev_nc_u32_e32 v9, s37, v9
	s_mov_b32 s1, 0
	s_delay_alu instid0(VALU_DEP_1) | instskip(NEXT) | instid1(VALU_DEP_1)
	v_lshl_add_u32 v14, v9, 3, v9
	v_dual_mul_f32 v11, v26, v11 :: v_dual_and_b32 v14, 15, v14
	s_branch .LBB14_33
.LBB14_32:                              ;   in Loop: Header=BB14_33 Depth=3
	s_or_b32 exec_lo, exec_lo, s15
	s_xor_b32 s15, s24, -1
	s_delay_alu instid0(SALU_CYCLE_1) | instskip(NEXT) | instid1(SALU_CYCLE_1)
	s_and_b32 s15, exec_lo, s15
	s_or_b32 s1, s15, s1
	s_delay_alu instid0(SALU_CYCLE_1)
	s_and_not1_b32 exec_lo, exec_lo, s1
	s_cbranch_execz .LBB14_19
.LBB14_33:                              ;   Parent Loop BB14_17 Depth=1
                                        ;     Parent Loop BB14_20 Depth=2
                                        ; =>    This Inner Loop Header: Depth=3
	s_delay_alu instid0(VALU_DEP_1)
	v_lshl_add_u32 v17, v14, 2, v21
	s_mov_b32 s15, exec_lo
                                        ; implicit-def: $sgpr24
	ds_load_b32 v18, v17
	s_waitcnt lgkmcnt(0)
	v_cmpx_ne_u32_e64 v18, v9
	s_xor_b32 s15, exec_lo, s15
	s_cbranch_execz .LBB14_41
; %bb.34:                               ;   in Loop: Header=BB14_33 Depth=3
	s_mov_b32 s25, exec_lo
                                        ; implicit-def: $sgpr24
	v_cmpx_ne_u32_e64 s6, v18
	s_xor_b32 s25, exec_lo, s25
; %bb.35:                               ;   in Loop: Header=BB14_33 Depth=3
	v_add_nc_u32_e32 v14, 1, v14
	s_mov_b32 s24, -1
                                        ; implicit-def: $vgpr17
	s_delay_alu instid0(VALU_DEP_1)
	v_and_b32_e32 v14, 15, v14
; %bb.36:                               ;   in Loop: Header=BB14_33 Depth=3
	s_and_not1_saveexec_b32 s25, s25
	s_cbranch_execz .LBB14_40
; %bb.37:                               ;   in Loop: Header=BB14_33 Depth=3
	v_mov_b32_e32 v18, s6
	s_mov_b32 s34, -1
	s_mov_b32 s33, exec_lo
	ds_cmpstore_rtn_b32 v17, v17, v9, v18
	s_waitcnt lgkmcnt(0)
	v_cmpx_eq_u32_e64 s6, v17
	s_cbranch_execz .LBB14_39
; %bb.38:                               ;   in Loop: Header=BB14_33 Depth=3
	v_lshlrev_b32_e32 v17, 2, v28
	s_xor_b32 s34, exec_lo, -1
	s_delay_alu instid0(VALU_DEP_1) | instskip(NEXT) | instid1(VALU_DEP_1)
	v_lshl_or_b32 v17, v14, 6, v17
	v_add_nc_u32_e32 v17, v24, v17
	ds_add_f32 v17, v11
.LBB14_39:                              ;   in Loop: Header=BB14_33 Depth=3
	s_or_b32 exec_lo, exec_lo, s33
	s_delay_alu instid0(SALU_CYCLE_1) | instskip(SKIP_1) | instid1(SALU_CYCLE_1)
	s_and_not1_b32 s24, s24, exec_lo
	s_and_b32 s33, s34, exec_lo
	s_or_b32 s24, s24, s33
.LBB14_40:                              ;   in Loop: Header=BB14_33 Depth=3
	s_or_b32 exec_lo, exec_lo, s25
	s_delay_alu instid0(SALU_CYCLE_1)
	s_and_b32 s24, s24, exec_lo
.LBB14_41:                              ;   in Loop: Header=BB14_33 Depth=3
	s_and_not1_saveexec_b32 s15, s15
	s_cbranch_execz .LBB14_32
; %bb.42:                               ;   in Loop: Header=BB14_33 Depth=3
	v_lshlrev_b32_e32 v17, 2, v28
	s_and_not1_b32 s24, s24, exec_lo
	s_delay_alu instid0(VALU_DEP_1) | instskip(NEXT) | instid1(VALU_DEP_1)
	v_lshl_or_b32 v17, v14, 6, v17
	v_add_nc_u32_e32 v17, v24, v17
	ds_add_f32 v17, v11
	s_branch .LBB14_32
.LBB14_43:
	s_or_b32 exec_lo, exec_lo, s2
.LBB14_44:
	s_delay_alu instid0(SALU_CYCLE_1)
	s_and_not1_b32 vcc_lo, exec_lo, s12
	s_waitcnt lgkmcnt(0)
	s_barrier
	buffer_gl0_inv
	s_cbranch_vccnz .LBB14_62
; %bb.45:
	v_add_co_u32 v5, vcc_lo, s16, v3
	v_add_co_ci_u32_e32 v6, vcc_lo, s17, v4, vcc_lo
	v_subrev_nc_u32_e32 v7, s39, v25
	s_mov_b32 s1, exec_lo
	global_load_b64 v[5:6], v[5:6], off
	s_waitcnt vmcnt(0)
	v_subrev_nc_u32_e32 v8, s39, v6
	v_add_nc_u32_e32 v5, v5, v7
	s_delay_alu instid0(VALU_DEP_1)
	v_cmpx_lt_i32_e64 v5, v8
	s_cbranch_execz .LBB14_61
; %bb.46:
	v_max_i32_e32 v6, v1, v2
	v_and_b32_e32 v9, 15, v0
	s_cmp_eq_u32 s4, 0
	s_mov_b32 s2, 0
	s_cselect_b32 s0, -1, 0
	v_cmp_gt_i32_e32 vcc_lo, s7, v6
	v_cndmask_b32_e64 v0, v1, v2, s0
	v_cndmask_b32_e64 v7, v2, v1, s0
	v_lshlrev_b32_e32 v9, 2, v9
	s_branch .LBB14_48
.LBB14_47:                              ;   in Loop: Header=BB14_48 Depth=1
	s_or_b32 exec_lo, exec_lo, s3
	v_add_nc_u32_e32 v5, 4, v5
	s_delay_alu instid0(VALU_DEP_1) | instskip(NEXT) | instid1(VALU_DEP_1)
	v_cmp_ge_i32_e64 s0, v5, v8
	s_or_b32 s2, s0, s2
	s_delay_alu instid0(SALU_CYCLE_1)
	s_and_not1_b32 exec_lo, exec_lo, s2
	s_cbranch_execz .LBB14_61
.LBB14_48:                              ; =>This Loop Header: Depth=1
                                        ;     Child Loop BB14_51 Depth 2
	s_and_saveexec_b32 s3, vcc_lo
	s_cbranch_execz .LBB14_47
; %bb.49:                               ;   in Loop: Header=BB14_48 Depth=1
	v_mad_u64_u32 v[10:11], null, v5, s7, v[0:1]
	v_ashrrev_i32_e32 v6, 31, v5
	s_mov_b32 s5, 0
	s_delay_alu instid0(VALU_DEP_1) | instskip(NEXT) | instid1(VALU_DEP_3)
	v_lshlrev_b64 v[13:14], 2, v[5:6]
	v_mad_u64_u32 v[11:12], null, v10, s7, v[7:8]
	s_delay_alu instid0(VALU_DEP_2) | instskip(NEXT) | instid1(VALU_DEP_1)
	v_add_co_u32 v13, s0, s18, v13
	v_add_co_ci_u32_e64 v14, s0, s19, v14, s0
	s_delay_alu instid0(VALU_DEP_3) | instskip(SKIP_2) | instid1(VALU_DEP_1)
	v_ashrrev_i32_e32 v12, 31, v11
	global_load_b32 v6, v[13:14], off
	v_lshlrev_b64 v[10:11], 2, v[11:12]
	v_add_co_u32 v10, s0, s20, v10
	s_delay_alu instid0(VALU_DEP_1) | instskip(SKIP_3) | instid1(VALU_DEP_1)
	v_add_co_ci_u32_e64 v11, s0, s21, v11, s0
	global_load_b32 v10, v[10:11], off
	s_waitcnt vmcnt(1)
	v_subrev_nc_u32_e32 v6, s39, v6
	v_lshl_add_u32 v11, v6, 3, v6
	s_waitcnt vmcnt(0)
	s_delay_alu instid0(VALU_DEP_1)
	v_dual_mul_f32 v10, v22, v10 :: v_dual_and_b32 v11, 15, v11
	s_branch .LBB14_51
.LBB14_50:                              ;   in Loop: Header=BB14_51 Depth=2
	s_or_b32 exec_lo, exec_lo, s0
	s_xor_b32 s0, s9, -1
	s_delay_alu instid0(SALU_CYCLE_1) | instskip(NEXT) | instid1(SALU_CYCLE_1)
	s_and_b32 s0, exec_lo, s0
	s_or_b32 s5, s0, s5
	s_delay_alu instid0(SALU_CYCLE_1)
	s_and_not1_b32 exec_lo, exec_lo, s5
	s_cbranch_execz .LBB14_47
.LBB14_51:                              ;   Parent Loop BB14_48 Depth=1
                                        ; =>  This Inner Loop Header: Depth=2
	s_delay_alu instid0(VALU_DEP_1)
	v_lshl_add_u32 v12, v11, 2, v21
	s_mov_b32 s8, exec_lo
                                        ; implicit-def: $sgpr9
	ds_load_b32 v13, v12
	s_waitcnt lgkmcnt(0)
	v_cmpx_ne_u32_e64 v13, v6
	s_xor_b32 s8, exec_lo, s8
	s_cbranch_execz .LBB14_59
; %bb.52:                               ;   in Loop: Header=BB14_51 Depth=2
	v_cmp_ne_u32_e64 s0, s6, v13
                                        ; implicit-def: $sgpr9
	s_delay_alu instid0(VALU_DEP_1) | instskip(NEXT) | instid1(SALU_CYCLE_1)
	s_and_saveexec_b32 s10, s0
	s_xor_b32 s0, exec_lo, s10
; %bb.53:                               ;   in Loop: Header=BB14_51 Depth=2
	v_add_nc_u32_e32 v11, 1, v11
	s_mov_b32 s9, -1
                                        ; implicit-def: $vgpr12
	s_delay_alu instid0(VALU_DEP_1)
	v_and_b32_e32 v11, 15, v11
; %bb.54:                               ;   in Loop: Header=BB14_51 Depth=2
	s_and_not1_saveexec_b32 s10, s0
	s_cbranch_execz .LBB14_58
; %bb.55:                               ;   in Loop: Header=BB14_51 Depth=2
	v_mov_b32_e32 v13, s6
	s_mov_b32 s11, -1
	s_mov_b32 s12, exec_lo
	ds_cmpstore_rtn_b32 v12, v12, v6, v13
	s_waitcnt lgkmcnt(0)
	v_cmpx_eq_u32_e64 s6, v12
	s_cbranch_execz .LBB14_57
; %bb.56:                               ;   in Loop: Header=BB14_51 Depth=2
	v_lshl_or_b32 v12, v11, 6, v9
	s_xor_b32 s11, exec_lo, -1
	s_delay_alu instid0(VALU_DEP_1)
	v_add_nc_u32_e32 v12, v24, v12
	ds_add_f32 v12, v10
.LBB14_57:                              ;   in Loop: Header=BB14_51 Depth=2
	s_or_b32 exec_lo, exec_lo, s12
	s_delay_alu instid0(SALU_CYCLE_1) | instskip(SKIP_1) | instid1(SALU_CYCLE_1)
	s_and_not1_b32 s0, s9, exec_lo
	s_and_b32 s9, s11, exec_lo
	s_or_b32 s9, s0, s9
.LBB14_58:                              ;   in Loop: Header=BB14_51 Depth=2
	s_or_b32 exec_lo, exec_lo, s10
	s_delay_alu instid0(SALU_CYCLE_1)
	s_and_b32 s9, s9, exec_lo
.LBB14_59:                              ;   in Loop: Header=BB14_51 Depth=2
	s_and_not1_saveexec_b32 s0, s8
	s_cbranch_execz .LBB14_50
; %bb.60:                               ;   in Loop: Header=BB14_51 Depth=2
	v_lshl_or_b32 v12, v11, 6, v9
	s_and_not1_b32 s9, s9, exec_lo
	s_delay_alu instid0(VALU_DEP_1)
	v_add_nc_u32_e32 v12, v24, v12
	ds_add_f32 v12, v10
	s_branch .LBB14_50
.LBB14_61:
	s_or_b32 exec_lo, exec_lo, s1
.LBB14_62:
	v_add_co_u32 v3, vcc_lo, s22, v3
	v_add_co_ci_u32_e32 v4, vcc_lo, s23, v4, vcc_lo
	s_waitcnt lgkmcnt(0)
	s_barrier
	buffer_gl0_inv
	global_load_b32 v3, v[3:4], off
	s_cmp_eq_u32 s4, 0
	v_max_i32_e32 v5, v1, v2
	s_cselect_b32 vcc_lo, -1, 0
	v_dual_cndmask_b32 v4, v2, v1 :: v_dual_lshlrev_b32 v7, 6, v23
	v_cndmask_b32_e32 v0, v1, v2, vcc_lo
	v_lshlrev_b32_e32 v8, 2, v25
	v_cmp_gt_i32_e32 vcc_lo, s7, v5
	s_mov_b32 s1, 0
	v_lshlrev_b32_e32 v4, 2, v4
	s_delay_alu instid0(VALU_DEP_3) | instskip(NEXT) | instid1(VALU_DEP_2)
	v_or3_b32 v7, v7, v8, 0x1000
	v_lshl_or_b32 v4, v25, 6, v4
	s_delay_alu instid0(VALU_DEP_1) | instskip(SKIP_1) | instid1(VALU_DEP_2)
	v_lshl_or_b32 v4, v0, 4, v4
	v_or_b32_e32 v0, -4, v25
	v_add_nc_u32_e32 v5, v24, v4
	s_waitcnt vmcnt(0)
	v_subrev_nc_u32_e32 v6, s38, v3
	s_branch .LBB14_64
.LBB14_63:                              ;   in Loop: Header=BB14_64 Depth=1
	s_or_b32 exec_lo, exec_lo, s2
	v_add_nc_u32_e32 v0, 4, v0
	v_add_nc_u32_e32 v5, 0x100, v5
	v_add_nc_u32_e32 v7, 16, v7
	s_delay_alu instid0(VALU_DEP_3) | instskip(NEXT) | instid1(VALU_DEP_1)
	v_cmp_lt_u32_e64 s0, 11, v0
	s_or_b32 s1, s0, s1
	s_delay_alu instid0(SALU_CYCLE_1)
	s_and_not1_b32 exec_lo, exec_lo, s1
	s_cbranch_execz .LBB14_67
.LBB14_64:                              ; =>This Inner Loop Header: Depth=1
	ds_load_b32 v8, v7
	s_mov_b32 s2, exec_lo
	s_waitcnt lgkmcnt(0)
	v_cmpx_gt_i32_e64 s6, v8
	s_cbranch_execz .LBB14_63
; %bb.65:                               ;   in Loop: Header=BB14_64 Depth=1
	ds_load_b128 v[9:12], v21
	ds_load_b128 v[13:16], v21 offset:16
	ds_load_b128 v[17:20], v21 offset:32
	;; [unrolled: 1-line block ×3, first 2 shown]
	s_waitcnt lgkmcnt(3)
	v_cmp_gt_i32_e64 s0, v8, v9
	s_delay_alu instid0(VALU_DEP_1) | instskip(SKIP_1) | instid1(VALU_DEP_1)
	v_cndmask_b32_e64 v3, 0, 1, s0
	v_cmp_gt_i32_e64 s0, v8, v11
	v_cndmask_b32_e64 v4, 0, 1, s0
	v_cmp_gt_i32_e64 s0, v8, v10
	s_delay_alu instid0(VALU_DEP_1) | instskip(SKIP_2) | instid1(VALU_DEP_1)
	v_add_co_ci_u32_e64 v3, s0, v6, v3, s0
	s_waitcnt lgkmcnt(2)
	v_cmp_gt_i32_e64 s0, v8, v13
	v_cndmask_b32_e64 v9, 0, 1, s0
	v_cmp_gt_i32_e64 s0, v8, v12
	s_delay_alu instid0(VALU_DEP_1) | instskip(SKIP_1) | instid1(VALU_DEP_1)
	v_add_co_ci_u32_e64 v3, s0, v3, v4, s0
	v_cmp_gt_i32_e64 s0, v8, v15
	v_cndmask_b32_e64 v4, 0, 1, s0
	v_cmp_gt_i32_e64 s0, v8, v14
	s_delay_alu instid0(VALU_DEP_1) | instskip(SKIP_2) | instid1(VALU_DEP_1)
	v_add_co_ci_u32_e64 v3, s0, v3, v9, s0
	s_waitcnt lgkmcnt(1)
	v_cmp_gt_i32_e64 s0, v8, v17
	v_cndmask_b32_e64 v9, 0, 1, s0
	v_cmp_gt_i32_e64 s0, v8, v16
	s_delay_alu instid0(VALU_DEP_1) | instskip(SKIP_1) | instid1(VALU_DEP_1)
	v_add_co_ci_u32_e64 v3, s0, v3, v4, s0
	;; [unrolled: 11-line block ×3, first 2 shown]
	v_cmp_gt_i32_e64 s0, v8, v24
	v_cndmask_b32_e64 v4, 0, 1, s0
	v_cmp_gt_i32_e64 s0, v8, v23
	s_delay_alu instid0(VALU_DEP_1) | instskip(SKIP_1) | instid1(VALU_DEP_1)
	v_add_co_ci_u32_e64 v3, s0, v3, v9, s0
	v_cmp_gt_i32_e64 s0, v8, v25
	v_add_co_ci_u32_e64 v3, s0, v3, v4, s0
	s_delay_alu instid0(VALU_DEP_1) | instskip(NEXT) | instid1(VALU_DEP_1)
	v_ashrrev_i32_e32 v4, 31, v3
	v_lshlrev_b64 v[9:10], 2, v[3:4]
	v_add_nc_u32_e32 v4, s38, v8
	s_delay_alu instid0(VALU_DEP_2) | instskip(NEXT) | instid1(VALU_DEP_1)
	v_add_co_u32 v8, s0, s40, v9
	v_add_co_ci_u32_e64 v9, s0, s41, v10, s0
	global_store_b32 v[8:9], v4, off
	s_and_b32 exec_lo, exec_lo, vcc_lo
	s_cbranch_execz .LBB14_63
; %bb.66:                               ;   in Loop: Header=BB14_64 Depth=1
	v_mad_u64_u32 v[8:9], null, v3, s7, v[2:3]
	s_delay_alu instid0(VALU_DEP_1) | instskip(SKIP_2) | instid1(VALU_DEP_1)
	v_mad_u64_u32 v[3:4], null, v8, s7, v[1:2]
	ds_load_b32 v8, v5
	v_ashrrev_i32_e32 v4, 31, v3
	v_lshlrev_b64 v[3:4], 2, v[3:4]
	s_delay_alu instid0(VALU_DEP_1) | instskip(NEXT) | instid1(VALU_DEP_1)
	v_add_co_u32 v3, s0, s42, v3
	v_add_co_ci_u32_e64 v4, s0, s43, v4, s0
	s_waitcnt lgkmcnt(0)
	global_store_b32 v[3:4], v8, off
	s_branch .LBB14_63
.LBB14_67:
	s_nop 0
	s_sendmsg sendmsg(MSG_DEALLOC_VGPRS)
	s_endpgm
	.section	.rodata,"a",@progbits
	.p2align	6, 0x0
	.amdhsa_kernel _ZN9rocsparseL23bsrgemm_fill_wf_per_rowILj256ELj64ELj16ELj137ELj4EiifEEv20rocsparse_direction_T5_S2_S2_PKS2_S4_NS_24const_host_device_scalarIT6_EEPKT4_S4_PKS6_SA_S4_SC_S7_SA_S4_SC_SA_PS2_PS6_21rocsparse_index_base_SF_SF_SF_bbb
		.amdhsa_group_segment_fixed_size 4352
		.amdhsa_private_segment_fixed_size 0
		.amdhsa_kernarg_size 164
		.amdhsa_user_sgpr_count 15
		.amdhsa_user_sgpr_dispatch_ptr 0
		.amdhsa_user_sgpr_queue_ptr 0
		.amdhsa_user_sgpr_kernarg_segment_ptr 1
		.amdhsa_user_sgpr_dispatch_id 0
		.amdhsa_user_sgpr_private_segment_size 0
		.amdhsa_wavefront_size32 1
		.amdhsa_uses_dynamic_stack 0
		.amdhsa_enable_private_segment 0
		.amdhsa_system_sgpr_workgroup_id_x 1
		.amdhsa_system_sgpr_workgroup_id_y 0
		.amdhsa_system_sgpr_workgroup_id_z 0
		.amdhsa_system_sgpr_workgroup_info 0
		.amdhsa_system_vgpr_workitem_id 0
		.amdhsa_next_free_vgpr 32
		.amdhsa_next_free_sgpr 48
		.amdhsa_reserve_vcc 1
		.amdhsa_float_round_mode_32 0
		.amdhsa_float_round_mode_16_64 0
		.amdhsa_float_denorm_mode_32 3
		.amdhsa_float_denorm_mode_16_64 3
		.amdhsa_dx10_clamp 1
		.amdhsa_ieee_mode 1
		.amdhsa_fp16_overflow 0
		.amdhsa_workgroup_processor_mode 1
		.amdhsa_memory_ordered 1
		.amdhsa_forward_progress 0
		.amdhsa_shared_vgpr_count 0
		.amdhsa_exception_fp_ieee_invalid_op 0
		.amdhsa_exception_fp_denorm_src 0
		.amdhsa_exception_fp_ieee_div_zero 0
		.amdhsa_exception_fp_ieee_overflow 0
		.amdhsa_exception_fp_ieee_underflow 0
		.amdhsa_exception_fp_ieee_inexact 0
		.amdhsa_exception_int_div_zero 0
	.end_amdhsa_kernel
	.section	.text._ZN9rocsparseL23bsrgemm_fill_wf_per_rowILj256ELj64ELj16ELj137ELj4EiifEEv20rocsparse_direction_T5_S2_S2_PKS2_S4_NS_24const_host_device_scalarIT6_EEPKT4_S4_PKS6_SA_S4_SC_S7_SA_S4_SC_SA_PS2_PS6_21rocsparse_index_base_SF_SF_SF_bbb,"axG",@progbits,_ZN9rocsparseL23bsrgemm_fill_wf_per_rowILj256ELj64ELj16ELj137ELj4EiifEEv20rocsparse_direction_T5_S2_S2_PKS2_S4_NS_24const_host_device_scalarIT6_EEPKT4_S4_PKS6_SA_S4_SC_S7_SA_S4_SC_SA_PS2_PS6_21rocsparse_index_base_SF_SF_SF_bbb,comdat
.Lfunc_end14:
	.size	_ZN9rocsparseL23bsrgemm_fill_wf_per_rowILj256ELj64ELj16ELj137ELj4EiifEEv20rocsparse_direction_T5_S2_S2_PKS2_S4_NS_24const_host_device_scalarIT6_EEPKT4_S4_PKS6_SA_S4_SC_S7_SA_S4_SC_SA_PS2_PS6_21rocsparse_index_base_SF_SF_SF_bbb, .Lfunc_end14-_ZN9rocsparseL23bsrgemm_fill_wf_per_rowILj256ELj64ELj16ELj137ELj4EiifEEv20rocsparse_direction_T5_S2_S2_PKS2_S4_NS_24const_host_device_scalarIT6_EEPKT4_S4_PKS6_SA_S4_SC_S7_SA_S4_SC_SA_PS2_PS6_21rocsparse_index_base_SF_SF_SF_bbb
                                        ; -- End function
	.section	.AMDGPU.csdata,"",@progbits
; Kernel info:
; codeLenInByte = 2812
; NumSgprs: 50
; NumVgprs: 32
; ScratchSize: 0
; MemoryBound: 0
; FloatMode: 240
; IeeeMode: 1
; LDSByteSize: 4352 bytes/workgroup (compile time only)
; SGPRBlocks: 6
; VGPRBlocks: 3
; NumSGPRsForWavesPerEU: 50
; NumVGPRsForWavesPerEU: 32
; Occupancy: 16
; WaveLimiterHint : 1
; COMPUTE_PGM_RSRC2:SCRATCH_EN: 0
; COMPUTE_PGM_RSRC2:USER_SGPR: 15
; COMPUTE_PGM_RSRC2:TRAP_HANDLER: 0
; COMPUTE_PGM_RSRC2:TGID_X_EN: 1
; COMPUTE_PGM_RSRC2:TGID_Y_EN: 0
; COMPUTE_PGM_RSRC2:TGID_Z_EN: 0
; COMPUTE_PGM_RSRC2:TIDIG_COMP_CNT: 0
	.section	.text._ZN9rocsparseL38bsrgemm_block_per_row_atomic_multipassILj256ELj32ELj4EiifEEv20rocsparse_direction_T3_S2_PKS2_S4_NS_24const_host_device_scalarIT4_EEPKT2_S4_PKS6_SA_S4_SC_S7_SA_S4_SC_SA_PS2_PS6_PS8_21rocsparse_index_base_SG_SG_SG_bbb,"axG",@progbits,_ZN9rocsparseL38bsrgemm_block_per_row_atomic_multipassILj256ELj32ELj4EiifEEv20rocsparse_direction_T3_S2_PKS2_S4_NS_24const_host_device_scalarIT4_EEPKT2_S4_PKS6_SA_S4_SC_S7_SA_S4_SC_SA_PS2_PS6_PS8_21rocsparse_index_base_SG_SG_SG_bbb,comdat
	.globl	_ZN9rocsparseL38bsrgemm_block_per_row_atomic_multipassILj256ELj32ELj4EiifEEv20rocsparse_direction_T3_S2_PKS2_S4_NS_24const_host_device_scalarIT4_EEPKT2_S4_PKS6_SA_S4_SC_S7_SA_S4_SC_SA_PS2_PS6_PS8_21rocsparse_index_base_SG_SG_SG_bbb ; -- Begin function _ZN9rocsparseL38bsrgemm_block_per_row_atomic_multipassILj256ELj32ELj4EiifEEv20rocsparse_direction_T3_S2_PKS2_S4_NS_24const_host_device_scalarIT4_EEPKT2_S4_PKS6_SA_S4_SC_S7_SA_S4_SC_SA_PS2_PS6_PS8_21rocsparse_index_base_SG_SG_SG_bbb
	.p2align	8
	.type	_ZN9rocsparseL38bsrgemm_block_per_row_atomic_multipassILj256ELj32ELj4EiifEEv20rocsparse_direction_T3_S2_PKS2_S4_NS_24const_host_device_scalarIT4_EEPKT2_S4_PKS6_SA_S4_SC_S7_SA_S4_SC_SA_PS2_PS6_PS8_21rocsparse_index_base_SG_SG_SG_bbb,@function
_ZN9rocsparseL38bsrgemm_block_per_row_atomic_multipassILj256ELj32ELj4EiifEEv20rocsparse_direction_T3_S2_PKS2_S4_NS_24const_host_device_scalarIT4_EEPKT2_S4_PKS6_SA_S4_SC_S7_SA_S4_SC_SA_PS2_PS6_PS8_21rocsparse_index_base_SG_SG_SG_bbb: ; @_ZN9rocsparseL38bsrgemm_block_per_row_atomic_multipassILj256ELj32ELj4EiifEEv20rocsparse_direction_T3_S2_PKS2_S4_NS_24const_host_device_scalarIT4_EEPKT2_S4_PKS6_SA_S4_SC_S7_SA_S4_SC_SA_PS2_PS6_PS8_21rocsparse_index_base_SG_SG_SG_bbb
; %bb.0:
	s_clause 0x3
	s_load_b32 s5, s[0:1], 0xa8
	s_load_b128 s[28:31], s[0:1], 0x98
	s_load_b64 s[6:7], s[0:1], 0x20
	s_load_b64 s[2:3], s[0:1], 0x58
	s_mov_b32 s4, s15
	s_waitcnt lgkmcnt(0)
	s_bitcmp1_b32 s5, 0
	s_cselect_b32 s10, -1, 0
	s_bitcmp1_b32 s5, 16
	s_cselect_b32 s8, -1, 0
	s_xor_b32 s9, s10, -1
	s_delay_alu instid0(SALU_CYCLE_1) | instskip(NEXT) | instid1(SALU_CYCLE_1)
	s_or_b32 s9, s9, s8
	s_and_b32 vcc_lo, exec_lo, s9
	s_cbranch_vccnz .LBB15_2
; %bb.1:
	s_load_b32 s6, s[6:7], 0x0
	s_waitcnt lgkmcnt(0)
	v_mov_b32_e32 v12, s6
	s_branch .LBB15_3
.LBB15_2:
	v_cndmask_b32_e64 v12, 0, s6, s10
.LBB15_3:
	s_load_b64 s[6:7], s[0:1], 0x18
	s_bitcmp1_b32 s5, 8
	s_cselect_b32 s33, -1, 0
	s_delay_alu instid0(SALU_CYCLE_1) | instskip(NEXT) | instid1(SALU_CYCLE_1)
	s_xor_b32 s5, s33, -1
	s_or_b32 s5, s5, s8
	s_delay_alu instid0(SALU_CYCLE_1)
	s_and_b32 vcc_lo, exec_lo, s5
	s_cbranch_vccnz .LBB15_5
; %bb.4:
	s_load_b32 s2, s[2:3], 0x0
	s_waitcnt lgkmcnt(0)
	v_mov_b32_e32 v13, s2
	s_load_b64 s[2:3], s[0:1], 0x28
	s_cmp_eq_u64 s[6:7], 0
	s_cbranch_scc0 .LBB15_6
	s_branch .LBB15_7
.LBB15_5:
	v_cndmask_b32_e64 v13, 0, s2, s33
	s_load_b64 s[2:3], s[0:1], 0x28
	s_waitcnt lgkmcnt(0)
	s_cmp_eq_u64 s[6:7], 0
	s_cbranch_scc1 .LBB15_7
.LBB15_6:
	s_load_b64 s[8:9], s[0:1], 0x10
	s_waitcnt lgkmcnt(0)
	s_load_b32 s5, s[8:9], 0x0
	s_waitcnt lgkmcnt(0)
	s_add_i32 s4, s5, s4
	s_mov_b32 s5, 0
	s_delay_alu instid0(SALU_CYCLE_1) | instskip(NEXT) | instid1(SALU_CYCLE_1)
	s_lshl_b64 s[4:5], s[4:5], 2
	s_add_u32 s4, s6, s4
	s_addc_u32 s5, s7, s5
	s_load_b32 s4, s[4:5], 0x0
.LBB15_7:
	s_mov_b32 s46, 0
	s_and_not1_b32 vcc_lo, exec_lo, s10
	s_mov_b32 s47, 0
	s_cbranch_vccz .LBB15_10
; %bb.8:
	s_and_not1_b32 vcc_lo, exec_lo, s10
	s_cbranch_vccz .LBB15_11
.LBB15_9:
	s_load_b128 s[36:39], s[0:1], 0x0
	s_waitcnt lgkmcnt(0)
	s_cmp_lt_i32 s37, 1
	s_cbranch_scc0 .LBB15_12
	s_branch .LBB15_94
.LBB15_10:
	s_waitcnt lgkmcnt(0)
	s_ashr_i32 s5, s4, 31
	s_delay_alu instid0(SALU_CYCLE_1) | instskip(NEXT) | instid1(SALU_CYCLE_1)
	s_lshl_b64 s[6:7], s[4:5], 2
	s_add_u32 s6, s2, s6
	s_addc_u32 s7, s3, s7
	s_load_b32 s5, s[6:7], 0x0
	s_waitcnt lgkmcnt(0)
	s_sub_i32 s47, s5, s28
	s_and_not1_b32 vcc_lo, exec_lo, s10
	s_cbranch_vccnz .LBB15_9
.LBB15_11:
	s_waitcnt lgkmcnt(0)
	s_ashr_i32 s5, s4, 31
	s_delay_alu instid0(SALU_CYCLE_1) | instskip(NEXT) | instid1(SALU_CYCLE_1)
	s_lshl_b64 s[6:7], s[4:5], 2
	s_add_u32 s2, s2, s6
	s_addc_u32 s3, s3, s7
	s_load_b32 s2, s[2:3], 0x4
	s_waitcnt lgkmcnt(0)
	s_sub_i32 s46, s2, s28
	s_load_b128 s[36:39], s[0:1], 0x0
	s_waitcnt lgkmcnt(0)
	s_cmp_lt_i32 s37, 1
	s_cbranch_scc1 .LBB15_94
.LBB15_12:
	s_clause 0x4
	s_load_b256 s[12:19], s[0:1], 0x60
	s_load_b64 s[34:35], s[0:1], 0x90
	s_load_b128 s[40:43], s[0:1], 0x80
	s_load_b64 s[44:45], s[0:1], 0x50
	s_load_b256 s[20:27], s[0:1], 0x30
	s_ashr_i32 s5, s4, 31
	v_lshrrev_b32_e32 v14, 4, v0
	s_lshl_b64 s[50:51], s[4:5], 2
	v_dual_mov_b32 v32, 0 :: v_dual_and_b32 v1, 3, v0
	v_bfe_u32 v2, v0, 2, 2
	v_dual_mov_b32 v33, 32 :: v_dual_and_b32 v4, 31, v0
	v_dual_mov_b32 v30, 0 :: v_dual_lshlrev_b32 v15, 2, v0
	s_delay_alu instid0(VALU_DEP_3) | instskip(NEXT) | instid1(VALU_DEP_3)
	v_max_i32_e32 v5, v1, v2
	v_add_co_u32 v6, s39, v4, -1
	v_lshlrev_b32_e32 v7, 6, v14
	v_cmp_gt_u32_e64 s0, 32, v0
	s_waitcnt lgkmcnt(0)
	s_add_u32 s4, s18, s50
	s_addc_u32 s5, s19, s51
	v_cmp_gt_u32_e64 s1, 0x200, v0
	s_load_b32 s11, s[4:5], 0x0
	v_cmp_eq_u32_e64 s2, 0, v0
	v_or_b32_e32 v17, 0x800, v15
	v_subrev_nc_u32_e32 v18, s31, v14
	v_or_b32_e32 v19, 0xc00, v15
	v_cmp_ne_u32_e64 s4, 0, v4
	v_cmp_lt_u32_e64 s5, 1, v4
	v_cmp_lt_u32_e64 s6, 3, v4
	;; [unrolled: 1-line block ×4, first 2 shown]
	v_cmp_gt_i32_e64 s9, s38, v5
	v_lshl_add_u32 v21, v6, 2, 0xc00
	v_lshl_or_b32 v28, v14, 2, 0xc00
	v_mov_b32_e32 v31, 1
	s_waitcnt lgkmcnt(0)
	s_sub_i32 s11, s11, s30
	s_cmp_lt_i32 s47, s46
	v_mov_b32_e32 v29, s11
	s_cselect_b32 s49, -1, 0
	s_cmp_eq_u32 s36, 0
	s_cselect_b32 vcc_lo, -1, 0
	v_and_b32_e32 v3, 15, v0
	s_cmp_lg_u32 s36, 0
	v_and_b32_e32 v16, 12, v0
	s_cselect_b32 s36, -1, 0
	s_cmp_gt_i32 s38, 0
	v_cmp_eq_u32_e64 s3, 15, v3
	v_lshlrev_b32_e32 v3, 2, v4
	s_cselect_b32 s48, -1, 0
	s_add_u32 s18, s12, s50
	s_addc_u32 s19, s13, s51
	s_and_b32 s13, s10, s49
	s_movk_i32 s10, 0x3f0
	v_or_b32_e32 v20, 0xc00, v3
	v_add_nc_u32_e32 v22, 0xbf8, v3
	v_add_nc_u32_e32 v23, 0xbf0, v3
	;; [unrolled: 1-line block ×4, first 2 shown]
	v_dual_cndmask_b32 v3, v1, v2 :: v_dual_cndmask_b32 v4, v2, v1
	v_or_b32_e32 v0, 0xffffff00, v0
	v_or3_b32 v26, v7, v16, 0x800
	v_and_or_b32 v27, v15, s10, 0x800
	s_mul_i32 s50, s38, s38
	s_add_u32 s49, s24, 4
	s_addc_u32 s51, s25, 0
	s_lshl_b32 s52, s50, 4
	s_branch .LBB15_14
.LBB15_13:                              ;   in Loop: Header=BB15_14 Depth=1
	s_set_inst_prefetch_distance 0x2
	s_or_b32 exec_lo, exec_lo, s10
	s_waitcnt_vscnt null, 0x0
	s_barrier
	buffer_gl0_inv
	ds_load_b32 v32, v30 offset:3200
	v_add_nc_u32_e32 v29, v7, v29
	s_waitcnt lgkmcnt(0)
	s_barrier
	buffer_gl0_inv
	v_cmp_le_i32_e32 vcc_lo, s37, v32
	v_add_nc_u32_e32 v33, 32, v32
	s_cbranch_vccnz .LBB15_94
.LBB15_14:                              ; =>This Loop Header: Depth=1
                                        ;     Child Loop BB15_18 Depth 2
                                        ;     Child Loop BB15_24 Depth 2
                                        ;       Child Loop BB15_37 Depth 3
                                        ;         Child Loop BB15_46 Depth 4
                                        ;         Child Loop BB15_51 Depth 4
                                        ;     Child Loop BB15_62 Depth 2
                                        ;     Child Loop BB15_71 Depth 2
	;; [unrolled: 1-line block ×3, first 2 shown]
	s_and_saveexec_b32 s10, s0
	s_cbranch_execz .LBB15_16
; %bb.15:                               ;   in Loop: Header=BB15_14 Depth=1
	ds_store_b32 v19, v30
.LBB15_16:                              ;   in Loop: Header=BB15_14 Depth=1
	s_or_b32 exec_lo, exec_lo, s10
	s_and_saveexec_b32 s10, s1
	s_cbranch_execz .LBB15_19
; %bb.17:                               ;   in Loop: Header=BB15_14 Depth=1
	v_dual_mov_b32 v5, v15 :: v_dual_mov_b32 v6, v0
	s_mov_b32 s11, 0
.LBB15_18:                              ;   Parent Loop BB15_14 Depth=1
                                        ; =>  This Inner Loop Header: Depth=2
	s_delay_alu instid0(VALU_DEP_1) | instskip(NEXT) | instid1(VALU_DEP_1)
	v_add_co_u32 v6, s12, 0x100, v6
	s_xor_b32 s12, s12, -1
	ds_store_b32 v5, v30
	v_add_nc_u32_e32 v5, 0x400, v5
	s_and_b32 s12, exec_lo, s12
	s_delay_alu instid0(SALU_CYCLE_1) | instskip(NEXT) | instid1(SALU_CYCLE_1)
	s_or_b32 s11, s12, s11
	s_and_not1_b32 exec_lo, exec_lo, s11
	s_cbranch_execnz .LBB15_18
.LBB15_19:                              ;   in Loop: Header=BB15_14 Depth=1
	s_or_b32 exec_lo, exec_lo, s10
	s_and_saveexec_b32 s10, s2
	s_cbranch_execz .LBB15_21
; %bb.20:                               ;   in Loop: Header=BB15_14 Depth=1
	v_mov_b32_e32 v5, s37
	ds_store_b32 v30, v5 offset:3200
.LBB15_21:                              ;   in Loop: Header=BB15_14 Depth=1
	s_or_b32 exec_lo, exec_lo, s10
	v_mov_b32_e32 v34, s37
	s_and_not1_b32 vcc_lo, exec_lo, s13
	s_waitcnt lgkmcnt(0)
	s_barrier
	buffer_gl0_inv
	s_cbranch_vccnz .LBB15_57
; %bb.22:                               ;   in Loop: Header=BB15_14 Depth=1
	v_cmp_ne_u32_e64 s10, 0, v32
	v_mov_b32_e32 v34, s37
	s_mov_b32 s53, s47
	s_branch .LBB15_24
.LBB15_23:                              ;   in Loop: Header=BB15_24 Depth=2
	s_or_b32 exec_lo, exec_lo, s12
	s_add_i32 s53, s53, 16
	s_delay_alu instid0(SALU_CYCLE_1)
	s_cmp_lt_i32 s53, s46
	s_cbranch_scc0 .LBB15_57
.LBB15_24:                              ;   Parent Loop BB15_14 Depth=1
                                        ; =>  This Loop Header: Depth=2
                                        ;       Child Loop BB15_37 Depth 3
                                        ;         Child Loop BB15_46 Depth 4
                                        ;         Child Loop BB15_51 Depth 4
	v_add_nc_u32_e32 v5, s53, v14
	s_waitcnt_vscnt null, 0x0
	s_barrier
	buffer_gl0_inv
	v_cmp_gt_i32_e64 s11, s46, v5
	s_delay_alu instid0(VALU_DEP_1)
	s_and_saveexec_b32 s12, s11
	s_cbranch_execz .LBB15_28
; %bb.25:                               ;   in Loop: Header=BB15_24 Depth=2
	v_mov_b32_e32 v6, 0
	s_and_saveexec_b32 s54, s9
	s_cbranch_execz .LBB15_27
; %bb.26:                               ;   in Loop: Header=BB15_24 Depth=2
	v_mad_u64_u32 v[6:7], null, v5, s38, v[2:3]
	s_delay_alu instid0(VALU_DEP_1) | instskip(NEXT) | instid1(VALU_DEP_1)
	v_mad_u64_u32 v[7:8], null, v6, s38, v[1:2]
	v_ashrrev_i32_e32 v8, 31, v7
	s_delay_alu instid0(VALU_DEP_1) | instskip(NEXT) | instid1(VALU_DEP_1)
	v_lshlrev_b64 v[6:7], 2, v[7:8]
	v_add_co_u32 v6, vcc_lo, s22, v6
	s_delay_alu instid0(VALU_DEP_2)
	v_add_co_ci_u32_e32 v7, vcc_lo, s23, v7, vcc_lo
	global_load_b32 v6, v[6:7], off
.LBB15_27:                              ;   in Loop: Header=BB15_24 Depth=2
	s_or_b32 exec_lo, exec_lo, s54
	s_waitcnt vmcnt(0)
	ds_store_b32 v17, v6
.LBB15_28:                              ;   in Loop: Header=BB15_24 Depth=2
	s_or_b32 exec_lo, exec_lo, s12
	v_mov_b32_e32 v7, 0
	s_waitcnt lgkmcnt(0)
	s_barrier
	buffer_gl0_inv
	s_and_saveexec_b32 s54, s11
	s_cbranch_execz .LBB15_54
; %bb.29:                               ;   in Loop: Header=BB15_24 Depth=2
	v_ashrrev_i32_e32 v6, 31, v5
	s_delay_alu instid0(VALU_DEP_1) | instskip(NEXT) | instid1(VALU_DEP_1)
	v_lshlrev_b64 v[6:7], 2, v[5:6]
	v_add_co_u32 v8, vcc_lo, s20, v6
	s_delay_alu instid0(VALU_DEP_2) | instskip(SKIP_4) | instid1(VALU_DEP_1)
	v_add_co_ci_u32_e32 v9, vcc_lo, s21, v7, vcc_lo
	s_and_b32 vcc_lo, exec_lo, s10
	global_load_b32 v8, v[8:9], off
	s_waitcnt vmcnt(0)
	v_subrev_nc_u32_e32 v8, s28, v8
	v_ashrrev_i32_e32 v9, 31, v8
	s_cbranch_vccz .LBB15_56
; %bb.30:                               ;   in Loop: Header=BB15_24 Depth=2
	v_add_co_u32 v6, vcc_lo, s34, v6
	v_add_co_ci_u32_e32 v7, vcc_lo, s35, v7, vcc_lo
	global_load_b32 v7, v[6:7], off
	s_cbranch_execnz .LBB15_32
.LBB15_31:                              ;   in Loop: Header=BB15_24 Depth=2
	s_waitcnt vmcnt(0)
	s_delay_alu instid0(VALU_DEP_1) | instskip(NEXT) | instid1(VALU_DEP_1)
	v_lshlrev_b64 v[6:7], 2, v[8:9]
	v_add_co_u32 v6, vcc_lo, s24, v6
	s_delay_alu instid0(VALU_DEP_2)
	v_add_co_ci_u32_e32 v7, vcc_lo, s25, v7, vcc_lo
	global_load_b32 v6, v[6:7], off
	s_waitcnt vmcnt(0)
	v_subrev_nc_u32_e32 v7, s29, v6
.LBB15_32:                              ;   in Loop: Header=BB15_24 Depth=2
	v_lshlrev_b64 v[8:9], 2, v[8:9]
	s_mov_b32 s55, exec_lo
	s_delay_alu instid0(VALU_DEP_1) | instskip(NEXT) | instid1(VALU_DEP_2)
	v_add_co_u32 v8, vcc_lo, s49, v8
	v_add_co_ci_u32_e32 v9, vcc_lo, s51, v9, vcc_lo
	global_load_b32 v6, v[8:9], off
	s_waitcnt vmcnt(0)
	v_subrev_nc_u32_e32 v6, s29, v6
	s_delay_alu instid0(VALU_DEP_1)
	v_cmpx_lt_i32_e64 v7, v6
	s_cbranch_execz .LBB15_53
; %bb.33:                               ;   in Loop: Header=BB15_24 Depth=2
	v_mad_u64_u32 v[8:9], null, s38, v7, v[1:2]
	v_mad_u64_u32 v[9:10], null, s50, v7, v[1:2]
	v_mov_b32_e32 v36, v7
	s_mov_b32 s56, 0
	s_delay_alu instid0(VALU_DEP_3)
	v_mul_lo_u32 v35, s38, v8
	s_branch .LBB15_37
.LBB15_34:                              ;   in Loop: Header=BB15_37 Depth=3
	v_lshlrev_b32_e32 v8, 4, v8
	s_delay_alu instid0(VALU_DEP_2) | instskip(NEXT) | instid1(VALU_DEP_2)
	v_mul_f32_e32 v10, v12, v37
	v_or3_b32 v8, v8, v16, v1
	s_delay_alu instid0(VALU_DEP_1)
	v_lshlrev_b32_e32 v8, 2, v8
	ds_add_f32 v8, v10
.LBB15_35:                              ;   in Loop: Header=BB15_37 Depth=3
	s_or_b32 exec_lo, exec_lo, s59
	s_delay_alu instid0(SALU_CYCLE_1)
	s_or_b32 s57, s57, exec_lo
.LBB15_36:                              ;   in Loop: Header=BB15_37 Depth=3
	s_or_b32 exec_lo, exec_lo, s58
	v_add_nc_u32_e32 v7, 1, v7
	s_xor_b32 s12, s57, -1
	v_add_nc_u32_e32 v35, s50, v35
	v_add_nc_u32_e32 v9, s50, v9
	s_delay_alu instid0(VALU_DEP_3) | instskip(SKIP_1) | instid1(SALU_CYCLE_1)
	v_cmp_ge_i32_e32 vcc_lo, v7, v6
	s_or_b32 s12, s12, vcc_lo
	s_and_b32 s12, exec_lo, s12
	s_delay_alu instid0(SALU_CYCLE_1) | instskip(NEXT) | instid1(SALU_CYCLE_1)
	s_or_b32 s56, s12, s56
	s_and_not1_b32 exec_lo, exec_lo, s56
	s_cbranch_execz .LBB15_52
.LBB15_37:                              ;   Parent Loop BB15_14 Depth=1
                                        ;     Parent Loop BB15_24 Depth=2
                                        ; =>    This Loop Header: Depth=3
                                        ;         Child Loop BB15_46 Depth 4
                                        ;         Child Loop BB15_51 Depth 4
	v_ashrrev_i32_e32 v8, 31, v7
                                        ; implicit-def: $sgpr57
	s_delay_alu instid0(VALU_DEP_1) | instskip(NEXT) | instid1(VALU_DEP_1)
	v_lshlrev_b64 v[10:11], 2, v[7:8]
	v_add_co_u32 v10, vcc_lo, s26, v10
	s_delay_alu instid0(VALU_DEP_2) | instskip(SKIP_3) | instid1(VALU_DEP_1)
	v_add_co_ci_u32_e32 v11, vcc_lo, s27, v11, vcc_lo
	global_load_b32 v8, v[10:11], off
	s_waitcnt vmcnt(0)
	v_subrev_nc_u32_e32 v8, s29, v8
	v_cmp_lt_i32_e64 s12, v8, v32
	v_cmp_ge_i32_e32 vcc_lo, v8, v33
	s_delay_alu instid0(VALU_DEP_2) | instskip(NEXT) | instid1(SALU_CYCLE_1)
	s_or_b32 s12, s12, vcc_lo
	s_and_saveexec_b32 s58, s12
	s_delay_alu instid0(SALU_CYCLE_1)
	s_xor_b32 s12, exec_lo, s58
	s_cbranch_execz .LBB15_41
; %bb.38:                               ;   in Loop: Header=BB15_37 Depth=3
	s_mov_b32 s57, -1
	s_and_saveexec_b32 s58, vcc_lo
; %bb.39:                               ;   in Loop: Header=BB15_37 Depth=3
	v_min_i32_e32 v34, v8, v34
	v_mov_b32_e32 v36, v7
	s_xor_b32 s57, exec_lo, -1
; %bb.40:                               ;   in Loop: Header=BB15_37 Depth=3
	s_or_b32 exec_lo, exec_lo, s58
	s_delay_alu instid0(SALU_CYCLE_1)
	s_and_b32 s57, s57, exec_lo
                                        ; implicit-def: $vgpr8
.LBB15_41:                              ;   in Loop: Header=BB15_37 Depth=3
	s_and_not1_saveexec_b32 s58, s12
	s_cbranch_execz .LBB15_36
; %bb.42:                               ;   in Loop: Header=BB15_37 Depth=3
	v_sub_nc_u32_e32 v8, v8, v32
	s_delay_alu instid0(VALU_DEP_1)
	v_lshlrev_b32_e32 v10, 2, v8
	ds_store_b32 v10, v31 offset:3072
	s_and_saveexec_b32 s59, s9
	s_cbranch_execz .LBB15_35
; %bb.43:                               ;   in Loop: Header=BB15_37 Depth=3
	v_cndmask_b32_e64 v10, 0, 1, s48
	s_and_not1_b32 vcc_lo, exec_lo, s36
	s_delay_alu instid0(VALU_DEP_1)
	v_cmp_ne_u32_e64 s12, 1, v10
	s_cbranch_vccnz .LBB15_48
; %bb.44:                               ;   in Loop: Header=BB15_37 Depth=3
	v_mov_b32_e32 v37, 0
	s_delay_alu instid0(VALU_DEP_2)
	s_and_b32 vcc_lo, exec_lo, s12
	s_cbranch_vccnz .LBB15_47
; %bb.45:                               ;   in Loop: Header=BB15_37 Depth=3
	v_mov_b32_e32 v10, v35
	v_mov_b32_e32 v38, v26
	s_mov_b32 s12, s38
.LBB15_46:                              ;   Parent Loop BB15_14 Depth=1
                                        ;     Parent Loop BB15_24 Depth=2
                                        ;       Parent Loop BB15_37 Depth=3
                                        ; =>      This Inner Loop Header: Depth=4
	s_delay_alu instid0(VALU_DEP_2) | instskip(SKIP_1) | instid1(SALU_CYCLE_1)
	v_ashrrev_i32_e32 v11, 31, v10
	s_add_i32 s12, s12, -1
	s_cmp_lg_u32 s12, 0
	s_delay_alu instid0(VALU_DEP_1) | instskip(SKIP_1) | instid1(VALU_DEP_2)
	v_lshlrev_b64 v[39:40], 2, v[10:11]
	v_add_nc_u32_e32 v10, 1, v10
	v_add_co_u32 v39, vcc_lo, s44, v39
	s_delay_alu instid0(VALU_DEP_3)
	v_add_co_ci_u32_e32 v40, vcc_lo, s45, v40, vcc_lo
	global_load_b32 v11, v[39:40], off
	ds_load_b32 v39, v38
	s_waitcnt vmcnt(0) lgkmcnt(0)
	v_dual_fmac_f32 v37, v39, v11 :: v_dual_add_nc_u32 v38, 16, v38
	s_cbranch_scc1 .LBB15_46
.LBB15_47:                              ;   in Loop: Header=BB15_37 Depth=3
	s_cbranch_execnz .LBB15_34
	s_branch .LBB15_49
.LBB15_48:                              ;   in Loop: Header=BB15_37 Depth=3
                                        ; implicit-def: $vgpr37
.LBB15_49:                              ;   in Loop: Header=BB15_37 Depth=3
	v_mov_b32_e32 v37, 0
	s_and_not1_b32 vcc_lo, exec_lo, s48
	s_cbranch_vccnz .LBB15_34
; %bb.50:                               ;   in Loop: Header=BB15_37 Depth=3
	v_mov_b32_e32 v38, v27
	v_mov_b32_e32 v10, v9
	s_mov_b32 s12, s38
	.p2align	6
.LBB15_51:                              ;   Parent Loop BB15_14 Depth=1
                                        ;     Parent Loop BB15_24 Depth=2
                                        ;       Parent Loop BB15_37 Depth=3
                                        ; =>      This Inner Loop Header: Depth=4
	s_delay_alu instid0(VALU_DEP_1) | instskip(SKIP_1) | instid1(SALU_CYCLE_1)
	v_ashrrev_i32_e32 v11, 31, v10
	s_add_i32 s12, s12, -1
	s_cmp_eq_u32 s12, 0
	s_delay_alu instid0(VALU_DEP_1) | instskip(SKIP_1) | instid1(VALU_DEP_2)
	v_lshlrev_b64 v[39:40], 2, v[10:11]
	v_add_nc_u32_e32 v10, s38, v10
	v_add_co_u32 v39, vcc_lo, s44, v39
	s_delay_alu instid0(VALU_DEP_3)
	v_add_co_ci_u32_e32 v40, vcc_lo, s45, v40, vcc_lo
	global_load_b32 v11, v[39:40], off
	ds_load_b32 v39, v38
	s_waitcnt vmcnt(0) lgkmcnt(0)
	v_dual_fmac_f32 v37, v39, v11 :: v_dual_add_nc_u32 v38, 4, v38
	s_cbranch_scc0 .LBB15_51
	s_branch .LBB15_34
.LBB15_52:                              ;   in Loop: Header=BB15_24 Depth=2
	s_or_b32 exec_lo, exec_lo, s56
	v_mov_b32_e32 v7, v36
.LBB15_53:                              ;   in Loop: Header=BB15_24 Depth=2
	s_or_b32 exec_lo, exec_lo, s55
.LBB15_54:                              ;   in Loop: Header=BB15_24 Depth=2
	s_delay_alu instid0(SALU_CYCLE_1)
	s_or_b32 exec_lo, exec_lo, s54
	s_waitcnt lgkmcnt(0)
	s_barrier
	buffer_gl0_inv
	s_and_saveexec_b32 s12, s11
	s_cbranch_execz .LBB15_23
; %bb.55:                               ;   in Loop: Header=BB15_24 Depth=2
	v_ashrrev_i32_e32 v6, 31, v5
	s_delay_alu instid0(VALU_DEP_1) | instskip(NEXT) | instid1(VALU_DEP_1)
	v_lshlrev_b64 v[5:6], 2, v[5:6]
	v_add_co_u32 v5, vcc_lo, s34, v5
	s_delay_alu instid0(VALU_DEP_2)
	v_add_co_ci_u32_e32 v6, vcc_lo, s35, v6, vcc_lo
	global_store_b32 v[5:6], v7, off
	s_branch .LBB15_23
.LBB15_56:                              ;   in Loop: Header=BB15_24 Depth=2
                                        ; implicit-def: $vgpr7
	s_branch .LBB15_31
.LBB15_57:                              ;   in Loop: Header=BB15_14 Depth=1
	s_and_not1_b32 vcc_lo, exec_lo, s33
	s_cbranch_vccnz .LBB15_69
; %bb.58:                               ;   in Loop: Header=BB15_14 Depth=1
	s_load_b64 s[10:11], s[18:19], 0x0
	s_mov_b32 s12, exec_lo
	s_waitcnt lgkmcnt(0)
	v_add_nc_u32_e32 v5, s10, v18
	s_sub_i32 s53, s11, s31
	s_delay_alu instid0(VALU_DEP_1) | instid1(SALU_CYCLE_1)
	v_cmpx_gt_i32_e64 s53, v5
	s_cbranch_execz .LBB15_68
; %bb.59:                               ;   in Loop: Header=BB15_14 Depth=1
	v_mad_u64_u32 v[6:7], null, s38, v5, v[3:4]
	s_mov_b32 s54, 0
	s_delay_alu instid0(VALU_DEP_1)
	v_mad_u64_u32 v[7:8], null, s38, v6, v[4:5]
	s_branch .LBB15_62
.LBB15_60:                              ;   in Loop: Header=BB15_62 Depth=2
	s_or_b32 exec_lo, exec_lo, s55
	s_delay_alu instid0(SALU_CYCLE_1)
	s_or_b32 s10, s10, exec_lo
.LBB15_61:                              ;   in Loop: Header=BB15_62 Depth=2
	s_or_b32 exec_lo, exec_lo, s11
	v_add_nc_u32_e32 v5, 16, v5
	s_xor_b32 s10, s10, -1
	v_add_nc_u32_e32 v7, s52, v7
	s_delay_alu instid0(VALU_DEP_2) | instskip(SKIP_1) | instid1(SALU_CYCLE_1)
	v_cmp_le_i32_e32 vcc_lo, s53, v5
	s_or_b32 s10, vcc_lo, s10
	s_and_b32 s10, exec_lo, s10
	s_delay_alu instid0(SALU_CYCLE_1) | instskip(NEXT) | instid1(SALU_CYCLE_1)
	s_or_b32 s54, s10, s54
	s_and_not1_b32 exec_lo, exec_lo, s54
	s_cbranch_execz .LBB15_67
.LBB15_62:                              ;   Parent Loop BB15_14 Depth=1
                                        ; =>  This Inner Loop Header: Depth=2
	v_ashrrev_i32_e32 v6, 31, v5
	s_delay_alu instid0(VALU_DEP_1) | instskip(NEXT) | instid1(VALU_DEP_1)
	v_lshlrev_b64 v[8:9], 2, v[5:6]
	v_add_co_u32 v8, vcc_lo, s14, v8
	s_delay_alu instid0(VALU_DEP_2) | instskip(SKIP_3) | instid1(VALU_DEP_1)
	v_add_co_ci_u32_e32 v9, vcc_lo, s15, v9, vcc_lo
	global_load_b32 v6, v[8:9], off
	s_waitcnt vmcnt(0)
	v_subrev_nc_u32_e32 v6, s31, v6
	v_cmp_lt_i32_e64 s10, v6, v32
	v_cmp_ge_i32_e64 s11, v6, v33
	v_cmp_lt_i32_e32 vcc_lo, v6, v33
	s_delay_alu instid0(VALU_DEP_2) | instskip(NEXT) | instid1(SALU_CYCLE_1)
	s_or_b32 s11, s10, s11
                                        ; implicit-def: $sgpr10
	s_and_saveexec_b32 s55, s11
	s_delay_alu instid0(SALU_CYCLE_1)
	s_xor_b32 s11, exec_lo, s55
; %bb.63:                               ;   in Loop: Header=BB15_62 Depth=2
	v_min_i32_e32 v6, v6, v34
	s_and_b32 s10, vcc_lo, exec_lo
	s_delay_alu instid0(VALU_DEP_1)
	v_cndmask_b32_e32 v34, v6, v34, vcc_lo
                                        ; implicit-def: $vgpr6
; %bb.64:                               ;   in Loop: Header=BB15_62 Depth=2
	s_and_not1_saveexec_b32 s11, s11
	s_cbranch_execz .LBB15_61
; %bb.65:                               ;   in Loop: Header=BB15_62 Depth=2
	v_sub_nc_u32_e32 v6, v6, v32
	s_delay_alu instid0(VALU_DEP_1)
	v_lshlrev_b32_e32 v8, 2, v6
	ds_store_b32 v8, v31 offset:3072
	s_and_saveexec_b32 s55, s9
	s_cbranch_execz .LBB15_60
; %bb.66:                               ;   in Loop: Header=BB15_62 Depth=2
	v_ashrrev_i32_e32 v8, 31, v7
	v_lshlrev_b32_e32 v6, 4, v6
	s_delay_alu instid0(VALU_DEP_2) | instskip(NEXT) | instid1(VALU_DEP_2)
	v_lshlrev_b64 v[8:9], 2, v[7:8]
	v_or3_b32 v6, v6, v16, v1
	s_delay_alu instid0(VALU_DEP_1) | instskip(NEXT) | instid1(VALU_DEP_3)
	v_lshlrev_b32_e32 v6, 2, v6
	v_add_co_u32 v8, vcc_lo, s16, v8
	s_delay_alu instid0(VALU_DEP_4)
	v_add_co_ci_u32_e32 v9, vcc_lo, s17, v9, vcc_lo
	global_load_b32 v8, v[8:9], off
	s_waitcnt vmcnt(0)
	v_mul_f32_e32 v8, v13, v8
	ds_add_f32 v6, v8
	s_branch .LBB15_60
.LBB15_67:                              ;   in Loop: Header=BB15_14 Depth=1
	s_or_b32 exec_lo, exec_lo, s54
.LBB15_68:                              ;   in Loop: Header=BB15_14 Depth=1
	s_delay_alu instid0(SALU_CYCLE_1)
	s_or_b32 exec_lo, exec_lo, s12
.LBB15_69:                              ;   in Loop: Header=BB15_14 Depth=1
	s_and_saveexec_b32 s10, s3
	s_cbranch_execz .LBB15_74
; %bb.70:                               ;   in Loop: Header=BB15_14 Depth=1
	s_mov_b32 s12, exec_lo
	s_brev_b32 s11, -2
.LBB15_71:                              ;   Parent Loop BB15_14 Depth=1
                                        ; =>  This Inner Loop Header: Depth=2
	s_ctz_i32_b32 s53, s12
	s_delay_alu instid0(SALU_CYCLE_1) | instskip(SKIP_1) | instid1(SALU_CYCLE_1)
	v_readlane_b32 s54, v34, s53
	s_lshl_b32 s53, 1, s53
	s_and_not1_b32 s12, s12, s53
	s_delay_alu instid0(VALU_DEP_1)
	s_min_i32 s11, s11, s54
	s_cmp_lg_u32 s12, 0
	s_cbranch_scc1 .LBB15_71
; %bb.72:                               ;   in Loop: Header=BB15_14 Depth=1
	v_mbcnt_lo_u32_b32 v5, exec_lo, 0
	s_mov_b32 s12, exec_lo
	s_delay_alu instid0(VALU_DEP_1)
	v_cmpx_eq_u32_e32 0, v5
	s_xor_b32 s12, exec_lo, s12
	s_cbranch_execz .LBB15_74
; %bb.73:                               ;   in Loop: Header=BB15_14 Depth=1
	v_mov_b32_e32 v5, s11
	ds_min_i32 v30, v5 offset:3200
.LBB15_74:                              ;   in Loop: Header=BB15_14 Depth=1
	s_or_b32 exec_lo, exec_lo, s10
	s_waitcnt lgkmcnt(0)
	s_waitcnt_vscnt null, 0x0
	s_barrier
	buffer_gl0_inv
	ds_load_b32 v5, v20
	s_waitcnt lgkmcnt(0)
	s_barrier
	buffer_gl0_inv
	s_and_saveexec_b32 s10, s4
	s_cbranch_execz .LBB15_76
; %bb.75:                               ;   in Loop: Header=BB15_14 Depth=1
	ds_load_b32 v6, v21
	s_waitcnt lgkmcnt(0)
	v_add_nc_u32_e32 v5, v6, v5
.LBB15_76:                              ;   in Loop: Header=BB15_14 Depth=1
	s_or_b32 exec_lo, exec_lo, s10
	s_barrier
	buffer_gl0_inv
	ds_store_b32 v20, v5
	s_waitcnt lgkmcnt(0)
	s_barrier
	buffer_gl0_inv
	s_and_saveexec_b32 s10, s5
	s_cbranch_execz .LBB15_78
; %bb.77:                               ;   in Loop: Header=BB15_14 Depth=1
	ds_load_b32 v6, v22
	s_waitcnt lgkmcnt(0)
	v_add_nc_u32_e32 v5, v6, v5
.LBB15_78:                              ;   in Loop: Header=BB15_14 Depth=1
	s_or_b32 exec_lo, exec_lo, s10
	s_barrier
	buffer_gl0_inv
	ds_store_b32 v20, v5
	;; [unrolled: 14-line block ×5, first 2 shown]
	s_waitcnt lgkmcnt(0)
	s_barrier
	buffer_gl0_inv
	ds_load_b32 v7, v30 offset:3196
	v_mov_b32_e32 v6, 0
	s_and_saveexec_b32 s10, s39
	s_cbranch_execz .LBB15_86
; %bb.85:                               ;   in Loop: Header=BB15_14 Depth=1
	ds_load_b32 v6, v21
.LBB15_86:                              ;   in Loop: Header=BB15_14 Depth=1
	s_or_b32 exec_lo, exec_lo, s10
	s_waitcnt lgkmcnt(0)
	v_cmp_eq_u32_e32 vcc_lo, v5, v6
	s_barrier
	buffer_gl0_inv
	s_and_b32 s11, s39, vcc_lo
	s_delay_alu instid0(SALU_CYCLE_1)
	s_and_saveexec_b32 s10, s11
	s_cbranch_execz .LBB15_88
; %bb.87:                               ;   in Loop: Header=BB15_14 Depth=1
	ds_store_b32 v20, v30
.LBB15_88:                              ;   in Loop: Header=BB15_14 Depth=1
	s_or_b32 exec_lo, exec_lo, s10
	s_waitcnt lgkmcnt(0)
	s_barrier
	buffer_gl0_inv
	s_and_saveexec_b32 s10, s1
	s_cbranch_execz .LBB15_13
; %bb.89:                               ;   in Loop: Header=BB15_14 Depth=1
	v_dual_mov_b32 v11, v15 :: v_dual_add_nc_u32 v8, -1, v29
	v_dual_mov_b32 v10, v28 :: v_dual_add_nc_u32 v9, s30, v32
	v_mov_b32_e32 v32, v14
	s_mov_b32 s11, 0
	s_set_inst_prefetch_distance 0x1
	s_branch .LBB15_91
	.p2align	6
.LBB15_90:                              ;   in Loop: Header=BB15_91 Depth=2
	s_or_b32 exec_lo, exec_lo, s12
	v_add_nc_u32_e32 v5, 16, v32
	v_cmp_lt_u32_e32 vcc_lo, 15, v32
	v_add_nc_u32_e32 v11, 0x400, v11
	v_add_nc_u32_e32 v10, 64, v10
	s_delay_alu instid0(VALU_DEP_4) | instskip(SKIP_1) | instid1(SALU_CYCLE_1)
	v_mov_b32_e32 v32, v5
	s_or_b32 s11, vcc_lo, s11
	s_and_not1_b32 exec_lo, exec_lo, s11
	s_cbranch_execz .LBB15_13
.LBB15_91:                              ;   Parent Loop BB15_14 Depth=1
                                        ; =>  This Inner Loop Header: Depth=2
	ds_load_b32 v5, v10
	s_mov_b32 s12, exec_lo
	s_waitcnt lgkmcnt(0)
	v_cmpx_ne_u32_e32 0, v5
	s_cbranch_execz .LBB15_90
; %bb.92:                               ;   in Loop: Header=BB15_91 Depth=2
	v_add_nc_u32_e32 v5, v8, v5
	s_delay_alu instid0(VALU_DEP_1) | instskip(NEXT) | instid1(VALU_DEP_1)
	v_ashrrev_i32_e32 v6, 31, v5
	v_lshlrev_b64 v[33:34], 2, v[5:6]
	v_add_nc_u32_e32 v6, v9, v32
	s_delay_alu instid0(VALU_DEP_2) | instskip(NEXT) | instid1(VALU_DEP_3)
	v_add_co_u32 v33, vcc_lo, s40, v33
	v_add_co_ci_u32_e32 v34, vcc_lo, s41, v34, vcc_lo
	global_store_b32 v[33:34], v6, off
	s_and_b32 exec_lo, exec_lo, s9
	s_cbranch_execz .LBB15_90
; %bb.93:                               ;   in Loop: Header=BB15_91 Depth=2
	v_mad_u64_u32 v[33:34], null, v5, s38, v[3:4]
	s_delay_alu instid0(VALU_DEP_1) | instskip(SKIP_2) | instid1(VALU_DEP_1)
	v_mad_u64_u32 v[5:6], null, v33, s38, v[4:5]
	ds_load_b32 v33, v11
	v_ashrrev_i32_e32 v6, 31, v5
	v_lshlrev_b64 v[5:6], 2, v[5:6]
	s_delay_alu instid0(VALU_DEP_1) | instskip(NEXT) | instid1(VALU_DEP_2)
	v_add_co_u32 v5, vcc_lo, s42, v5
	v_add_co_ci_u32_e32 v6, vcc_lo, s43, v6, vcc_lo
	s_waitcnt lgkmcnt(0)
	global_store_b32 v[5:6], v33, off
	s_branch .LBB15_90
.LBB15_94:
	s_endpgm
	.section	.rodata,"a",@progbits
	.p2align	6, 0x0
	.amdhsa_kernel _ZN9rocsparseL38bsrgemm_block_per_row_atomic_multipassILj256ELj32ELj4EiifEEv20rocsparse_direction_T3_S2_PKS2_S4_NS_24const_host_device_scalarIT4_EEPKT2_S4_PKS6_SA_S4_SC_S7_SA_S4_SC_SA_PS2_PS6_PS8_21rocsparse_index_base_SG_SG_SG_bbb
		.amdhsa_group_segment_fixed_size 3204
		.amdhsa_private_segment_fixed_size 0
		.amdhsa_kernarg_size 172
		.amdhsa_user_sgpr_count 15
		.amdhsa_user_sgpr_dispatch_ptr 0
		.amdhsa_user_sgpr_queue_ptr 0
		.amdhsa_user_sgpr_kernarg_segment_ptr 1
		.amdhsa_user_sgpr_dispatch_id 0
		.amdhsa_user_sgpr_private_segment_size 0
		.amdhsa_wavefront_size32 1
		.amdhsa_uses_dynamic_stack 0
		.amdhsa_enable_private_segment 0
		.amdhsa_system_sgpr_workgroup_id_x 1
		.amdhsa_system_sgpr_workgroup_id_y 0
		.amdhsa_system_sgpr_workgroup_id_z 0
		.amdhsa_system_sgpr_workgroup_info 0
		.amdhsa_system_vgpr_workitem_id 0
		.amdhsa_next_free_vgpr 41
		.amdhsa_next_free_sgpr 60
		.amdhsa_reserve_vcc 1
		.amdhsa_float_round_mode_32 0
		.amdhsa_float_round_mode_16_64 0
		.amdhsa_float_denorm_mode_32 3
		.amdhsa_float_denorm_mode_16_64 3
		.amdhsa_dx10_clamp 1
		.amdhsa_ieee_mode 1
		.amdhsa_fp16_overflow 0
		.amdhsa_workgroup_processor_mode 1
		.amdhsa_memory_ordered 1
		.amdhsa_forward_progress 0
		.amdhsa_shared_vgpr_count 0
		.amdhsa_exception_fp_ieee_invalid_op 0
		.amdhsa_exception_fp_denorm_src 0
		.amdhsa_exception_fp_ieee_div_zero 0
		.amdhsa_exception_fp_ieee_overflow 0
		.amdhsa_exception_fp_ieee_underflow 0
		.amdhsa_exception_fp_ieee_inexact 0
		.amdhsa_exception_int_div_zero 0
	.end_amdhsa_kernel
	.section	.text._ZN9rocsparseL38bsrgemm_block_per_row_atomic_multipassILj256ELj32ELj4EiifEEv20rocsparse_direction_T3_S2_PKS2_S4_NS_24const_host_device_scalarIT4_EEPKT2_S4_PKS6_SA_S4_SC_S7_SA_S4_SC_SA_PS2_PS6_PS8_21rocsparse_index_base_SG_SG_SG_bbb,"axG",@progbits,_ZN9rocsparseL38bsrgemm_block_per_row_atomic_multipassILj256ELj32ELj4EiifEEv20rocsparse_direction_T3_S2_PKS2_S4_NS_24const_host_device_scalarIT4_EEPKT2_S4_PKS6_SA_S4_SC_S7_SA_S4_SC_SA_PS2_PS6_PS8_21rocsparse_index_base_SG_SG_SG_bbb,comdat
.Lfunc_end15:
	.size	_ZN9rocsparseL38bsrgemm_block_per_row_atomic_multipassILj256ELj32ELj4EiifEEv20rocsparse_direction_T3_S2_PKS2_S4_NS_24const_host_device_scalarIT4_EEPKT2_S4_PKS6_SA_S4_SC_S7_SA_S4_SC_SA_PS2_PS6_PS8_21rocsparse_index_base_SG_SG_SG_bbb, .Lfunc_end15-_ZN9rocsparseL38bsrgemm_block_per_row_atomic_multipassILj256ELj32ELj4EiifEEv20rocsparse_direction_T3_S2_PKS2_S4_NS_24const_host_device_scalarIT4_EEPKT2_S4_PKS6_SA_S4_SC_S7_SA_S4_SC_SA_PS2_PS6_PS8_21rocsparse_index_base_SG_SG_SG_bbb
                                        ; -- End function
	.section	.AMDGPU.csdata,"",@progbits
; Kernel info:
; codeLenInByte = 3268
; NumSgprs: 62
; NumVgprs: 41
; ScratchSize: 0
; MemoryBound: 0
; FloatMode: 240
; IeeeMode: 1
; LDSByteSize: 3204 bytes/workgroup (compile time only)
; SGPRBlocks: 7
; VGPRBlocks: 5
; NumSGPRsForWavesPerEU: 62
; NumVGPRsForWavesPerEU: 41
; Occupancy: 16
; WaveLimiterHint : 1
; COMPUTE_PGM_RSRC2:SCRATCH_EN: 0
; COMPUTE_PGM_RSRC2:USER_SGPR: 15
; COMPUTE_PGM_RSRC2:TRAP_HANDLER: 0
; COMPUTE_PGM_RSRC2:TGID_X_EN: 1
; COMPUTE_PGM_RSRC2:TGID_Y_EN: 0
; COMPUTE_PGM_RSRC2:TGID_Z_EN: 0
; COMPUTE_PGM_RSRC2:TIDIG_COMP_CNT: 0
	.section	.text._ZN9rocsparseL38bsrgemm_block_per_row_atomic_multipassILj256ELj64ELj4EiifEEv20rocsparse_direction_T3_S2_PKS2_S4_NS_24const_host_device_scalarIT4_EEPKT2_S4_PKS6_SA_S4_SC_S7_SA_S4_SC_SA_PS2_PS6_PS8_21rocsparse_index_base_SG_SG_SG_bbb,"axG",@progbits,_ZN9rocsparseL38bsrgemm_block_per_row_atomic_multipassILj256ELj64ELj4EiifEEv20rocsparse_direction_T3_S2_PKS2_S4_NS_24const_host_device_scalarIT4_EEPKT2_S4_PKS6_SA_S4_SC_S7_SA_S4_SC_SA_PS2_PS6_PS8_21rocsparse_index_base_SG_SG_SG_bbb,comdat
	.globl	_ZN9rocsparseL38bsrgemm_block_per_row_atomic_multipassILj256ELj64ELj4EiifEEv20rocsparse_direction_T3_S2_PKS2_S4_NS_24const_host_device_scalarIT4_EEPKT2_S4_PKS6_SA_S4_SC_S7_SA_S4_SC_SA_PS2_PS6_PS8_21rocsparse_index_base_SG_SG_SG_bbb ; -- Begin function _ZN9rocsparseL38bsrgemm_block_per_row_atomic_multipassILj256ELj64ELj4EiifEEv20rocsparse_direction_T3_S2_PKS2_S4_NS_24const_host_device_scalarIT4_EEPKT2_S4_PKS6_SA_S4_SC_S7_SA_S4_SC_SA_PS2_PS6_PS8_21rocsparse_index_base_SG_SG_SG_bbb
	.p2align	8
	.type	_ZN9rocsparseL38bsrgemm_block_per_row_atomic_multipassILj256ELj64ELj4EiifEEv20rocsparse_direction_T3_S2_PKS2_S4_NS_24const_host_device_scalarIT4_EEPKT2_S4_PKS6_SA_S4_SC_S7_SA_S4_SC_SA_PS2_PS6_PS8_21rocsparse_index_base_SG_SG_SG_bbb,@function
_ZN9rocsparseL38bsrgemm_block_per_row_atomic_multipassILj256ELj64ELj4EiifEEv20rocsparse_direction_T3_S2_PKS2_S4_NS_24const_host_device_scalarIT4_EEPKT2_S4_PKS6_SA_S4_SC_S7_SA_S4_SC_SA_PS2_PS6_PS8_21rocsparse_index_base_SG_SG_SG_bbb: ; @_ZN9rocsparseL38bsrgemm_block_per_row_atomic_multipassILj256ELj64ELj4EiifEEv20rocsparse_direction_T3_S2_PKS2_S4_NS_24const_host_device_scalarIT4_EEPKT2_S4_PKS6_SA_S4_SC_S7_SA_S4_SC_SA_PS2_PS6_PS8_21rocsparse_index_base_SG_SG_SG_bbb
; %bb.0:
	s_clause 0x3
	s_load_b32 s3, s[0:1], 0xa8
	s_load_b128 s[28:31], s[0:1], 0x98
	s_load_b64 s[6:7], s[0:1], 0x20
	s_load_b64 s[4:5], s[0:1], 0x58
	s_mov_b32 s2, s15
	s_waitcnt lgkmcnt(0)
	s_bitcmp1_b32 s3, 0
	s_cselect_b32 s10, -1, 0
	s_bitcmp1_b32 s3, 16
	s_cselect_b32 s8, -1, 0
	s_xor_b32 s9, s10, -1
	s_delay_alu instid0(SALU_CYCLE_1) | instskip(NEXT) | instid1(SALU_CYCLE_1)
	s_or_b32 s9, s9, s8
	s_and_b32 vcc_lo, exec_lo, s9
	s_cbranch_vccnz .LBB16_2
; %bb.1:
	s_load_b32 s6, s[6:7], 0x0
	s_waitcnt lgkmcnt(0)
	v_mov_b32_e32 v12, s6
	s_branch .LBB16_3
.LBB16_2:
	v_cndmask_b32_e64 v12, 0, s6, s10
.LBB16_3:
	s_load_b64 s[6:7], s[0:1], 0x18
	s_bitcmp1_b32 s3, 8
	s_cselect_b32 s33, -1, 0
	s_delay_alu instid0(SALU_CYCLE_1) | instskip(NEXT) | instid1(SALU_CYCLE_1)
	s_xor_b32 s3, s33, -1
	s_or_b32 s3, s3, s8
	s_delay_alu instid0(SALU_CYCLE_1)
	s_and_b32 vcc_lo, exec_lo, s3
	s_cbranch_vccnz .LBB16_5
; %bb.4:
	s_load_b32 s3, s[4:5], 0x0
	s_waitcnt lgkmcnt(0)
	v_mov_b32_e32 v13, s3
	s_load_b64 s[4:5], s[0:1], 0x28
	s_cmp_eq_u64 s[6:7], 0
	s_cbranch_scc0 .LBB16_6
	s_branch .LBB16_7
.LBB16_5:
	v_cndmask_b32_e64 v13, 0, s4, s33
	s_load_b64 s[4:5], s[0:1], 0x28
	s_waitcnt lgkmcnt(0)
	s_cmp_eq_u64 s[6:7], 0
	s_cbranch_scc1 .LBB16_7
.LBB16_6:
	s_load_b64 s[8:9], s[0:1], 0x10
	s_waitcnt lgkmcnt(0)
	s_load_b32 s3, s[8:9], 0x0
	s_waitcnt lgkmcnt(0)
	s_add_i32 s2, s3, s2
	s_mov_b32 s3, 0
	s_delay_alu instid0(SALU_CYCLE_1) | instskip(NEXT) | instid1(SALU_CYCLE_1)
	s_lshl_b64 s[2:3], s[2:3], 2
	s_add_u32 s2, s6, s2
	s_addc_u32 s3, s7, s3
	s_load_b32 s2, s[2:3], 0x0
.LBB16_7:
	s_mov_b32 s46, 0
	s_and_not1_b32 vcc_lo, exec_lo, s10
	s_mov_b32 s47, 0
	s_cbranch_vccz .LBB16_10
; %bb.8:
	s_and_not1_b32 vcc_lo, exec_lo, s10
	s_cbranch_vccz .LBB16_11
.LBB16_9:
	s_load_b128 s[36:39], s[0:1], 0x0
	s_waitcnt lgkmcnt(0)
	s_cmp_lt_i32 s37, 1
	s_cbranch_scc0 .LBB16_12
	s_branch .LBB16_94
.LBB16_10:
	s_waitcnt lgkmcnt(0)
	s_ashr_i32 s3, s2, 31
	s_delay_alu instid0(SALU_CYCLE_1) | instskip(NEXT) | instid1(SALU_CYCLE_1)
	s_lshl_b64 s[6:7], s[2:3], 2
	s_add_u32 s6, s4, s6
	s_addc_u32 s7, s5, s7
	s_load_b32 s3, s[6:7], 0x0
	s_waitcnt lgkmcnt(0)
	s_sub_i32 s47, s3, s28
	s_and_not1_b32 vcc_lo, exec_lo, s10
	s_cbranch_vccnz .LBB16_9
.LBB16_11:
	s_waitcnt lgkmcnt(0)
	s_ashr_i32 s3, s2, 31
	s_delay_alu instid0(SALU_CYCLE_1) | instskip(NEXT) | instid1(SALU_CYCLE_1)
	s_lshl_b64 s[6:7], s[2:3], 2
	s_add_u32 s4, s4, s6
	s_addc_u32 s5, s5, s7
	s_load_b32 s3, s[4:5], 0x4
	s_waitcnt lgkmcnt(0)
	s_sub_i32 s46, s3, s28
	s_load_b128 s[36:39], s[0:1], 0x0
	s_waitcnt lgkmcnt(0)
	s_cmp_lt_i32 s37, 1
	s_cbranch_scc1 .LBB16_94
.LBB16_12:
	s_clause 0x4
	s_load_b256 s[12:19], s[0:1], 0x60
	s_load_b64 s[34:35], s[0:1], 0x90
	s_load_b128 s[40:43], s[0:1], 0x80
	s_load_b64 s[44:45], s[0:1], 0x50
	s_load_b256 s[20:27], s[0:1], 0x30
	s_ashr_i32 s3, s2, 31
	v_dual_mov_b32 v34, 64 :: v_dual_and_b32 v1, 3, v0
	s_lshl_b64 s[50:51], s[2:3], 2
	v_bfe_u32 v2, v0, 2, 2
	v_lshrrev_b32_e32 v14, 4, v0
	v_dual_mov_b32 v33, 0 :: v_dual_and_b32 v4, 63, v0
	v_cmp_gt_u32_e64 s0, 64, v0
	s_delay_alu instid0(VALU_DEP_4) | instskip(SKIP_1) | instid1(VALU_DEP_4)
	v_max_i32_e32 v5, v1, v2
	v_cmp_eq_u32_e64 s1, 0, v0
	v_add_co_u32 v6, s39, v4, -1
	v_subrev_nc_u32_e32 v18, s31, v14
	s_delay_alu instid0(VALU_DEP_4)
	v_cmp_gt_i32_e64 s9, s38, v5
	s_waitcnt lgkmcnt(0)
	s_add_u32 s2, s18, s50
	s_addc_u32 s3, s19, s51
	v_lshlrev_b32_e32 v5, 6, v14
	s_load_b32 s11, s[2:3], 0x0
	v_cmp_ne_u32_e64 s3, 0, v4
	v_cmp_lt_u32_e64 s4, 1, v4
	v_cmp_lt_u32_e64 s5, 3, v4
	;; [unrolled: 1-line block ×5, first 2 shown]
	v_lshl_add_u32 v21, v6, 2, 0x1400
	v_lshl_or_b32 v29, v14, 2, 0x1400
	v_dual_mov_b32 v32, 1 :: v_dual_mov_b32 v31, 0
	s_waitcnt lgkmcnt(0)
	s_sub_i32 s11, s11, s30
	s_cmp_lt_i32 s47, s46
	v_dual_mov_b32 v30, s11 :: v_dual_lshlrev_b32 v15, 2, v0
	s_cselect_b32 s49, -1, 0
	s_cmp_eq_u32 s36, 0
	s_cselect_b32 vcc_lo, -1, 0
	v_and_b32_e32 v3, 15, v0
	s_cmp_lg_u32 s36, 0
	v_and_b32_e32 v16, 12, v0
	s_cselect_b32 s36, -1, 0
	s_cmp_gt_i32 s38, 0
	v_cmp_eq_u32_e64 s2, 15, v3
	v_lshlrev_b32_e32 v3, 2, v4
	s_cselect_b32 s48, -1, 0
	s_add_u32 s18, s12, s50
	s_addc_u32 s19, s13, s51
	s_and_b32 s13, s10, s49
	s_movk_i32 s10, 0x3f0
	v_or_b32_e32 v17, 0x1000, v15
	v_or_b32_e32 v19, 0x1400, v15
	;; [unrolled: 1-line block ×3, first 2 shown]
	v_add_nc_u32_e32 v22, 0x13f8, v3
	v_add_nc_u32_e32 v23, 0x13f0, v3
	;; [unrolled: 1-line block ×4, first 2 shown]
	v_dual_cndmask_b32 v3, v1, v2 :: v_dual_add_nc_u32 v26, 0x1380, v3
	v_cndmask_b32_e32 v4, v2, v1, vcc_lo
	v_or_b32_e32 v0, 0xffffff00, v0
	v_or3_b32 v27, v5, v16, 0x1000
	v_and_or_b32 v28, v15, s10, 0x1000
	s_mul_i32 s50, s38, s38
	s_add_u32 s49, s24, 4
	s_addc_u32 s51, s25, 0
	s_lshl_b32 s52, s50, 4
	s_branch .LBB16_14
.LBB16_13:                              ;   in Loop: Header=BB16_14 Depth=1
	s_set_inst_prefetch_distance 0x2
	s_or_b32 exec_lo, exec_lo, s10
	s_waitcnt_vscnt null, 0x0
	s_barrier
	buffer_gl0_inv
	ds_load_b32 v33, v31 offset:5376
	v_add_nc_u32_e32 v30, v7, v30
	s_waitcnt lgkmcnt(0)
	s_barrier
	buffer_gl0_inv
	v_cmp_le_i32_e32 vcc_lo, s37, v33
	v_add_nc_u32_e32 v34, 64, v33
	s_cbranch_vccnz .LBB16_94
.LBB16_14:                              ; =>This Loop Header: Depth=1
                                        ;     Child Loop BB16_17 Depth 2
                                        ;     Child Loop BB16_23 Depth 2
                                        ;       Child Loop BB16_36 Depth 3
                                        ;         Child Loop BB16_45 Depth 4
                                        ;         Child Loop BB16_50 Depth 4
                                        ;     Child Loop BB16_61 Depth 2
                                        ;     Child Loop BB16_70 Depth 2
	;; [unrolled: 1-line block ×3, first 2 shown]
	s_and_saveexec_b32 s10, s0
	s_cbranch_execz .LBB16_16
; %bb.15:                               ;   in Loop: Header=BB16_14 Depth=1
	ds_store_b32 v19, v31
.LBB16_16:                              ;   in Loop: Header=BB16_14 Depth=1
	s_or_b32 exec_lo, exec_lo, s10
	v_dual_mov_b32 v5, v15 :: v_dual_mov_b32 v6, v0
	s_mov_b32 s10, 0
.LBB16_17:                              ;   Parent Loop BB16_14 Depth=1
                                        ; =>  This Inner Loop Header: Depth=2
	s_delay_alu instid0(VALU_DEP_1) | instskip(SKIP_4) | instid1(SALU_CYCLE_1)
	v_add_nc_u32_e32 v6, 0x100, v6
	ds_store_b32 v5, v31
	v_add_nc_u32_e32 v5, 0x400, v5
	v_cmp_lt_u32_e32 vcc_lo, 0x2ff, v6
	s_or_b32 s10, vcc_lo, s10
	s_and_not1_b32 exec_lo, exec_lo, s10
	s_cbranch_execnz .LBB16_17
; %bb.18:                               ;   in Loop: Header=BB16_14 Depth=1
	s_or_b32 exec_lo, exec_lo, s10
	s_and_saveexec_b32 s10, s1
	s_cbranch_execz .LBB16_20
; %bb.19:                               ;   in Loop: Header=BB16_14 Depth=1
	v_mov_b32_e32 v5, s37
	ds_store_b32 v31, v5 offset:5376
.LBB16_20:                              ;   in Loop: Header=BB16_14 Depth=1
	s_or_b32 exec_lo, exec_lo, s10
	v_mov_b32_e32 v35, s37
	s_and_not1_b32 vcc_lo, exec_lo, s13
	s_waitcnt lgkmcnt(0)
	s_barrier
	buffer_gl0_inv
	s_cbranch_vccnz .LBB16_56
; %bb.21:                               ;   in Loop: Header=BB16_14 Depth=1
	v_cmp_ne_u32_e64 s10, 0, v33
	v_mov_b32_e32 v35, s37
	s_mov_b32 s53, s47
	s_branch .LBB16_23
.LBB16_22:                              ;   in Loop: Header=BB16_23 Depth=2
	s_or_b32 exec_lo, exec_lo, s12
	s_add_i32 s53, s53, 16
	s_delay_alu instid0(SALU_CYCLE_1)
	s_cmp_lt_i32 s53, s46
	s_cbranch_scc0 .LBB16_56
.LBB16_23:                              ;   Parent Loop BB16_14 Depth=1
                                        ; =>  This Loop Header: Depth=2
                                        ;       Child Loop BB16_36 Depth 3
                                        ;         Child Loop BB16_45 Depth 4
                                        ;         Child Loop BB16_50 Depth 4
	v_add_nc_u32_e32 v5, s53, v14
	s_waitcnt_vscnt null, 0x0
	s_barrier
	buffer_gl0_inv
	v_cmp_gt_i32_e64 s11, s46, v5
	s_delay_alu instid0(VALU_DEP_1)
	s_and_saveexec_b32 s12, s11
	s_cbranch_execz .LBB16_27
; %bb.24:                               ;   in Loop: Header=BB16_23 Depth=2
	v_mov_b32_e32 v6, 0
	s_and_saveexec_b32 s54, s9
	s_cbranch_execz .LBB16_26
; %bb.25:                               ;   in Loop: Header=BB16_23 Depth=2
	v_mad_u64_u32 v[6:7], null, v5, s38, v[2:3]
	s_delay_alu instid0(VALU_DEP_1) | instskip(NEXT) | instid1(VALU_DEP_1)
	v_mad_u64_u32 v[7:8], null, v6, s38, v[1:2]
	v_ashrrev_i32_e32 v8, 31, v7
	s_delay_alu instid0(VALU_DEP_1) | instskip(NEXT) | instid1(VALU_DEP_1)
	v_lshlrev_b64 v[6:7], 2, v[7:8]
	v_add_co_u32 v6, vcc_lo, s22, v6
	s_delay_alu instid0(VALU_DEP_2)
	v_add_co_ci_u32_e32 v7, vcc_lo, s23, v7, vcc_lo
	global_load_b32 v6, v[6:7], off
.LBB16_26:                              ;   in Loop: Header=BB16_23 Depth=2
	s_or_b32 exec_lo, exec_lo, s54
	s_waitcnt vmcnt(0)
	ds_store_b32 v17, v6
.LBB16_27:                              ;   in Loop: Header=BB16_23 Depth=2
	s_or_b32 exec_lo, exec_lo, s12
	v_mov_b32_e32 v7, 0
	s_waitcnt lgkmcnt(0)
	s_barrier
	buffer_gl0_inv
	s_and_saveexec_b32 s54, s11
	s_cbranch_execz .LBB16_53
; %bb.28:                               ;   in Loop: Header=BB16_23 Depth=2
	v_ashrrev_i32_e32 v6, 31, v5
	s_delay_alu instid0(VALU_DEP_1) | instskip(NEXT) | instid1(VALU_DEP_1)
	v_lshlrev_b64 v[6:7], 2, v[5:6]
	v_add_co_u32 v8, vcc_lo, s20, v6
	s_delay_alu instid0(VALU_DEP_2) | instskip(SKIP_4) | instid1(VALU_DEP_1)
	v_add_co_ci_u32_e32 v9, vcc_lo, s21, v7, vcc_lo
	s_and_b32 vcc_lo, exec_lo, s10
	global_load_b32 v8, v[8:9], off
	s_waitcnt vmcnt(0)
	v_subrev_nc_u32_e32 v8, s28, v8
	v_ashrrev_i32_e32 v9, 31, v8
	s_cbranch_vccz .LBB16_55
; %bb.29:                               ;   in Loop: Header=BB16_23 Depth=2
	v_add_co_u32 v6, vcc_lo, s34, v6
	v_add_co_ci_u32_e32 v7, vcc_lo, s35, v7, vcc_lo
	global_load_b32 v7, v[6:7], off
	s_cbranch_execnz .LBB16_31
.LBB16_30:                              ;   in Loop: Header=BB16_23 Depth=2
	s_waitcnt vmcnt(0)
	s_delay_alu instid0(VALU_DEP_1) | instskip(NEXT) | instid1(VALU_DEP_1)
	v_lshlrev_b64 v[6:7], 2, v[8:9]
	v_add_co_u32 v6, vcc_lo, s24, v6
	s_delay_alu instid0(VALU_DEP_2)
	v_add_co_ci_u32_e32 v7, vcc_lo, s25, v7, vcc_lo
	global_load_b32 v6, v[6:7], off
	s_waitcnt vmcnt(0)
	v_subrev_nc_u32_e32 v7, s29, v6
.LBB16_31:                              ;   in Loop: Header=BB16_23 Depth=2
	v_lshlrev_b64 v[8:9], 2, v[8:9]
	s_mov_b32 s55, exec_lo
	s_delay_alu instid0(VALU_DEP_1) | instskip(NEXT) | instid1(VALU_DEP_2)
	v_add_co_u32 v8, vcc_lo, s49, v8
	v_add_co_ci_u32_e32 v9, vcc_lo, s51, v9, vcc_lo
	global_load_b32 v6, v[8:9], off
	s_waitcnt vmcnt(0)
	v_subrev_nc_u32_e32 v6, s29, v6
	s_delay_alu instid0(VALU_DEP_1)
	v_cmpx_lt_i32_e64 v7, v6
	s_cbranch_execz .LBB16_52
; %bb.32:                               ;   in Loop: Header=BB16_23 Depth=2
	v_mad_u64_u32 v[8:9], null, s38, v7, v[1:2]
	v_mad_u64_u32 v[9:10], null, s50, v7, v[1:2]
	v_mov_b32_e32 v37, v7
	s_mov_b32 s56, 0
	s_delay_alu instid0(VALU_DEP_3)
	v_mul_lo_u32 v36, s38, v8
	s_branch .LBB16_36
.LBB16_33:                              ;   in Loop: Header=BB16_36 Depth=3
	v_lshlrev_b32_e32 v8, 4, v8
	s_delay_alu instid0(VALU_DEP_2) | instskip(NEXT) | instid1(VALU_DEP_2)
	v_mul_f32_e32 v10, v12, v38
	v_or3_b32 v8, v8, v16, v1
	s_delay_alu instid0(VALU_DEP_1)
	v_lshlrev_b32_e32 v8, 2, v8
	ds_add_f32 v8, v10
.LBB16_34:                              ;   in Loop: Header=BB16_36 Depth=3
	s_or_b32 exec_lo, exec_lo, s59
	s_delay_alu instid0(SALU_CYCLE_1)
	s_or_b32 s57, s57, exec_lo
.LBB16_35:                              ;   in Loop: Header=BB16_36 Depth=3
	s_or_b32 exec_lo, exec_lo, s58
	v_add_nc_u32_e32 v7, 1, v7
	s_xor_b32 s12, s57, -1
	v_add_nc_u32_e32 v36, s50, v36
	v_add_nc_u32_e32 v9, s50, v9
	s_delay_alu instid0(VALU_DEP_3) | instskip(SKIP_1) | instid1(SALU_CYCLE_1)
	v_cmp_ge_i32_e32 vcc_lo, v7, v6
	s_or_b32 s12, s12, vcc_lo
	s_and_b32 s12, exec_lo, s12
	s_delay_alu instid0(SALU_CYCLE_1) | instskip(NEXT) | instid1(SALU_CYCLE_1)
	s_or_b32 s56, s12, s56
	s_and_not1_b32 exec_lo, exec_lo, s56
	s_cbranch_execz .LBB16_51
.LBB16_36:                              ;   Parent Loop BB16_14 Depth=1
                                        ;     Parent Loop BB16_23 Depth=2
                                        ; =>    This Loop Header: Depth=3
                                        ;         Child Loop BB16_45 Depth 4
                                        ;         Child Loop BB16_50 Depth 4
	v_ashrrev_i32_e32 v8, 31, v7
                                        ; implicit-def: $sgpr57
	s_delay_alu instid0(VALU_DEP_1) | instskip(NEXT) | instid1(VALU_DEP_1)
	v_lshlrev_b64 v[10:11], 2, v[7:8]
	v_add_co_u32 v10, vcc_lo, s26, v10
	s_delay_alu instid0(VALU_DEP_2) | instskip(SKIP_3) | instid1(VALU_DEP_1)
	v_add_co_ci_u32_e32 v11, vcc_lo, s27, v11, vcc_lo
	global_load_b32 v8, v[10:11], off
	s_waitcnt vmcnt(0)
	v_subrev_nc_u32_e32 v8, s29, v8
	v_cmp_lt_i32_e64 s12, v8, v33
	v_cmp_ge_i32_e32 vcc_lo, v8, v34
	s_delay_alu instid0(VALU_DEP_2) | instskip(NEXT) | instid1(SALU_CYCLE_1)
	s_or_b32 s12, s12, vcc_lo
	s_and_saveexec_b32 s58, s12
	s_delay_alu instid0(SALU_CYCLE_1)
	s_xor_b32 s12, exec_lo, s58
	s_cbranch_execz .LBB16_40
; %bb.37:                               ;   in Loop: Header=BB16_36 Depth=3
	s_mov_b32 s57, -1
	s_and_saveexec_b32 s58, vcc_lo
; %bb.38:                               ;   in Loop: Header=BB16_36 Depth=3
	v_min_i32_e32 v35, v8, v35
	v_mov_b32_e32 v37, v7
	s_xor_b32 s57, exec_lo, -1
; %bb.39:                               ;   in Loop: Header=BB16_36 Depth=3
	s_or_b32 exec_lo, exec_lo, s58
	s_delay_alu instid0(SALU_CYCLE_1)
	s_and_b32 s57, s57, exec_lo
                                        ; implicit-def: $vgpr8
.LBB16_40:                              ;   in Loop: Header=BB16_36 Depth=3
	s_and_not1_saveexec_b32 s58, s12
	s_cbranch_execz .LBB16_35
; %bb.41:                               ;   in Loop: Header=BB16_36 Depth=3
	v_sub_nc_u32_e32 v8, v8, v33
	s_delay_alu instid0(VALU_DEP_1)
	v_lshlrev_b32_e32 v10, 2, v8
	ds_store_b32 v10, v32 offset:5120
	s_and_saveexec_b32 s59, s9
	s_cbranch_execz .LBB16_34
; %bb.42:                               ;   in Loop: Header=BB16_36 Depth=3
	v_cndmask_b32_e64 v10, 0, 1, s48
	s_and_not1_b32 vcc_lo, exec_lo, s36
	s_delay_alu instid0(VALU_DEP_1)
	v_cmp_ne_u32_e64 s12, 1, v10
	s_cbranch_vccnz .LBB16_47
; %bb.43:                               ;   in Loop: Header=BB16_36 Depth=3
	v_mov_b32_e32 v38, 0
	s_delay_alu instid0(VALU_DEP_2)
	s_and_b32 vcc_lo, exec_lo, s12
	s_cbranch_vccnz .LBB16_46
; %bb.44:                               ;   in Loop: Header=BB16_36 Depth=3
	v_dual_mov_b32 v10, v36 :: v_dual_mov_b32 v39, v27
	s_mov_b32 s12, s38
.LBB16_45:                              ;   Parent Loop BB16_14 Depth=1
                                        ;     Parent Loop BB16_23 Depth=2
                                        ;       Parent Loop BB16_36 Depth=3
                                        ; =>      This Inner Loop Header: Depth=4
	s_delay_alu instid0(VALU_DEP_1) | instskip(SKIP_1) | instid1(SALU_CYCLE_1)
	v_ashrrev_i32_e32 v11, 31, v10
	s_add_i32 s12, s12, -1
	s_cmp_lg_u32 s12, 0
	s_delay_alu instid0(VALU_DEP_1) | instskip(SKIP_1) | instid1(VALU_DEP_2)
	v_lshlrev_b64 v[40:41], 2, v[10:11]
	v_add_nc_u32_e32 v10, 1, v10
	v_add_co_u32 v40, vcc_lo, s44, v40
	s_delay_alu instid0(VALU_DEP_3)
	v_add_co_ci_u32_e32 v41, vcc_lo, s45, v41, vcc_lo
	global_load_b32 v11, v[40:41], off
	ds_load_b32 v40, v39
	v_add_nc_u32_e32 v39, 16, v39
	s_waitcnt vmcnt(0) lgkmcnt(0)
	v_fmac_f32_e32 v38, v40, v11
	s_cbranch_scc1 .LBB16_45
.LBB16_46:                              ;   in Loop: Header=BB16_36 Depth=3
	s_cbranch_execnz .LBB16_33
	s_branch .LBB16_48
.LBB16_47:                              ;   in Loop: Header=BB16_36 Depth=3
                                        ; implicit-def: $vgpr38
.LBB16_48:                              ;   in Loop: Header=BB16_36 Depth=3
	v_mov_b32_e32 v38, 0
	s_and_not1_b32 vcc_lo, exec_lo, s48
	s_cbranch_vccnz .LBB16_33
; %bb.49:                               ;   in Loop: Header=BB16_36 Depth=3
	v_dual_mov_b32 v39, v28 :: v_dual_mov_b32 v10, v9
	s_mov_b32 s12, s38
	.p2align	6
.LBB16_50:                              ;   Parent Loop BB16_14 Depth=1
                                        ;     Parent Loop BB16_23 Depth=2
                                        ;       Parent Loop BB16_36 Depth=3
                                        ; =>      This Inner Loop Header: Depth=4
	s_delay_alu instid0(VALU_DEP_1) | instskip(SKIP_1) | instid1(SALU_CYCLE_1)
	v_ashrrev_i32_e32 v11, 31, v10
	s_add_i32 s12, s12, -1
	s_cmp_eq_u32 s12, 0
	s_delay_alu instid0(VALU_DEP_1) | instskip(SKIP_1) | instid1(VALU_DEP_2)
	v_lshlrev_b64 v[40:41], 2, v[10:11]
	v_add_nc_u32_e32 v10, s38, v10
	v_add_co_u32 v40, vcc_lo, s44, v40
	s_delay_alu instid0(VALU_DEP_3)
	v_add_co_ci_u32_e32 v41, vcc_lo, s45, v41, vcc_lo
	global_load_b32 v11, v[40:41], off
	ds_load_b32 v40, v39
	v_add_nc_u32_e32 v39, 4, v39
	s_waitcnt vmcnt(0) lgkmcnt(0)
	v_fmac_f32_e32 v38, v40, v11
	s_cbranch_scc0 .LBB16_50
	s_branch .LBB16_33
.LBB16_51:                              ;   in Loop: Header=BB16_23 Depth=2
	s_or_b32 exec_lo, exec_lo, s56
	v_mov_b32_e32 v7, v37
.LBB16_52:                              ;   in Loop: Header=BB16_23 Depth=2
	s_or_b32 exec_lo, exec_lo, s55
.LBB16_53:                              ;   in Loop: Header=BB16_23 Depth=2
	s_delay_alu instid0(SALU_CYCLE_1)
	s_or_b32 exec_lo, exec_lo, s54
	s_waitcnt lgkmcnt(0)
	s_barrier
	buffer_gl0_inv
	s_and_saveexec_b32 s12, s11
	s_cbranch_execz .LBB16_22
; %bb.54:                               ;   in Loop: Header=BB16_23 Depth=2
	v_ashrrev_i32_e32 v6, 31, v5
	s_delay_alu instid0(VALU_DEP_1) | instskip(NEXT) | instid1(VALU_DEP_1)
	v_lshlrev_b64 v[5:6], 2, v[5:6]
	v_add_co_u32 v5, vcc_lo, s34, v5
	s_delay_alu instid0(VALU_DEP_2)
	v_add_co_ci_u32_e32 v6, vcc_lo, s35, v6, vcc_lo
	global_store_b32 v[5:6], v7, off
	s_branch .LBB16_22
.LBB16_55:                              ;   in Loop: Header=BB16_23 Depth=2
                                        ; implicit-def: $vgpr7
	s_branch .LBB16_30
.LBB16_56:                              ;   in Loop: Header=BB16_14 Depth=1
	s_and_not1_b32 vcc_lo, exec_lo, s33
	s_cbranch_vccnz .LBB16_68
; %bb.57:                               ;   in Loop: Header=BB16_14 Depth=1
	s_load_b64 s[10:11], s[18:19], 0x0
	s_mov_b32 s12, exec_lo
	s_waitcnt lgkmcnt(0)
	v_add_nc_u32_e32 v5, s10, v18
	s_sub_i32 s53, s11, s31
	s_delay_alu instid0(VALU_DEP_1) | instid1(SALU_CYCLE_1)
	v_cmpx_gt_i32_e64 s53, v5
	s_cbranch_execz .LBB16_67
; %bb.58:                               ;   in Loop: Header=BB16_14 Depth=1
	v_mad_u64_u32 v[6:7], null, s38, v5, v[3:4]
	s_mov_b32 s54, 0
	s_delay_alu instid0(VALU_DEP_1)
	v_mad_u64_u32 v[7:8], null, s38, v6, v[4:5]
	s_branch .LBB16_61
.LBB16_59:                              ;   in Loop: Header=BB16_61 Depth=2
	s_or_b32 exec_lo, exec_lo, s55
	s_delay_alu instid0(SALU_CYCLE_1)
	s_or_b32 s10, s10, exec_lo
.LBB16_60:                              ;   in Loop: Header=BB16_61 Depth=2
	s_or_b32 exec_lo, exec_lo, s11
	v_add_nc_u32_e32 v5, 16, v5
	s_xor_b32 s10, s10, -1
	v_add_nc_u32_e32 v7, s52, v7
	s_delay_alu instid0(VALU_DEP_2) | instskip(SKIP_1) | instid1(SALU_CYCLE_1)
	v_cmp_le_i32_e32 vcc_lo, s53, v5
	s_or_b32 s10, vcc_lo, s10
	s_and_b32 s10, exec_lo, s10
	s_delay_alu instid0(SALU_CYCLE_1) | instskip(NEXT) | instid1(SALU_CYCLE_1)
	s_or_b32 s54, s10, s54
	s_and_not1_b32 exec_lo, exec_lo, s54
	s_cbranch_execz .LBB16_66
.LBB16_61:                              ;   Parent Loop BB16_14 Depth=1
                                        ; =>  This Inner Loop Header: Depth=2
	v_ashrrev_i32_e32 v6, 31, v5
	s_delay_alu instid0(VALU_DEP_1) | instskip(NEXT) | instid1(VALU_DEP_1)
	v_lshlrev_b64 v[8:9], 2, v[5:6]
	v_add_co_u32 v8, vcc_lo, s14, v8
	s_delay_alu instid0(VALU_DEP_2) | instskip(SKIP_3) | instid1(VALU_DEP_1)
	v_add_co_ci_u32_e32 v9, vcc_lo, s15, v9, vcc_lo
	global_load_b32 v6, v[8:9], off
	s_waitcnt vmcnt(0)
	v_subrev_nc_u32_e32 v6, s31, v6
	v_cmp_lt_i32_e64 s10, v6, v33
	v_cmp_ge_i32_e64 s11, v6, v34
	v_cmp_lt_i32_e32 vcc_lo, v6, v34
	s_delay_alu instid0(VALU_DEP_2) | instskip(NEXT) | instid1(SALU_CYCLE_1)
	s_or_b32 s11, s10, s11
                                        ; implicit-def: $sgpr10
	s_and_saveexec_b32 s55, s11
	s_delay_alu instid0(SALU_CYCLE_1)
	s_xor_b32 s11, exec_lo, s55
; %bb.62:                               ;   in Loop: Header=BB16_61 Depth=2
	v_min_i32_e32 v6, v6, v35
	s_and_b32 s10, vcc_lo, exec_lo
	s_delay_alu instid0(VALU_DEP_1)
	v_cndmask_b32_e32 v35, v6, v35, vcc_lo
                                        ; implicit-def: $vgpr6
; %bb.63:                               ;   in Loop: Header=BB16_61 Depth=2
	s_and_not1_saveexec_b32 s11, s11
	s_cbranch_execz .LBB16_60
; %bb.64:                               ;   in Loop: Header=BB16_61 Depth=2
	v_sub_nc_u32_e32 v6, v6, v33
	s_delay_alu instid0(VALU_DEP_1)
	v_lshlrev_b32_e32 v8, 2, v6
	ds_store_b32 v8, v32 offset:5120
	s_and_saveexec_b32 s55, s9
	s_cbranch_execz .LBB16_59
; %bb.65:                               ;   in Loop: Header=BB16_61 Depth=2
	v_ashrrev_i32_e32 v8, 31, v7
	v_lshlrev_b32_e32 v6, 4, v6
	s_delay_alu instid0(VALU_DEP_2) | instskip(NEXT) | instid1(VALU_DEP_2)
	v_lshlrev_b64 v[8:9], 2, v[7:8]
	v_or3_b32 v6, v6, v16, v1
	s_delay_alu instid0(VALU_DEP_1) | instskip(NEXT) | instid1(VALU_DEP_3)
	v_lshlrev_b32_e32 v6, 2, v6
	v_add_co_u32 v8, vcc_lo, s16, v8
	s_delay_alu instid0(VALU_DEP_4)
	v_add_co_ci_u32_e32 v9, vcc_lo, s17, v9, vcc_lo
	global_load_b32 v8, v[8:9], off
	s_waitcnt vmcnt(0)
	v_mul_f32_e32 v8, v13, v8
	ds_add_f32 v6, v8
	s_branch .LBB16_59
.LBB16_66:                              ;   in Loop: Header=BB16_14 Depth=1
	s_or_b32 exec_lo, exec_lo, s54
.LBB16_67:                              ;   in Loop: Header=BB16_14 Depth=1
	s_delay_alu instid0(SALU_CYCLE_1)
	s_or_b32 exec_lo, exec_lo, s12
.LBB16_68:                              ;   in Loop: Header=BB16_14 Depth=1
	s_and_saveexec_b32 s10, s2
	s_cbranch_execz .LBB16_73
; %bb.69:                               ;   in Loop: Header=BB16_14 Depth=1
	s_mov_b32 s12, exec_lo
	s_brev_b32 s11, -2
.LBB16_70:                              ;   Parent Loop BB16_14 Depth=1
                                        ; =>  This Inner Loop Header: Depth=2
	s_ctz_i32_b32 s53, s12
	s_delay_alu instid0(SALU_CYCLE_1) | instskip(SKIP_1) | instid1(SALU_CYCLE_1)
	v_readlane_b32 s54, v35, s53
	s_lshl_b32 s53, 1, s53
	s_and_not1_b32 s12, s12, s53
	s_delay_alu instid0(VALU_DEP_1)
	s_min_i32 s11, s11, s54
	s_cmp_lg_u32 s12, 0
	s_cbranch_scc1 .LBB16_70
; %bb.71:                               ;   in Loop: Header=BB16_14 Depth=1
	v_mbcnt_lo_u32_b32 v5, exec_lo, 0
	s_mov_b32 s12, exec_lo
	s_delay_alu instid0(VALU_DEP_1)
	v_cmpx_eq_u32_e32 0, v5
	s_xor_b32 s12, exec_lo, s12
	s_cbranch_execz .LBB16_73
; %bb.72:                               ;   in Loop: Header=BB16_14 Depth=1
	v_mov_b32_e32 v5, s11
	ds_min_i32 v31, v5 offset:5376
.LBB16_73:                              ;   in Loop: Header=BB16_14 Depth=1
	s_or_b32 exec_lo, exec_lo, s10
	s_waitcnt lgkmcnt(0)
	s_waitcnt_vscnt null, 0x0
	s_barrier
	buffer_gl0_inv
	ds_load_b32 v5, v20
	s_waitcnt lgkmcnt(0)
	s_barrier
	buffer_gl0_inv
	s_and_saveexec_b32 s10, s3
	s_cbranch_execz .LBB16_75
; %bb.74:                               ;   in Loop: Header=BB16_14 Depth=1
	ds_load_b32 v6, v21
	s_waitcnt lgkmcnt(0)
	v_add_nc_u32_e32 v5, v6, v5
.LBB16_75:                              ;   in Loop: Header=BB16_14 Depth=1
	s_or_b32 exec_lo, exec_lo, s10
	s_barrier
	buffer_gl0_inv
	ds_store_b32 v20, v5
	s_waitcnt lgkmcnt(0)
	s_barrier
	buffer_gl0_inv
	s_and_saveexec_b32 s10, s4
	s_cbranch_execz .LBB16_77
; %bb.76:                               ;   in Loop: Header=BB16_14 Depth=1
	ds_load_b32 v6, v22
	s_waitcnt lgkmcnt(0)
	v_add_nc_u32_e32 v5, v6, v5
.LBB16_77:                              ;   in Loop: Header=BB16_14 Depth=1
	s_or_b32 exec_lo, exec_lo, s10
	s_barrier
	buffer_gl0_inv
	ds_store_b32 v20, v5
	;; [unrolled: 14-line block ×6, first 2 shown]
	s_waitcnt lgkmcnt(0)
	s_barrier
	buffer_gl0_inv
	ds_load_b32 v7, v31 offset:5372
	v_mov_b32_e32 v6, 0
	s_and_saveexec_b32 s10, s39
	s_cbranch_execz .LBB16_87
; %bb.86:                               ;   in Loop: Header=BB16_14 Depth=1
	ds_load_b32 v6, v21
.LBB16_87:                              ;   in Loop: Header=BB16_14 Depth=1
	s_or_b32 exec_lo, exec_lo, s10
	s_waitcnt lgkmcnt(0)
	v_cmp_eq_u32_e32 vcc_lo, v5, v6
	s_barrier
	buffer_gl0_inv
	s_and_b32 s11, s39, vcc_lo
	s_delay_alu instid0(SALU_CYCLE_1)
	s_and_saveexec_b32 s10, s11
	s_cbranch_execz .LBB16_89
; %bb.88:                               ;   in Loop: Header=BB16_14 Depth=1
	ds_store_b32 v20, v31
.LBB16_89:                              ;   in Loop: Header=BB16_14 Depth=1
	s_or_b32 exec_lo, exec_lo, s10
	v_dual_mov_b32 v11, v15 :: v_dual_add_nc_u32 v8, -1, v30
	v_dual_mov_b32 v10, v29 :: v_dual_add_nc_u32 v9, s30, v33
	v_mov_b32_e32 v33, v14
	s_mov_b32 s10, 0
	s_waitcnt lgkmcnt(0)
	s_barrier
	buffer_gl0_inv
	s_set_inst_prefetch_distance 0x1
	s_branch .LBB16_91
	.p2align	6
.LBB16_90:                              ;   in Loop: Header=BB16_91 Depth=2
	s_or_b32 exec_lo, exec_lo, s11
	v_add_nc_u32_e32 v5, 16, v33
	v_cmp_lt_u32_e32 vcc_lo, 47, v33
	v_add_nc_u32_e32 v11, 0x400, v11
	s_delay_alu instid0(VALU_DEP_3) | instskip(SKIP_1) | instid1(SALU_CYCLE_1)
	v_dual_mov_b32 v33, v5 :: v_dual_add_nc_u32 v10, 64, v10
	s_or_b32 s10, vcc_lo, s10
	s_and_not1_b32 exec_lo, exec_lo, s10
	s_cbranch_execz .LBB16_13
.LBB16_91:                              ;   Parent Loop BB16_14 Depth=1
                                        ; =>  This Inner Loop Header: Depth=2
	ds_load_b32 v5, v10
	s_mov_b32 s11, exec_lo
	s_waitcnt lgkmcnt(0)
	v_cmpx_ne_u32_e32 0, v5
	s_cbranch_execz .LBB16_90
; %bb.92:                               ;   in Loop: Header=BB16_91 Depth=2
	v_add_nc_u32_e32 v5, v8, v5
	s_delay_alu instid0(VALU_DEP_1) | instskip(NEXT) | instid1(VALU_DEP_1)
	v_ashrrev_i32_e32 v6, 31, v5
	v_lshlrev_b64 v[34:35], 2, v[5:6]
	v_add_nc_u32_e32 v6, v9, v33
	s_delay_alu instid0(VALU_DEP_2) | instskip(NEXT) | instid1(VALU_DEP_3)
	v_add_co_u32 v34, vcc_lo, s40, v34
	v_add_co_ci_u32_e32 v35, vcc_lo, s41, v35, vcc_lo
	global_store_b32 v[34:35], v6, off
	s_and_b32 exec_lo, exec_lo, s9
	s_cbranch_execz .LBB16_90
; %bb.93:                               ;   in Loop: Header=BB16_91 Depth=2
	v_mad_u64_u32 v[34:35], null, v5, s38, v[3:4]
	s_delay_alu instid0(VALU_DEP_1) | instskip(SKIP_2) | instid1(VALU_DEP_1)
	v_mad_u64_u32 v[5:6], null, v34, s38, v[4:5]
	ds_load_b32 v34, v11
	v_ashrrev_i32_e32 v6, 31, v5
	v_lshlrev_b64 v[5:6], 2, v[5:6]
	s_delay_alu instid0(VALU_DEP_1) | instskip(NEXT) | instid1(VALU_DEP_2)
	v_add_co_u32 v5, vcc_lo, s42, v5
	v_add_co_ci_u32_e32 v6, vcc_lo, s43, v6, vcc_lo
	s_waitcnt lgkmcnt(0)
	global_store_b32 v[5:6], v34, off
	s_branch .LBB16_90
.LBB16_94:
	s_endpgm
	.section	.rodata,"a",@progbits
	.p2align	6, 0x0
	.amdhsa_kernel _ZN9rocsparseL38bsrgemm_block_per_row_atomic_multipassILj256ELj64ELj4EiifEEv20rocsparse_direction_T3_S2_PKS2_S4_NS_24const_host_device_scalarIT4_EEPKT2_S4_PKS6_SA_S4_SC_S7_SA_S4_SC_SA_PS2_PS6_PS8_21rocsparse_index_base_SG_SG_SG_bbb
		.amdhsa_group_segment_fixed_size 5380
		.amdhsa_private_segment_fixed_size 0
		.amdhsa_kernarg_size 172
		.amdhsa_user_sgpr_count 15
		.amdhsa_user_sgpr_dispatch_ptr 0
		.amdhsa_user_sgpr_queue_ptr 0
		.amdhsa_user_sgpr_kernarg_segment_ptr 1
		.amdhsa_user_sgpr_dispatch_id 0
		.amdhsa_user_sgpr_private_segment_size 0
		.amdhsa_wavefront_size32 1
		.amdhsa_uses_dynamic_stack 0
		.amdhsa_enable_private_segment 0
		.amdhsa_system_sgpr_workgroup_id_x 1
		.amdhsa_system_sgpr_workgroup_id_y 0
		.amdhsa_system_sgpr_workgroup_id_z 0
		.amdhsa_system_sgpr_workgroup_info 0
		.amdhsa_system_vgpr_workitem_id 0
		.amdhsa_next_free_vgpr 42
		.amdhsa_next_free_sgpr 60
		.amdhsa_reserve_vcc 1
		.amdhsa_float_round_mode_32 0
		.amdhsa_float_round_mode_16_64 0
		.amdhsa_float_denorm_mode_32 3
		.amdhsa_float_denorm_mode_16_64 3
		.amdhsa_dx10_clamp 1
		.amdhsa_ieee_mode 1
		.amdhsa_fp16_overflow 0
		.amdhsa_workgroup_processor_mode 1
		.amdhsa_memory_ordered 1
		.amdhsa_forward_progress 0
		.amdhsa_shared_vgpr_count 0
		.amdhsa_exception_fp_ieee_invalid_op 0
		.amdhsa_exception_fp_denorm_src 0
		.amdhsa_exception_fp_ieee_div_zero 0
		.amdhsa_exception_fp_ieee_overflow 0
		.amdhsa_exception_fp_ieee_underflow 0
		.amdhsa_exception_fp_ieee_inexact 0
		.amdhsa_exception_int_div_zero 0
	.end_amdhsa_kernel
	.section	.text._ZN9rocsparseL38bsrgemm_block_per_row_atomic_multipassILj256ELj64ELj4EiifEEv20rocsparse_direction_T3_S2_PKS2_S4_NS_24const_host_device_scalarIT4_EEPKT2_S4_PKS6_SA_S4_SC_S7_SA_S4_SC_SA_PS2_PS6_PS8_21rocsparse_index_base_SG_SG_SG_bbb,"axG",@progbits,_ZN9rocsparseL38bsrgemm_block_per_row_atomic_multipassILj256ELj64ELj4EiifEEv20rocsparse_direction_T3_S2_PKS2_S4_NS_24const_host_device_scalarIT4_EEPKT2_S4_PKS6_SA_S4_SC_S7_SA_S4_SC_SA_PS2_PS6_PS8_21rocsparse_index_base_SG_SG_SG_bbb,comdat
.Lfunc_end16:
	.size	_ZN9rocsparseL38bsrgemm_block_per_row_atomic_multipassILj256ELj64ELj4EiifEEv20rocsparse_direction_T3_S2_PKS2_S4_NS_24const_host_device_scalarIT4_EEPKT2_S4_PKS6_SA_S4_SC_S7_SA_S4_SC_SA_PS2_PS6_PS8_21rocsparse_index_base_SG_SG_SG_bbb, .Lfunc_end16-_ZN9rocsparseL38bsrgemm_block_per_row_atomic_multipassILj256ELj64ELj4EiifEEv20rocsparse_direction_T3_S2_PKS2_S4_NS_24const_host_device_scalarIT4_EEPKT2_S4_PKS6_SA_S4_SC_S7_SA_S4_SC_SA_PS2_PS6_PS8_21rocsparse_index_base_SG_SG_SG_bbb
                                        ; -- End function
	.section	.AMDGPU.csdata,"",@progbits
; Kernel info:
; codeLenInByte = 3316
; NumSgprs: 62
; NumVgprs: 42
; ScratchSize: 0
; MemoryBound: 0
; FloatMode: 240
; IeeeMode: 1
; LDSByteSize: 5380 bytes/workgroup (compile time only)
; SGPRBlocks: 7
; VGPRBlocks: 5
; NumSGPRsForWavesPerEU: 62
; NumVGPRsForWavesPerEU: 42
; Occupancy: 16
; WaveLimiterHint : 1
; COMPUTE_PGM_RSRC2:SCRATCH_EN: 0
; COMPUTE_PGM_RSRC2:USER_SGPR: 15
; COMPUTE_PGM_RSRC2:TRAP_HANDLER: 0
; COMPUTE_PGM_RSRC2:TGID_X_EN: 1
; COMPUTE_PGM_RSRC2:TGID_Y_EN: 0
; COMPUTE_PGM_RSRC2:TGID_Z_EN: 0
; COMPUTE_PGM_RSRC2:TIDIG_COMP_CNT: 0
	.section	.text._ZN9rocsparseL38bsrgemm_block_per_row_atomic_multipassILj256ELj128ELj4EiifEEv20rocsparse_direction_T3_S2_PKS2_S4_NS_24const_host_device_scalarIT4_EEPKT2_S4_PKS6_SA_S4_SC_S7_SA_S4_SC_SA_PS2_PS6_PS8_21rocsparse_index_base_SG_SG_SG_bbb,"axG",@progbits,_ZN9rocsparseL38bsrgemm_block_per_row_atomic_multipassILj256ELj128ELj4EiifEEv20rocsparse_direction_T3_S2_PKS2_S4_NS_24const_host_device_scalarIT4_EEPKT2_S4_PKS6_SA_S4_SC_S7_SA_S4_SC_SA_PS2_PS6_PS8_21rocsparse_index_base_SG_SG_SG_bbb,comdat
	.globl	_ZN9rocsparseL38bsrgemm_block_per_row_atomic_multipassILj256ELj128ELj4EiifEEv20rocsparse_direction_T3_S2_PKS2_S4_NS_24const_host_device_scalarIT4_EEPKT2_S4_PKS6_SA_S4_SC_S7_SA_S4_SC_SA_PS2_PS6_PS8_21rocsparse_index_base_SG_SG_SG_bbb ; -- Begin function _ZN9rocsparseL38bsrgemm_block_per_row_atomic_multipassILj256ELj128ELj4EiifEEv20rocsparse_direction_T3_S2_PKS2_S4_NS_24const_host_device_scalarIT4_EEPKT2_S4_PKS6_SA_S4_SC_S7_SA_S4_SC_SA_PS2_PS6_PS8_21rocsparse_index_base_SG_SG_SG_bbb
	.p2align	8
	.type	_ZN9rocsparseL38bsrgemm_block_per_row_atomic_multipassILj256ELj128ELj4EiifEEv20rocsparse_direction_T3_S2_PKS2_S4_NS_24const_host_device_scalarIT4_EEPKT2_S4_PKS6_SA_S4_SC_S7_SA_S4_SC_SA_PS2_PS6_PS8_21rocsparse_index_base_SG_SG_SG_bbb,@function
_ZN9rocsparseL38bsrgemm_block_per_row_atomic_multipassILj256ELj128ELj4EiifEEv20rocsparse_direction_T3_S2_PKS2_S4_NS_24const_host_device_scalarIT4_EEPKT2_S4_PKS6_SA_S4_SC_S7_SA_S4_SC_SA_PS2_PS6_PS8_21rocsparse_index_base_SG_SG_SG_bbb: ; @_ZN9rocsparseL38bsrgemm_block_per_row_atomic_multipassILj256ELj128ELj4EiifEEv20rocsparse_direction_T3_S2_PKS2_S4_NS_24const_host_device_scalarIT4_EEPKT2_S4_PKS6_SA_S4_SC_S7_SA_S4_SC_SA_PS2_PS6_PS8_21rocsparse_index_base_SG_SG_SG_bbb
; %bb.0:
	s_clause 0x3
	s_load_b32 s3, s[0:1], 0xa8
	s_load_b128 s[36:39], s[0:1], 0x98
	s_load_b64 s[6:7], s[0:1], 0x20
	s_load_b64 s[4:5], s[0:1], 0x58
	s_mov_b32 s2, s15
	s_waitcnt lgkmcnt(0)
	s_bitcmp1_b32 s3, 0
	s_cselect_b32 s14, -1, 0
	s_bitcmp1_b32 s3, 16
	s_cselect_b32 s8, -1, 0
	s_xor_b32 s9, s14, -1
	s_delay_alu instid0(SALU_CYCLE_1) | instskip(NEXT) | instid1(SALU_CYCLE_1)
	s_or_b32 s9, s9, s8
	s_and_b32 vcc_lo, exec_lo, s9
	s_cbranch_vccnz .LBB17_2
; %bb.1:
	s_load_b32 s6, s[6:7], 0x0
	s_waitcnt lgkmcnt(0)
	v_mov_b32_e32 v12, s6
	s_branch .LBB17_3
.LBB17_2:
	v_cndmask_b32_e64 v12, 0, s6, s14
.LBB17_3:
	s_load_b64 s[6:7], s[0:1], 0x18
	s_bitcmp1_b32 s3, 8
	s_cselect_b32 s33, -1, 0
	s_delay_alu instid0(SALU_CYCLE_1) | instskip(NEXT) | instid1(SALU_CYCLE_1)
	s_xor_b32 s3, s33, -1
	s_or_b32 s3, s3, s8
	s_delay_alu instid0(SALU_CYCLE_1)
	s_and_b32 vcc_lo, exec_lo, s3
	s_cbranch_vccnz .LBB17_5
; %bb.4:
	s_load_b32 s3, s[4:5], 0x0
	s_waitcnt lgkmcnt(0)
	v_mov_b32_e32 v13, s3
	s_load_b64 s[4:5], s[0:1], 0x28
	s_cmp_eq_u64 s[6:7], 0
	s_cbranch_scc0 .LBB17_6
	s_branch .LBB17_7
.LBB17_5:
	v_cndmask_b32_e64 v13, 0, s4, s33
	s_load_b64 s[4:5], s[0:1], 0x28
	s_waitcnt lgkmcnt(0)
	s_cmp_eq_u64 s[6:7], 0
	s_cbranch_scc1 .LBB17_7
.LBB17_6:
	s_load_b64 s[8:9], s[0:1], 0x10
	s_waitcnt lgkmcnt(0)
	s_load_b32 s3, s[8:9], 0x0
	s_waitcnt lgkmcnt(0)
	s_add_i32 s2, s3, s2
	s_mov_b32 s3, 0
	s_delay_alu instid0(SALU_CYCLE_1) | instskip(NEXT) | instid1(SALU_CYCLE_1)
	s_lshl_b64 s[2:3], s[2:3], 2
	s_add_u32 s2, s6, s2
	s_addc_u32 s3, s7, s3
	s_load_b32 s2, s[2:3], 0x0
.LBB17_7:
	s_mov_b32 s50, 0
	s_and_not1_b32 vcc_lo, exec_lo, s14
	s_mov_b32 s51, 0
	s_cbranch_vccz .LBB17_10
; %bb.8:
	s_and_not1_b32 vcc_lo, exec_lo, s14
	s_cbranch_vccz .LBB17_11
.LBB17_9:
	s_load_b128 s[40:43], s[0:1], 0x0
	s_waitcnt lgkmcnt(0)
	s_cmp_lt_i32 s41, 1
	s_cbranch_scc0 .LBB17_12
	s_branch .LBB17_100
.LBB17_10:
	s_waitcnt lgkmcnt(0)
	s_ashr_i32 s3, s2, 31
	s_delay_alu instid0(SALU_CYCLE_1) | instskip(NEXT) | instid1(SALU_CYCLE_1)
	s_lshl_b64 s[6:7], s[2:3], 2
	s_add_u32 s6, s4, s6
	s_addc_u32 s7, s5, s7
	s_load_b32 s3, s[6:7], 0x0
	s_waitcnt lgkmcnt(0)
	s_sub_i32 s51, s3, s36
	s_and_not1_b32 vcc_lo, exec_lo, s14
	s_cbranch_vccnz .LBB17_9
.LBB17_11:
	s_waitcnt lgkmcnt(0)
	s_ashr_i32 s3, s2, 31
	s_delay_alu instid0(SALU_CYCLE_1) | instskip(NEXT) | instid1(SALU_CYCLE_1)
	s_lshl_b64 s[6:7], s[2:3], 2
	s_add_u32 s4, s4, s6
	s_addc_u32 s5, s5, s7
	s_load_b32 s3, s[4:5], 0x4
	s_waitcnt lgkmcnt(0)
	s_sub_i32 s50, s3, s36
	s_load_b128 s[40:43], s[0:1], 0x0
	s_waitcnt lgkmcnt(0)
	s_cmp_lt_i32 s41, 1
	s_cbranch_scc1 .LBB17_100
.LBB17_12:
	s_clause 0x4
	s_load_b256 s[16:23], s[0:1], 0x60
	s_load_b64 s[34:35], s[0:1], 0x90
	s_load_b128 s[44:47], s[0:1], 0x80
	s_load_b64 s[48:49], s[0:1], 0x50
	s_load_b256 s[24:31], s[0:1], 0x30
	s_ashr_i32 s3, s2, 31
	v_lshrrev_b32_e32 v14, 4, v0
	s_lshl_b64 s[12:13], s[2:3], 2
	v_dual_mov_b32 v34, 0x80 :: v_dual_and_b32 v1, 3, v0
	v_bfe_u32 v2, v0, 2, 2
	v_dual_mov_b32 v33, 0 :: v_dual_and_b32 v4, 0x7f, v0
	v_or_b32_e32 v5, 0x400, v0
	v_cmp_gt_u32_e64 s0, 0x80, v0
	s_delay_alu instid0(VALU_DEP_4) | instskip(NEXT) | instid1(VALU_DEP_4)
	v_max_i32_e32 v6, v1, v2
	v_add_co_u32 v7, s43, v4, -1
	v_cmp_eq_u32_e64 s1, 0, v0
	v_subrev_nc_u32_e32 v18, s39, v14
	s_waitcnt lgkmcnt(0)
	s_add_u32 s2, s22, s12
	s_addc_u32 s3, s23, s13
	v_cmp_lt_u32_e64 s4, 1, v4
	s_load_b32 s11, s[2:3], 0x0
	v_cmp_ne_u32_e64 s3, 0, v4
	v_cmp_lt_u32_e64 s5, 3, v4
	v_cmp_lt_u32_e64 s6, 7, v4
	;; [unrolled: 1-line block ×5, first 2 shown]
	v_cmp_gt_i32_e64 s10, s42, v6
	v_lshl_add_u32 v21, v7, 2, 0x2400
	v_lshl_or_b32 v29, v14, 2, 0x2400
	s_mul_i32 s54, s42, s42
	v_dual_mov_b32 v32, 1 :: v_dual_mov_b32 v31, 0
	s_waitcnt lgkmcnt(0)
	s_sub_i32 s15, s11, s38
	s_cmp_lt_i32 s51, s50
	v_dual_mov_b32 v30, s15 :: v_dual_lshlrev_b32 v15, 2, v0
	s_cselect_b32 s53, -1, 0
	s_cmp_eq_u32 s40, 0
	v_cmp_gt_u32_e64 s11, 0x700, v5
	s_cselect_b32 vcc_lo, -1, 0
	v_and_b32_e32 v3, 15, v0
	s_cmp_lg_u32 s40, 0
	v_and_b32_e32 v16, 12, v0
	s_cselect_b32 s40, -1, 0
	s_cmp_gt_i32 s42, 0
	v_cmp_eq_u32_e64 s2, 15, v3
	v_lshlrev_b32_e32 v3, 2, v4
	v_lshlrev_b32_e32 v5, 6, v14
	s_cselect_b32 s52, -1, 0
	s_add_u32 s22, s16, s12
	s_addc_u32 s23, s17, s13
	s_and_b32 s17, s14, s53
	s_movk_i32 s14, 0x3f0
	v_or_b32_e32 v17, 0x2000, v15
	v_or_b32_e32 v19, 0x2400, v15
	;; [unrolled: 1-line block ×3, first 2 shown]
	v_add_nc_u32_e32 v22, 0x23f8, v3
	v_add_nc_u32_e32 v23, 0x23f0, v3
	;; [unrolled: 1-line block ×6, first 2 shown]
	v_dual_cndmask_b32 v3, v1, v2 :: v_dual_cndmask_b32 v4, v2, v1
	v_cmp_gt_u32_e64 s12, 0x200, v0
	v_cmp_gt_u32_e64 s13, 0x100, v0
	v_or3_b32 v0, v5, v16, 0x2000
	v_and_or_b32 v28, v15, s14, 0x2000
	s_add_u32 s53, s28, 4
	s_addc_u32 s55, s29, 0
	s_lshl_b32 s56, s54, 4
	s_branch .LBB17_14
.LBB17_13:                              ;   in Loop: Header=BB17_14 Depth=1
	s_set_inst_prefetch_distance 0x2
	s_or_b32 exec_lo, exec_lo, s14
	s_waitcnt_vscnt null, 0x0
	s_barrier
	buffer_gl0_inv
	ds_load_b32 v33, v31 offset:9728
	v_add_nc_u32_e32 v30, v7, v30
	s_waitcnt lgkmcnt(0)
	s_barrier
	buffer_gl0_inv
	v_cmp_le_i32_e32 vcc_lo, s41, v33
	v_add_nc_u32_e32 v34, 0x80, v33
	s_cbranch_vccnz .LBB17_100
.LBB17_14:                              ; =>This Loop Header: Depth=1
                                        ;     Child Loop BB17_27 Depth 2
                                        ;       Child Loop BB17_40 Depth 3
                                        ;         Child Loop BB17_49 Depth 4
                                        ;         Child Loop BB17_54 Depth 4
                                        ;     Child Loop BB17_65 Depth 2
                                        ;     Child Loop BB17_74 Depth 2
                                        ;     Child Loop BB17_97 Depth 2
	s_and_saveexec_b32 s14, s0
	s_cbranch_execz .LBB17_16
; %bb.15:                               ;   in Loop: Header=BB17_14 Depth=1
	ds_store_b32 v19, v31
.LBB17_16:                              ;   in Loop: Header=BB17_14 Depth=1
	s_or_b32 exec_lo, exec_lo, s14
	ds_store_2addr_stride64_b32 v15, v31, v31 offset1:4
	ds_store_2addr_stride64_b32 v15, v31, v31 offset0:8 offset1:12
	ds_store_b32 v15, v31 offset:4096
	s_and_saveexec_b32 s14, s11
	s_delay_alu instid0(SALU_CYCLE_1)
	s_xor_b32 s14, exec_lo, s14
	s_cbranch_execz .LBB17_22
; %bb.17:                               ;   in Loop: Header=BB17_14 Depth=1
	ds_store_b32 v15, v31 offset:5120
	s_and_saveexec_b32 s15, s12
	s_delay_alu instid0(SALU_CYCLE_1)
	s_xor_b32 s15, exec_lo, s15
	s_cbranch_execz .LBB17_21
; %bb.18:                               ;   in Loop: Header=BB17_14 Depth=1
	;; [unrolled: 6-line block ×3, first 2 shown]
	ds_store_b32 v15, v31 offset:7168
.LBB17_20:                              ;   in Loop: Header=BB17_14 Depth=1
	s_or_b32 exec_lo, exec_lo, s16
.LBB17_21:                              ;   in Loop: Header=BB17_14 Depth=1
	s_delay_alu instid0(SALU_CYCLE_1)
	s_or_b32 exec_lo, exec_lo, s15
.LBB17_22:                              ;   in Loop: Header=BB17_14 Depth=1
	s_delay_alu instid0(SALU_CYCLE_1)
	s_or_b32 exec_lo, exec_lo, s14
	s_and_saveexec_b32 s14, s1
	s_cbranch_execz .LBB17_24
; %bb.23:                               ;   in Loop: Header=BB17_14 Depth=1
	v_mov_b32_e32 v5, s41
	ds_store_b32 v31, v5 offset:9728
.LBB17_24:                              ;   in Loop: Header=BB17_14 Depth=1
	s_or_b32 exec_lo, exec_lo, s14
	v_mov_b32_e32 v35, s41
	s_and_not1_b32 vcc_lo, exec_lo, s17
	s_waitcnt lgkmcnt(0)
	s_barrier
	buffer_gl0_inv
	s_cbranch_vccnz .LBB17_60
; %bb.25:                               ;   in Loop: Header=BB17_14 Depth=1
	v_cmp_ne_u32_e64 s14, 0, v33
	v_mov_b32_e32 v35, s41
	s_mov_b32 s57, s51
	s_branch .LBB17_27
.LBB17_26:                              ;   in Loop: Header=BB17_27 Depth=2
	s_or_b32 exec_lo, exec_lo, s16
	s_add_i32 s57, s57, 16
	s_delay_alu instid0(SALU_CYCLE_1)
	s_cmp_lt_i32 s57, s50
	s_cbranch_scc0 .LBB17_60
.LBB17_27:                              ;   Parent Loop BB17_14 Depth=1
                                        ; =>  This Loop Header: Depth=2
                                        ;       Child Loop BB17_40 Depth 3
                                        ;         Child Loop BB17_49 Depth 4
                                        ;         Child Loop BB17_54 Depth 4
	v_add_nc_u32_e32 v5, s57, v14
	s_waitcnt_vscnt null, 0x0
	s_barrier
	buffer_gl0_inv
	v_cmp_gt_i32_e64 s15, s50, v5
	s_delay_alu instid0(VALU_DEP_1)
	s_and_saveexec_b32 s16, s15
	s_cbranch_execz .LBB17_31
; %bb.28:                               ;   in Loop: Header=BB17_27 Depth=2
	v_mov_b32_e32 v6, 0
	s_and_saveexec_b32 s58, s10
	s_cbranch_execz .LBB17_30
; %bb.29:                               ;   in Loop: Header=BB17_27 Depth=2
	v_mad_u64_u32 v[6:7], null, v5, s42, v[2:3]
	s_delay_alu instid0(VALU_DEP_1) | instskip(NEXT) | instid1(VALU_DEP_1)
	v_mad_u64_u32 v[7:8], null, v6, s42, v[1:2]
	v_ashrrev_i32_e32 v8, 31, v7
	s_delay_alu instid0(VALU_DEP_1) | instskip(NEXT) | instid1(VALU_DEP_1)
	v_lshlrev_b64 v[6:7], 2, v[7:8]
	v_add_co_u32 v6, vcc_lo, s26, v6
	s_delay_alu instid0(VALU_DEP_2)
	v_add_co_ci_u32_e32 v7, vcc_lo, s27, v7, vcc_lo
	global_load_b32 v6, v[6:7], off
.LBB17_30:                              ;   in Loop: Header=BB17_27 Depth=2
	s_or_b32 exec_lo, exec_lo, s58
	s_waitcnt vmcnt(0)
	ds_store_b32 v17, v6
.LBB17_31:                              ;   in Loop: Header=BB17_27 Depth=2
	s_or_b32 exec_lo, exec_lo, s16
	v_mov_b32_e32 v7, 0
	s_waitcnt lgkmcnt(0)
	s_barrier
	buffer_gl0_inv
	s_and_saveexec_b32 s58, s15
	s_cbranch_execz .LBB17_57
; %bb.32:                               ;   in Loop: Header=BB17_27 Depth=2
	v_ashrrev_i32_e32 v6, 31, v5
	s_delay_alu instid0(VALU_DEP_1) | instskip(NEXT) | instid1(VALU_DEP_1)
	v_lshlrev_b64 v[6:7], 2, v[5:6]
	v_add_co_u32 v8, vcc_lo, s24, v6
	s_delay_alu instid0(VALU_DEP_2) | instskip(SKIP_4) | instid1(VALU_DEP_1)
	v_add_co_ci_u32_e32 v9, vcc_lo, s25, v7, vcc_lo
	s_and_b32 vcc_lo, exec_lo, s14
	global_load_b32 v8, v[8:9], off
	s_waitcnt vmcnt(0)
	v_subrev_nc_u32_e32 v8, s36, v8
	v_ashrrev_i32_e32 v9, 31, v8
	s_cbranch_vccz .LBB17_59
; %bb.33:                               ;   in Loop: Header=BB17_27 Depth=2
	v_add_co_u32 v6, vcc_lo, s34, v6
	v_add_co_ci_u32_e32 v7, vcc_lo, s35, v7, vcc_lo
	global_load_b32 v7, v[6:7], off
	s_cbranch_execnz .LBB17_35
.LBB17_34:                              ;   in Loop: Header=BB17_27 Depth=2
	s_waitcnt vmcnt(0)
	s_delay_alu instid0(VALU_DEP_1) | instskip(NEXT) | instid1(VALU_DEP_1)
	v_lshlrev_b64 v[6:7], 2, v[8:9]
	v_add_co_u32 v6, vcc_lo, s28, v6
	s_delay_alu instid0(VALU_DEP_2)
	v_add_co_ci_u32_e32 v7, vcc_lo, s29, v7, vcc_lo
	global_load_b32 v6, v[6:7], off
	s_waitcnt vmcnt(0)
	v_subrev_nc_u32_e32 v7, s37, v6
.LBB17_35:                              ;   in Loop: Header=BB17_27 Depth=2
	v_lshlrev_b64 v[8:9], 2, v[8:9]
	s_mov_b32 s59, exec_lo
	s_delay_alu instid0(VALU_DEP_1) | instskip(NEXT) | instid1(VALU_DEP_2)
	v_add_co_u32 v8, vcc_lo, s53, v8
	v_add_co_ci_u32_e32 v9, vcc_lo, s55, v9, vcc_lo
	global_load_b32 v6, v[8:9], off
	s_waitcnt vmcnt(0)
	v_subrev_nc_u32_e32 v6, s37, v6
	s_delay_alu instid0(VALU_DEP_1)
	v_cmpx_lt_i32_e64 v7, v6
	s_cbranch_execz .LBB17_56
; %bb.36:                               ;   in Loop: Header=BB17_27 Depth=2
	v_mad_u64_u32 v[8:9], null, s42, v7, v[1:2]
	v_mad_u64_u32 v[9:10], null, s54, v7, v[1:2]
	v_mov_b32_e32 v37, v7
	s_mov_b32 s60, 0
	s_delay_alu instid0(VALU_DEP_3)
	v_mul_lo_u32 v36, s42, v8
	s_branch .LBB17_40
.LBB17_37:                              ;   in Loop: Header=BB17_40 Depth=3
	v_lshlrev_b32_e32 v8, 4, v8
	s_delay_alu instid0(VALU_DEP_2) | instskip(NEXT) | instid1(VALU_DEP_2)
	v_mul_f32_e32 v10, v12, v38
	v_or3_b32 v8, v8, v16, v1
	s_delay_alu instid0(VALU_DEP_1)
	v_lshlrev_b32_e32 v8, 2, v8
	ds_add_f32 v8, v10
.LBB17_38:                              ;   in Loop: Header=BB17_40 Depth=3
	s_or_b32 exec_lo, exec_lo, s63
	s_delay_alu instid0(SALU_CYCLE_1)
	s_or_b32 s61, s61, exec_lo
.LBB17_39:                              ;   in Loop: Header=BB17_40 Depth=3
	s_or_b32 exec_lo, exec_lo, s62
	v_add_nc_u32_e32 v7, 1, v7
	s_xor_b32 s16, s61, -1
	v_add_nc_u32_e32 v36, s54, v36
	v_add_nc_u32_e32 v9, s54, v9
	s_delay_alu instid0(VALU_DEP_3) | instskip(SKIP_1) | instid1(SALU_CYCLE_1)
	v_cmp_ge_i32_e32 vcc_lo, v7, v6
	s_or_b32 s16, s16, vcc_lo
	s_and_b32 s16, exec_lo, s16
	s_delay_alu instid0(SALU_CYCLE_1) | instskip(NEXT) | instid1(SALU_CYCLE_1)
	s_or_b32 s60, s16, s60
	s_and_not1_b32 exec_lo, exec_lo, s60
	s_cbranch_execz .LBB17_55
.LBB17_40:                              ;   Parent Loop BB17_14 Depth=1
                                        ;     Parent Loop BB17_27 Depth=2
                                        ; =>    This Loop Header: Depth=3
                                        ;         Child Loop BB17_49 Depth 4
                                        ;         Child Loop BB17_54 Depth 4
	v_ashrrev_i32_e32 v8, 31, v7
                                        ; implicit-def: $sgpr61
	s_delay_alu instid0(VALU_DEP_1) | instskip(NEXT) | instid1(VALU_DEP_1)
	v_lshlrev_b64 v[10:11], 2, v[7:8]
	v_add_co_u32 v10, vcc_lo, s30, v10
	s_delay_alu instid0(VALU_DEP_2) | instskip(SKIP_3) | instid1(VALU_DEP_1)
	v_add_co_ci_u32_e32 v11, vcc_lo, s31, v11, vcc_lo
	global_load_b32 v8, v[10:11], off
	s_waitcnt vmcnt(0)
	v_subrev_nc_u32_e32 v8, s37, v8
	v_cmp_lt_i32_e64 s16, v8, v33
	v_cmp_ge_i32_e32 vcc_lo, v8, v34
	s_delay_alu instid0(VALU_DEP_2) | instskip(NEXT) | instid1(SALU_CYCLE_1)
	s_or_b32 s16, s16, vcc_lo
	s_and_saveexec_b32 s62, s16
	s_delay_alu instid0(SALU_CYCLE_1)
	s_xor_b32 s16, exec_lo, s62
	s_cbranch_execz .LBB17_44
; %bb.41:                               ;   in Loop: Header=BB17_40 Depth=3
	s_mov_b32 s61, -1
	s_and_saveexec_b32 s62, vcc_lo
; %bb.42:                               ;   in Loop: Header=BB17_40 Depth=3
	v_min_i32_e32 v35, v8, v35
	v_mov_b32_e32 v37, v7
	s_xor_b32 s61, exec_lo, -1
; %bb.43:                               ;   in Loop: Header=BB17_40 Depth=3
	s_or_b32 exec_lo, exec_lo, s62
	s_delay_alu instid0(SALU_CYCLE_1)
	s_and_b32 s61, s61, exec_lo
                                        ; implicit-def: $vgpr8
.LBB17_44:                              ;   in Loop: Header=BB17_40 Depth=3
	s_and_not1_saveexec_b32 s62, s16
	s_cbranch_execz .LBB17_39
; %bb.45:                               ;   in Loop: Header=BB17_40 Depth=3
	v_sub_nc_u32_e32 v8, v8, v33
	s_delay_alu instid0(VALU_DEP_1)
	v_lshlrev_b32_e32 v10, 2, v8
	ds_store_b32 v10, v32 offset:9216
	s_and_saveexec_b32 s63, s10
	s_cbranch_execz .LBB17_38
; %bb.46:                               ;   in Loop: Header=BB17_40 Depth=3
	v_cndmask_b32_e64 v10, 0, 1, s52
	s_and_not1_b32 vcc_lo, exec_lo, s40
	s_delay_alu instid0(VALU_DEP_1)
	v_cmp_ne_u32_e64 s16, 1, v10
	s_cbranch_vccnz .LBB17_51
; %bb.47:                               ;   in Loop: Header=BB17_40 Depth=3
	v_mov_b32_e32 v38, 0
	s_delay_alu instid0(VALU_DEP_2)
	s_and_b32 vcc_lo, exec_lo, s16
	s_cbranch_vccnz .LBB17_50
; %bb.48:                               ;   in Loop: Header=BB17_40 Depth=3
	v_mov_b32_e32 v10, v36
	v_mov_b32_e32 v39, v0
	s_mov_b32 s16, s42
.LBB17_49:                              ;   Parent Loop BB17_14 Depth=1
                                        ;     Parent Loop BB17_27 Depth=2
                                        ;       Parent Loop BB17_40 Depth=3
                                        ; =>      This Inner Loop Header: Depth=4
	s_delay_alu instid0(VALU_DEP_2) | instskip(SKIP_1) | instid1(SALU_CYCLE_1)
	v_ashrrev_i32_e32 v11, 31, v10
	s_add_i32 s16, s16, -1
	s_cmp_lg_u32 s16, 0
	s_delay_alu instid0(VALU_DEP_1) | instskip(SKIP_1) | instid1(VALU_DEP_2)
	v_lshlrev_b64 v[40:41], 2, v[10:11]
	v_add_nc_u32_e32 v10, 1, v10
	v_add_co_u32 v40, vcc_lo, s48, v40
	s_delay_alu instid0(VALU_DEP_3)
	v_add_co_ci_u32_e32 v41, vcc_lo, s49, v41, vcc_lo
	global_load_b32 v11, v[40:41], off
	ds_load_b32 v40, v39
	v_add_nc_u32_e32 v39, 16, v39
	s_waitcnt vmcnt(0) lgkmcnt(0)
	v_fmac_f32_e32 v38, v40, v11
	s_cbranch_scc1 .LBB17_49
.LBB17_50:                              ;   in Loop: Header=BB17_40 Depth=3
	s_cbranch_execnz .LBB17_37
	s_branch .LBB17_52
.LBB17_51:                              ;   in Loop: Header=BB17_40 Depth=3
                                        ; implicit-def: $vgpr38
.LBB17_52:                              ;   in Loop: Header=BB17_40 Depth=3
	v_mov_b32_e32 v38, 0
	s_and_not1_b32 vcc_lo, exec_lo, s52
	s_cbranch_vccnz .LBB17_37
; %bb.53:                               ;   in Loop: Header=BB17_40 Depth=3
	v_dual_mov_b32 v39, v28 :: v_dual_mov_b32 v10, v9
	s_mov_b32 s16, s42
	.p2align	6
.LBB17_54:                              ;   Parent Loop BB17_14 Depth=1
                                        ;     Parent Loop BB17_27 Depth=2
                                        ;       Parent Loop BB17_40 Depth=3
                                        ; =>      This Inner Loop Header: Depth=4
	s_delay_alu instid0(VALU_DEP_1) | instskip(SKIP_1) | instid1(SALU_CYCLE_1)
	v_ashrrev_i32_e32 v11, 31, v10
	s_add_i32 s16, s16, -1
	s_cmp_eq_u32 s16, 0
	s_delay_alu instid0(VALU_DEP_1) | instskip(SKIP_1) | instid1(VALU_DEP_2)
	v_lshlrev_b64 v[40:41], 2, v[10:11]
	v_add_nc_u32_e32 v10, s42, v10
	v_add_co_u32 v40, vcc_lo, s48, v40
	s_delay_alu instid0(VALU_DEP_3)
	v_add_co_ci_u32_e32 v41, vcc_lo, s49, v41, vcc_lo
	global_load_b32 v11, v[40:41], off
	ds_load_b32 v40, v39
	v_add_nc_u32_e32 v39, 4, v39
	s_waitcnt vmcnt(0) lgkmcnt(0)
	v_fmac_f32_e32 v38, v40, v11
	s_cbranch_scc0 .LBB17_54
	s_branch .LBB17_37
.LBB17_55:                              ;   in Loop: Header=BB17_27 Depth=2
	s_or_b32 exec_lo, exec_lo, s60
	v_mov_b32_e32 v7, v37
.LBB17_56:                              ;   in Loop: Header=BB17_27 Depth=2
	s_or_b32 exec_lo, exec_lo, s59
.LBB17_57:                              ;   in Loop: Header=BB17_27 Depth=2
	s_delay_alu instid0(SALU_CYCLE_1)
	s_or_b32 exec_lo, exec_lo, s58
	s_waitcnt lgkmcnt(0)
	s_barrier
	buffer_gl0_inv
	s_and_saveexec_b32 s16, s15
	s_cbranch_execz .LBB17_26
; %bb.58:                               ;   in Loop: Header=BB17_27 Depth=2
	v_ashrrev_i32_e32 v6, 31, v5
	s_delay_alu instid0(VALU_DEP_1) | instskip(NEXT) | instid1(VALU_DEP_1)
	v_lshlrev_b64 v[5:6], 2, v[5:6]
	v_add_co_u32 v5, vcc_lo, s34, v5
	s_delay_alu instid0(VALU_DEP_2)
	v_add_co_ci_u32_e32 v6, vcc_lo, s35, v6, vcc_lo
	global_store_b32 v[5:6], v7, off
	s_branch .LBB17_26
.LBB17_59:                              ;   in Loop: Header=BB17_27 Depth=2
                                        ; implicit-def: $vgpr7
	s_branch .LBB17_34
.LBB17_60:                              ;   in Loop: Header=BB17_14 Depth=1
	s_and_not1_b32 vcc_lo, exec_lo, s33
	s_cbranch_vccnz .LBB17_72
; %bb.61:                               ;   in Loop: Header=BB17_14 Depth=1
	s_load_b64 s[14:15], s[22:23], 0x0
	s_mov_b32 s16, exec_lo
	s_waitcnt lgkmcnt(0)
	v_add_nc_u32_e32 v5, s14, v18
	s_sub_i32 s57, s15, s39
	s_delay_alu instid0(VALU_DEP_1) | instid1(SALU_CYCLE_1)
	v_cmpx_gt_i32_e64 s57, v5
	s_cbranch_execz .LBB17_71
; %bb.62:                               ;   in Loop: Header=BB17_14 Depth=1
	v_mad_u64_u32 v[6:7], null, s42, v5, v[3:4]
	s_mov_b32 s58, 0
	s_delay_alu instid0(VALU_DEP_1)
	v_mad_u64_u32 v[7:8], null, s42, v6, v[4:5]
	s_branch .LBB17_65
.LBB17_63:                              ;   in Loop: Header=BB17_65 Depth=2
	s_or_b32 exec_lo, exec_lo, s59
	s_delay_alu instid0(SALU_CYCLE_1)
	s_or_b32 s14, s14, exec_lo
.LBB17_64:                              ;   in Loop: Header=BB17_65 Depth=2
	s_or_b32 exec_lo, exec_lo, s15
	v_add_nc_u32_e32 v5, 16, v5
	s_xor_b32 s14, s14, -1
	v_add_nc_u32_e32 v7, s56, v7
	s_delay_alu instid0(VALU_DEP_2) | instskip(SKIP_1) | instid1(SALU_CYCLE_1)
	v_cmp_le_i32_e32 vcc_lo, s57, v5
	s_or_b32 s14, vcc_lo, s14
	s_and_b32 s14, exec_lo, s14
	s_delay_alu instid0(SALU_CYCLE_1) | instskip(NEXT) | instid1(SALU_CYCLE_1)
	s_or_b32 s58, s14, s58
	s_and_not1_b32 exec_lo, exec_lo, s58
	s_cbranch_execz .LBB17_70
.LBB17_65:                              ;   Parent Loop BB17_14 Depth=1
                                        ; =>  This Inner Loop Header: Depth=2
	v_ashrrev_i32_e32 v6, 31, v5
	s_delay_alu instid0(VALU_DEP_1) | instskip(NEXT) | instid1(VALU_DEP_1)
	v_lshlrev_b64 v[8:9], 2, v[5:6]
	v_add_co_u32 v8, vcc_lo, s18, v8
	s_delay_alu instid0(VALU_DEP_2) | instskip(SKIP_3) | instid1(VALU_DEP_1)
	v_add_co_ci_u32_e32 v9, vcc_lo, s19, v9, vcc_lo
	global_load_b32 v6, v[8:9], off
	s_waitcnt vmcnt(0)
	v_subrev_nc_u32_e32 v6, s39, v6
	v_cmp_lt_i32_e64 s14, v6, v33
	v_cmp_ge_i32_e64 s15, v6, v34
	v_cmp_lt_i32_e32 vcc_lo, v6, v34
	s_delay_alu instid0(VALU_DEP_2) | instskip(NEXT) | instid1(SALU_CYCLE_1)
	s_or_b32 s15, s14, s15
                                        ; implicit-def: $sgpr14
	s_and_saveexec_b32 s59, s15
	s_delay_alu instid0(SALU_CYCLE_1)
	s_xor_b32 s15, exec_lo, s59
; %bb.66:                               ;   in Loop: Header=BB17_65 Depth=2
	v_min_i32_e32 v6, v6, v35
	s_and_b32 s14, vcc_lo, exec_lo
	s_delay_alu instid0(VALU_DEP_1)
	v_cndmask_b32_e32 v35, v6, v35, vcc_lo
                                        ; implicit-def: $vgpr6
; %bb.67:                               ;   in Loop: Header=BB17_65 Depth=2
	s_and_not1_saveexec_b32 s15, s15
	s_cbranch_execz .LBB17_64
; %bb.68:                               ;   in Loop: Header=BB17_65 Depth=2
	v_sub_nc_u32_e32 v6, v6, v33
	s_delay_alu instid0(VALU_DEP_1)
	v_lshlrev_b32_e32 v8, 2, v6
	ds_store_b32 v8, v32 offset:9216
	s_and_saveexec_b32 s59, s10
	s_cbranch_execz .LBB17_63
; %bb.69:                               ;   in Loop: Header=BB17_65 Depth=2
	v_ashrrev_i32_e32 v8, 31, v7
	v_lshlrev_b32_e32 v6, 4, v6
	s_delay_alu instid0(VALU_DEP_2) | instskip(NEXT) | instid1(VALU_DEP_2)
	v_lshlrev_b64 v[8:9], 2, v[7:8]
	v_or3_b32 v6, v6, v16, v1
	s_delay_alu instid0(VALU_DEP_1) | instskip(NEXT) | instid1(VALU_DEP_3)
	v_lshlrev_b32_e32 v6, 2, v6
	v_add_co_u32 v8, vcc_lo, s20, v8
	s_delay_alu instid0(VALU_DEP_4)
	v_add_co_ci_u32_e32 v9, vcc_lo, s21, v9, vcc_lo
	global_load_b32 v8, v[8:9], off
	s_waitcnt vmcnt(0)
	v_mul_f32_e32 v8, v13, v8
	ds_add_f32 v6, v8
	s_branch .LBB17_63
.LBB17_70:                              ;   in Loop: Header=BB17_14 Depth=1
	s_or_b32 exec_lo, exec_lo, s58
.LBB17_71:                              ;   in Loop: Header=BB17_14 Depth=1
	s_delay_alu instid0(SALU_CYCLE_1)
	s_or_b32 exec_lo, exec_lo, s16
.LBB17_72:                              ;   in Loop: Header=BB17_14 Depth=1
	s_and_saveexec_b32 s14, s2
	s_cbranch_execz .LBB17_77
; %bb.73:                               ;   in Loop: Header=BB17_14 Depth=1
	s_mov_b32 s16, exec_lo
	s_brev_b32 s15, -2
.LBB17_74:                              ;   Parent Loop BB17_14 Depth=1
                                        ; =>  This Inner Loop Header: Depth=2
	s_ctz_i32_b32 s57, s16
	s_delay_alu instid0(SALU_CYCLE_1) | instskip(SKIP_1) | instid1(SALU_CYCLE_1)
	v_readlane_b32 s58, v35, s57
	s_lshl_b32 s57, 1, s57
	s_and_not1_b32 s16, s16, s57
	s_delay_alu instid0(VALU_DEP_1)
	s_min_i32 s15, s15, s58
	s_cmp_lg_u32 s16, 0
	s_cbranch_scc1 .LBB17_74
; %bb.75:                               ;   in Loop: Header=BB17_14 Depth=1
	v_mbcnt_lo_u32_b32 v5, exec_lo, 0
	s_mov_b32 s16, exec_lo
	s_delay_alu instid0(VALU_DEP_1)
	v_cmpx_eq_u32_e32 0, v5
	s_xor_b32 s16, exec_lo, s16
	s_cbranch_execz .LBB17_77
; %bb.76:                               ;   in Loop: Header=BB17_14 Depth=1
	v_mov_b32_e32 v5, s15
	ds_min_i32 v31, v5 offset:9728
.LBB17_77:                              ;   in Loop: Header=BB17_14 Depth=1
	s_or_b32 exec_lo, exec_lo, s14
	s_waitcnt lgkmcnt(0)
	s_waitcnt_vscnt null, 0x0
	s_barrier
	buffer_gl0_inv
	ds_load_b32 v5, v20
	s_waitcnt lgkmcnt(0)
	s_barrier
	buffer_gl0_inv
	s_and_saveexec_b32 s14, s3
	s_cbranch_execz .LBB17_79
; %bb.78:                               ;   in Loop: Header=BB17_14 Depth=1
	ds_load_b32 v6, v21
	s_waitcnt lgkmcnt(0)
	v_add_nc_u32_e32 v5, v6, v5
.LBB17_79:                              ;   in Loop: Header=BB17_14 Depth=1
	s_or_b32 exec_lo, exec_lo, s14
	s_barrier
	buffer_gl0_inv
	ds_store_b32 v20, v5
	s_waitcnt lgkmcnt(0)
	s_barrier
	buffer_gl0_inv
	s_and_saveexec_b32 s14, s4
	s_cbranch_execz .LBB17_81
; %bb.80:                               ;   in Loop: Header=BB17_14 Depth=1
	ds_load_b32 v6, v22
	s_waitcnt lgkmcnt(0)
	v_add_nc_u32_e32 v5, v6, v5
.LBB17_81:                              ;   in Loop: Header=BB17_14 Depth=1
	s_or_b32 exec_lo, exec_lo, s14
	s_barrier
	buffer_gl0_inv
	ds_store_b32 v20, v5
	s_waitcnt lgkmcnt(0)
	s_barrier
	buffer_gl0_inv
	s_and_saveexec_b32 s14, s5
	s_cbranch_execz .LBB17_83
; %bb.82:                               ;   in Loop: Header=BB17_14 Depth=1
	ds_load_b32 v6, v23
	s_waitcnt lgkmcnt(0)
	v_add_nc_u32_e32 v5, v6, v5
.LBB17_83:                              ;   in Loop: Header=BB17_14 Depth=1
	s_or_b32 exec_lo, exec_lo, s14
	s_barrier
	buffer_gl0_inv
	ds_store_b32 v20, v5
	s_waitcnt lgkmcnt(0)
	s_barrier
	buffer_gl0_inv
	s_and_saveexec_b32 s14, s6
	s_cbranch_execz .LBB17_85
; %bb.84:                               ;   in Loop: Header=BB17_14 Depth=1
	ds_load_b32 v6, v24
	s_waitcnt lgkmcnt(0)
	v_add_nc_u32_e32 v5, v6, v5
.LBB17_85:                              ;   in Loop: Header=BB17_14 Depth=1
	s_or_b32 exec_lo, exec_lo, s14
	s_barrier
	buffer_gl0_inv
	ds_store_b32 v20, v5
	s_waitcnt lgkmcnt(0)
	s_barrier
	buffer_gl0_inv
	s_and_saveexec_b32 s14, s7
	s_cbranch_execz .LBB17_87
; %bb.86:                               ;   in Loop: Header=BB17_14 Depth=1
	ds_load_b32 v6, v25
	s_waitcnt lgkmcnt(0)
	v_add_nc_u32_e32 v5, v6, v5
.LBB17_87:                              ;   in Loop: Header=BB17_14 Depth=1
	s_or_b32 exec_lo, exec_lo, s14
	s_barrier
	buffer_gl0_inv
	ds_store_b32 v20, v5
	s_waitcnt lgkmcnt(0)
	s_barrier
	buffer_gl0_inv
	s_and_saveexec_b32 s14, s8
	s_cbranch_execz .LBB17_89
; %bb.88:                               ;   in Loop: Header=BB17_14 Depth=1
	ds_load_b32 v6, v26
	s_waitcnt lgkmcnt(0)
	v_add_nc_u32_e32 v5, v6, v5
.LBB17_89:                              ;   in Loop: Header=BB17_14 Depth=1
	s_or_b32 exec_lo, exec_lo, s14
	s_barrier
	buffer_gl0_inv
	ds_store_b32 v20, v5
	s_waitcnt lgkmcnt(0)
	s_barrier
	buffer_gl0_inv
	s_and_saveexec_b32 s14, s9
	s_cbranch_execz .LBB17_91
; %bb.90:                               ;   in Loop: Header=BB17_14 Depth=1
	ds_load_b32 v6, v27
	s_waitcnt lgkmcnt(0)
	v_add_nc_u32_e32 v5, v6, v5
.LBB17_91:                              ;   in Loop: Header=BB17_14 Depth=1
	s_or_b32 exec_lo, exec_lo, s14
	s_barrier
	buffer_gl0_inv
	ds_store_b32 v20, v5
	s_waitcnt lgkmcnt(0)
	s_barrier
	buffer_gl0_inv
	ds_load_b32 v7, v31 offset:9724
	v_mov_b32_e32 v6, 0
	s_and_saveexec_b32 s14, s43
	s_cbranch_execz .LBB17_93
; %bb.92:                               ;   in Loop: Header=BB17_14 Depth=1
	ds_load_b32 v6, v21
.LBB17_93:                              ;   in Loop: Header=BB17_14 Depth=1
	s_or_b32 exec_lo, exec_lo, s14
	s_waitcnt lgkmcnt(0)
	v_cmp_eq_u32_e32 vcc_lo, v5, v6
	s_barrier
	buffer_gl0_inv
	s_and_b32 s15, s43, vcc_lo
	s_delay_alu instid0(SALU_CYCLE_1)
	s_and_saveexec_b32 s14, s15
	s_cbranch_execz .LBB17_95
; %bb.94:                               ;   in Loop: Header=BB17_14 Depth=1
	ds_store_b32 v20, v31
.LBB17_95:                              ;   in Loop: Header=BB17_14 Depth=1
	s_or_b32 exec_lo, exec_lo, s14
	v_dual_mov_b32 v11, v15 :: v_dual_add_nc_u32 v8, -1, v30
	v_dual_mov_b32 v10, v29 :: v_dual_add_nc_u32 v9, s38, v33
	v_mov_b32_e32 v33, v14
	s_mov_b32 s14, 0
	s_waitcnt lgkmcnt(0)
	s_barrier
	buffer_gl0_inv
	s_set_inst_prefetch_distance 0x1
	s_branch .LBB17_97
	.p2align	6
.LBB17_96:                              ;   in Loop: Header=BB17_97 Depth=2
	s_or_b32 exec_lo, exec_lo, s15
	v_add_nc_u32_e32 v5, 16, v33
	v_cmp_lt_u32_e32 vcc_lo, 0x6f, v33
	v_add_nc_u32_e32 v11, 0x400, v11
	s_delay_alu instid0(VALU_DEP_3) | instskip(SKIP_1) | instid1(SALU_CYCLE_1)
	v_dual_mov_b32 v33, v5 :: v_dual_add_nc_u32 v10, 64, v10
	s_or_b32 s14, vcc_lo, s14
	s_and_not1_b32 exec_lo, exec_lo, s14
	s_cbranch_execz .LBB17_13
.LBB17_97:                              ;   Parent Loop BB17_14 Depth=1
                                        ; =>  This Inner Loop Header: Depth=2
	ds_load_b32 v5, v10
	s_mov_b32 s15, exec_lo
	s_waitcnt lgkmcnt(0)
	v_cmpx_ne_u32_e32 0, v5
	s_cbranch_execz .LBB17_96
; %bb.98:                               ;   in Loop: Header=BB17_97 Depth=2
	v_add_nc_u32_e32 v5, v8, v5
	s_delay_alu instid0(VALU_DEP_1) | instskip(NEXT) | instid1(VALU_DEP_1)
	v_ashrrev_i32_e32 v6, 31, v5
	v_lshlrev_b64 v[34:35], 2, v[5:6]
	v_add_nc_u32_e32 v6, v9, v33
	s_delay_alu instid0(VALU_DEP_2) | instskip(NEXT) | instid1(VALU_DEP_3)
	v_add_co_u32 v34, vcc_lo, s44, v34
	v_add_co_ci_u32_e32 v35, vcc_lo, s45, v35, vcc_lo
	global_store_b32 v[34:35], v6, off
	s_and_b32 exec_lo, exec_lo, s10
	s_cbranch_execz .LBB17_96
; %bb.99:                               ;   in Loop: Header=BB17_97 Depth=2
	v_mad_u64_u32 v[34:35], null, v5, s42, v[3:4]
	s_delay_alu instid0(VALU_DEP_1) | instskip(SKIP_2) | instid1(VALU_DEP_1)
	v_mad_u64_u32 v[5:6], null, v34, s42, v[4:5]
	ds_load_b32 v34, v11
	v_ashrrev_i32_e32 v6, 31, v5
	v_lshlrev_b64 v[5:6], 2, v[5:6]
	s_delay_alu instid0(VALU_DEP_1) | instskip(NEXT) | instid1(VALU_DEP_2)
	v_add_co_u32 v5, vcc_lo, s46, v5
	v_add_co_ci_u32_e32 v6, vcc_lo, s47, v6, vcc_lo
	s_waitcnt lgkmcnt(0)
	global_store_b32 v[5:6], v34, off
	s_branch .LBB17_96
.LBB17_100:
	s_endpgm
	.section	.rodata,"a",@progbits
	.p2align	6, 0x0
	.amdhsa_kernel _ZN9rocsparseL38bsrgemm_block_per_row_atomic_multipassILj256ELj128ELj4EiifEEv20rocsparse_direction_T3_S2_PKS2_S4_NS_24const_host_device_scalarIT4_EEPKT2_S4_PKS6_SA_S4_SC_S7_SA_S4_SC_SA_PS2_PS6_PS8_21rocsparse_index_base_SG_SG_SG_bbb
		.amdhsa_group_segment_fixed_size 9732
		.amdhsa_private_segment_fixed_size 0
		.amdhsa_kernarg_size 172
		.amdhsa_user_sgpr_count 15
		.amdhsa_user_sgpr_dispatch_ptr 0
		.amdhsa_user_sgpr_queue_ptr 0
		.amdhsa_user_sgpr_kernarg_segment_ptr 1
		.amdhsa_user_sgpr_dispatch_id 0
		.amdhsa_user_sgpr_private_segment_size 0
		.amdhsa_wavefront_size32 1
		.amdhsa_uses_dynamic_stack 0
		.amdhsa_enable_private_segment 0
		.amdhsa_system_sgpr_workgroup_id_x 1
		.amdhsa_system_sgpr_workgroup_id_y 0
		.amdhsa_system_sgpr_workgroup_id_z 0
		.amdhsa_system_sgpr_workgroup_info 0
		.amdhsa_system_vgpr_workitem_id 0
		.amdhsa_next_free_vgpr 42
		.amdhsa_next_free_sgpr 64
		.amdhsa_reserve_vcc 1
		.amdhsa_float_round_mode_32 0
		.amdhsa_float_round_mode_16_64 0
		.amdhsa_float_denorm_mode_32 3
		.amdhsa_float_denorm_mode_16_64 3
		.amdhsa_dx10_clamp 1
		.amdhsa_ieee_mode 1
		.amdhsa_fp16_overflow 0
		.amdhsa_workgroup_processor_mode 1
		.amdhsa_memory_ordered 1
		.amdhsa_forward_progress 0
		.amdhsa_shared_vgpr_count 0
		.amdhsa_exception_fp_ieee_invalid_op 0
		.amdhsa_exception_fp_denorm_src 0
		.amdhsa_exception_fp_ieee_div_zero 0
		.amdhsa_exception_fp_ieee_overflow 0
		.amdhsa_exception_fp_ieee_underflow 0
		.amdhsa_exception_fp_ieee_inexact 0
		.amdhsa_exception_int_div_zero 0
	.end_amdhsa_kernel
	.section	.text._ZN9rocsparseL38bsrgemm_block_per_row_atomic_multipassILj256ELj128ELj4EiifEEv20rocsparse_direction_T3_S2_PKS2_S4_NS_24const_host_device_scalarIT4_EEPKT2_S4_PKS6_SA_S4_SC_S7_SA_S4_SC_SA_PS2_PS6_PS8_21rocsparse_index_base_SG_SG_SG_bbb,"axG",@progbits,_ZN9rocsparseL38bsrgemm_block_per_row_atomic_multipassILj256ELj128ELj4EiifEEv20rocsparse_direction_T3_S2_PKS2_S4_NS_24const_host_device_scalarIT4_EEPKT2_S4_PKS6_SA_S4_SC_S7_SA_S4_SC_SA_PS2_PS6_PS8_21rocsparse_index_base_SG_SG_SG_bbb,comdat
.Lfunc_end17:
	.size	_ZN9rocsparseL38bsrgemm_block_per_row_atomic_multipassILj256ELj128ELj4EiifEEv20rocsparse_direction_T3_S2_PKS2_S4_NS_24const_host_device_scalarIT4_EEPKT2_S4_PKS6_SA_S4_SC_S7_SA_S4_SC_SA_PS2_PS6_PS8_21rocsparse_index_base_SG_SG_SG_bbb, .Lfunc_end17-_ZN9rocsparseL38bsrgemm_block_per_row_atomic_multipassILj256ELj128ELj4EiifEEv20rocsparse_direction_T3_S2_PKS2_S4_NS_24const_host_device_scalarIT4_EEPKT2_S4_PKS6_SA_S4_SC_S7_SA_S4_SC_SA_PS2_PS6_PS8_21rocsparse_index_base_SG_SG_SG_bbb
                                        ; -- End function
	.section	.AMDGPU.csdata,"",@progbits
; Kernel info:
; codeLenInByte = 3500
; NumSgprs: 66
; NumVgprs: 42
; ScratchSize: 0
; MemoryBound: 0
; FloatMode: 240
; IeeeMode: 1
; LDSByteSize: 9732 bytes/workgroup (compile time only)
; SGPRBlocks: 8
; VGPRBlocks: 5
; NumSGPRsForWavesPerEU: 66
; NumVGPRsForWavesPerEU: 42
; Occupancy: 16
; WaveLimiterHint : 1
; COMPUTE_PGM_RSRC2:SCRATCH_EN: 0
; COMPUTE_PGM_RSRC2:USER_SGPR: 15
; COMPUTE_PGM_RSRC2:TRAP_HANDLER: 0
; COMPUTE_PGM_RSRC2:TGID_X_EN: 1
; COMPUTE_PGM_RSRC2:TGID_Y_EN: 0
; COMPUTE_PGM_RSRC2:TGID_Z_EN: 0
; COMPUTE_PGM_RSRC2:TIDIG_COMP_CNT: 0
	.section	.text._ZN9rocsparseL23bsrgemm_fill_wf_per_rowILj256ELj64ELj8ELj137ELj8EiifEEv20rocsparse_direction_T5_S2_S2_PKS2_S4_NS_24const_host_device_scalarIT6_EEPKT4_S4_PKS6_SA_S4_SC_S7_SA_S4_SC_SA_PS2_PS6_21rocsparse_index_base_SF_SF_SF_bbb,"axG",@progbits,_ZN9rocsparseL23bsrgemm_fill_wf_per_rowILj256ELj64ELj8ELj137ELj8EiifEEv20rocsparse_direction_T5_S2_S2_PKS2_S4_NS_24const_host_device_scalarIT6_EEPKT4_S4_PKS6_SA_S4_SC_S7_SA_S4_SC_SA_PS2_PS6_21rocsparse_index_base_SF_SF_SF_bbb,comdat
	.globl	_ZN9rocsparseL23bsrgemm_fill_wf_per_rowILj256ELj64ELj8ELj137ELj8EiifEEv20rocsparse_direction_T5_S2_S2_PKS2_S4_NS_24const_host_device_scalarIT6_EEPKT4_S4_PKS6_SA_S4_SC_S7_SA_S4_SC_SA_PS2_PS6_21rocsparse_index_base_SF_SF_SF_bbb ; -- Begin function _ZN9rocsparseL23bsrgemm_fill_wf_per_rowILj256ELj64ELj8ELj137ELj8EiifEEv20rocsparse_direction_T5_S2_S2_PKS2_S4_NS_24const_host_device_scalarIT6_EEPKT4_S4_PKS6_SA_S4_SC_S7_SA_S4_SC_SA_PS2_PS6_21rocsparse_index_base_SF_SF_SF_bbb
	.p2align	8
	.type	_ZN9rocsparseL23bsrgemm_fill_wf_per_rowILj256ELj64ELj8ELj137ELj8EiifEEv20rocsparse_direction_T5_S2_S2_PKS2_S4_NS_24const_host_device_scalarIT6_EEPKT4_S4_PKS6_SA_S4_SC_S7_SA_S4_SC_SA_PS2_PS6_21rocsparse_index_base_SF_SF_SF_bbb,@function
_ZN9rocsparseL23bsrgemm_fill_wf_per_rowILj256ELj64ELj8ELj137ELj8EiifEEv20rocsparse_direction_T5_S2_S2_PKS2_S4_NS_24const_host_device_scalarIT6_EEPKT4_S4_PKS6_SA_S4_SC_S7_SA_S4_SC_SA_PS2_PS6_21rocsparse_index_base_SF_SF_SF_bbb: ; @_ZN9rocsparseL23bsrgemm_fill_wf_per_rowILj256ELj64ELj8ELj137ELj8EiifEEv20rocsparse_direction_T5_S2_S2_PKS2_S4_NS_24const_host_device_scalarIT6_EEPKT4_S4_PKS6_SA_S4_SC_S7_SA_S4_SC_SA_PS2_PS6_21rocsparse_index_base_SF_SF_SF_bbb
; %bb.0:
	s_clause 0x2
	s_load_b32 s6, s[0:1], 0xa0
	s_load_b64 s[4:5], s[0:1], 0x20
	s_load_b64 s[2:3], s[0:1], 0x58
	s_waitcnt lgkmcnt(0)
	s_bitcmp1_b32 s6, 0
	s_cselect_b32 s13, -1, 0
	s_bitcmp1_b32 s6, 16
	s_cselect_b32 s7, -1, 0
	s_xor_b32 s8, s13, -1
	s_delay_alu instid0(SALU_CYCLE_1) | instskip(NEXT) | instid1(SALU_CYCLE_1)
	s_or_b32 s8, s8, s7
	s_and_b32 vcc_lo, exec_lo, s8
	s_cbranch_vccnz .LBB18_2
; %bb.1:
	s_load_b32 s4, s[4:5], 0x0
	s_waitcnt lgkmcnt(0)
	v_mov_b32_e32 v25, s4
	s_branch .LBB18_3
.LBB18_2:
	v_cndmask_b32_e64 v25, 0, s4, s13
.LBB18_3:
	s_load_b128 s[40:43], s[0:1], 0x90
	s_bitcmp1_b32 s6, 8
	s_cselect_b32 s12, -1, 0
	s_delay_alu instid0(SALU_CYCLE_1) | instskip(NEXT) | instid1(SALU_CYCLE_1)
	s_xor_b32 s4, s12, -1
	s_or_b32 s4, s4, s7
	s_delay_alu instid0(SALU_CYCLE_1)
	s_and_b32 vcc_lo, exec_lo, s4
	s_cbranch_vccnz .LBB18_5
; %bb.4:
	s_load_b32 s2, s[2:3], 0x0
	s_waitcnt lgkmcnt(0)
	v_mov_b32_e32 v22, s2
	s_branch .LBB18_6
.LBB18_5:
	v_cndmask_b32_e64 v22, 0, s2, s12
.LBB18_6:
	s_clause 0x4
	s_load_b128 s[36:39], s[0:1], 0x80
	s_load_b256 s[16:23], s[0:1], 0x60
	s_load_b128 s[44:47], s[0:1], 0x48
	s_load_b256 s[4:11], s[0:1], 0x0
	s_load_b256 s[24:31], s[0:1], 0x28
	v_lshrrev_b32_e32 v1, 6, v0
	v_and_b32_e32 v3, 63, v0
	s_mov_b32 s0, exec_lo
	s_delay_alu instid0(VALU_DEP_2) | instskip(NEXT) | instid1(VALU_DEP_2)
	v_lshl_or_b32 v23, v1, 5, 0x2000
	v_cmpx_gt_u32_e32 8, v3
	s_cbranch_execz .LBB18_8
; %bb.7:
	s_delay_alu instid0(VALU_DEP_2)
	v_lshl_add_u32 v2, v3, 2, v23
	s_waitcnt lgkmcnt(0)
	v_mov_b32_e32 v4, s6
	ds_store_b32 v2, v4
.LBB18_8:
	s_or_b32 exec_lo, exec_lo, s0
	v_dual_mov_b32 v5, 0 :: v_dual_lshlrev_b32 v24, 2, v3
	v_or_b32_e32 v2, 0xffffffc0, v3
	s_mov_b32 s0, 0
	s_delay_alu instid0(VALU_DEP_2)
	v_lshl_or_b32 v4, v1, 11, v24
.LBB18_9:                               ; =>This Inner Loop Header: Depth=1
	s_delay_alu instid0(VALU_DEP_2) | instskip(SKIP_4) | instid1(SALU_CYCLE_1)
	v_add_nc_u32_e32 v2, 64, v2
	ds_store_b32 v4, v5
	v_add_nc_u32_e32 v4, 0x100, v4
	v_cmp_lt_u32_e32 vcc_lo, 0x1bf, v2
	s_or_b32 s0, vcc_lo, s0
	s_and_not1_b32 exec_lo, exec_lo, s0
	s_cbranch_execnz .LBB18_9
; %bb.10:
	s_or_b32 exec_lo, exec_lo, s0
	v_lshl_or_b32 v1, s15, 2, v1
	s_waitcnt lgkmcnt(0)
	s_barrier
	buffer_gl0_inv
	s_mov_b32 s0, exec_lo
	v_cmpx_gt_i32_e64 s5, v1
	s_cbranch_execz .LBB18_86
; %bb.11:
	s_cmp_eq_u64 s[10:11], 0
	s_cbranch_scc1 .LBB18_13
; %bb.12:
	s_load_b32 s0, s[8:9], 0x0
	s_waitcnt lgkmcnt(0)
	v_add_nc_u32_e32 v1, s0, v1
	s_delay_alu instid0(VALU_DEP_1) | instskip(NEXT) | instid1(VALU_DEP_1)
	v_ashrrev_i32_e32 v2, 31, v1
	v_lshlrev_b64 v[1:2], 2, v[1:2]
	s_delay_alu instid0(VALU_DEP_1) | instskip(NEXT) | instid1(VALU_DEP_2)
	v_add_co_u32 v1, vcc_lo, s10, v1
	v_add_co_ci_u32_e32 v2, vcc_lo, s11, v2, vcc_lo
	global_load_b32 v1, v[1:2], off
.LBB18_13:
	s_waitcnt vmcnt(0)
	v_ashrrev_i32_e32 v2, 31, v1
	v_lshlrev_b32_e32 v4, 5, v0
	v_and_b32_e32 v9, 7, v0
	v_lshrrev_b32_e32 v10, 3, v3
	s_and_not1_b32 vcc_lo, exec_lo, s13
	v_lshlrev_b64 v[1:2], 2, v[1:2]
	v_and_b32_e32 v21, 0x1800, v4
	s_cbranch_vccnz .LBB18_44
; %bb.14:
	s_delay_alu instid0(VALU_DEP_2) | instskip(NEXT) | instid1(VALU_DEP_3)
	v_add_co_u32 v3, vcc_lo, s24, v1
	v_add_co_ci_u32_e32 v4, vcc_lo, s25, v2, vcc_lo
	s_mov_b32 s2, exec_lo
	global_load_b64 v[3:4], v[3:4], off
	s_waitcnt vmcnt(0)
	v_cmpx_lt_i32_e64 v3, v4
	s_cbranch_execz .LBB18_43
; %bb.15:
	v_subrev_nc_u32_e32 v3, s40, v3
	v_subrev_nc_u32_e32 v26, s40, v4
	v_max_i32_e32 v6, v9, v10
	s_cmp_lg_u32 s4, 0
	s_mul_i32 s5, s7, s7
	v_mad_u64_u32 v[4:5], null, s7, v3, v[10:11]
	s_delay_alu instid0(VALU_DEP_2) | instskip(SKIP_4) | instid1(VALU_DEP_3)
	v_cmp_gt_i32_e64 s0, s7, v6
	s_cselect_b32 s3, -1, 0
	s_cmp_gt_i32 s7, 0
	v_mad_u64_u32 v[5:6], null, s5, v3, v[10:11]
	s_cselect_b32 s8, -1, 0
	v_mul_lo_u32 v6, s7, v4
	v_cndmask_b32_e64 v27, 0, 1, s8
	s_mov_b32 s9, 0
	s_branch .LBB18_17
.LBB18_16:                              ;   in Loop: Header=BB18_17 Depth=1
	s_or_b32 exec_lo, exec_lo, s10
	v_add_nc_u32_e32 v3, 1, v3
	v_add_nc_u32_e32 v5, s5, v5
	;; [unrolled: 1-line block ×3, first 2 shown]
	s_delay_alu instid0(VALU_DEP_3) | instskip(SKIP_1) | instid1(SALU_CYCLE_1)
	v_cmp_ge_i32_e32 vcc_lo, v3, v26
	s_or_b32 s9, vcc_lo, s9
	s_and_not1_b32 exec_lo, exec_lo, s9
	s_cbranch_execz .LBB18_43
.LBB18_17:                              ; =>This Loop Header: Depth=1
                                        ;     Child Loop BB18_20 Depth 2
                                        ;       Child Loop BB18_24 Depth 3
                                        ;       Child Loop BB18_30 Depth 3
	;; [unrolled: 1-line block ×3, first 2 shown]
	v_ashrrev_i32_e32 v4, 31, v3
	s_mov_b32 s10, exec_lo
	s_delay_alu instid0(VALU_DEP_1) | instskip(NEXT) | instid1(VALU_DEP_1)
	v_lshlrev_b64 v[7:8], 2, v[3:4]
	v_add_co_u32 v7, vcc_lo, s26, v7
	s_delay_alu instid0(VALU_DEP_2) | instskip(SKIP_3) | instid1(VALU_DEP_1)
	v_add_co_ci_u32_e32 v8, vcc_lo, s27, v8, vcc_lo
	global_load_b32 v4, v[7:8], off
	s_waitcnt vmcnt(0)
	v_subrev_nc_u32_e32 v7, s40, v4
	v_ashrrev_i32_e32 v8, 31, v7
	s_delay_alu instid0(VALU_DEP_1) | instskip(NEXT) | instid1(VALU_DEP_1)
	v_lshlrev_b64 v[7:8], 2, v[7:8]
	v_add_co_u32 v7, vcc_lo, s30, v7
	s_delay_alu instid0(VALU_DEP_2)
	v_add_co_ci_u32_e32 v8, vcc_lo, s31, v8, vcc_lo
	global_load_b64 v[11:12], v[7:8], off
	s_waitcnt vmcnt(0)
	v_cmpx_lt_i32_e64 v11, v12
	s_cbranch_execz .LBB18_16
; %bb.18:                               ;   in Loop: Header=BB18_17 Depth=1
	v_subrev_nc_u32_e32 v11, s41, v11
	v_ashrrev_i32_e32 v7, 31, v6
	v_subrev_nc_u32_e32 v4, s41, v12
	s_mov_b32 s11, 0
	s_delay_alu instid0(VALU_DEP_3) | instskip(NEXT) | instid1(VALU_DEP_3)
	v_mad_u64_u32 v[13:14], null, s7, v11, v[9:10]
	v_lshlrev_b64 v[15:16], 2, v[6:7]
	v_mad_u64_u32 v[7:8], null, s5, v11, v[9:10]
	s_delay_alu instid0(VALU_DEP_2) | instskip(NEXT) | instid1(VALU_DEP_4)
	v_add_co_u32 v15, vcc_lo, s28, v15
	v_mul_lo_u32 v13, s7, v13
	s_delay_alu instid0(VALU_DEP_4)
	v_add_co_ci_u32_e32 v16, vcc_lo, s29, v16, vcc_lo
	s_branch .LBB18_20
.LBB18_19:                              ;   in Loop: Header=BB18_20 Depth=2
	s_or_b32 exec_lo, exec_lo, s13
	v_add_nc_u32_e32 v11, 1, v11
	s_delay_alu instid0(VALU_DEP_3) | instskip(SKIP_1) | instid1(VALU_DEP_3)
	v_add_nc_u32_e32 v13, s5, v13
	v_add_nc_u32_e32 v7, s5, v7
	v_cmp_ge_i32_e32 vcc_lo, v11, v4
	s_or_b32 s11, vcc_lo, s11
	s_delay_alu instid0(SALU_CYCLE_1)
	s_and_not1_b32 exec_lo, exec_lo, s11
	s_cbranch_execz .LBB18_16
.LBB18_20:                              ;   Parent Loop BB18_17 Depth=1
                                        ; =>  This Loop Header: Depth=2
                                        ;       Child Loop BB18_24 Depth 3
                                        ;       Child Loop BB18_30 Depth 3
	;; [unrolled: 1-line block ×3, first 2 shown]
	s_and_saveexec_b32 s13, s0
	s_cbranch_execz .LBB18_19
; %bb.21:                               ;   in Loop: Header=BB18_20 Depth=2
	v_ashrrev_i32_e32 v12, 31, v11
	v_cmp_ne_u32_e64 s1, 1, v27
	s_delay_alu instid0(VALU_DEP_2) | instskip(NEXT) | instid1(VALU_DEP_1)
	v_lshlrev_b64 v[17:18], 2, v[11:12]
	v_add_co_u32 v17, vcc_lo, s44, v17
	s_delay_alu instid0(VALU_DEP_2)
	v_add_co_ci_u32_e32 v18, vcc_lo, s45, v18, vcc_lo
	s_and_not1_b32 vcc_lo, exec_lo, s3
	global_load_b32 v8, v[17:18], off
	s_cbranch_vccnz .LBB18_26
; %bb.22:                               ;   in Loop: Header=BB18_20 Depth=2
	s_and_b32 vcc_lo, exec_lo, s1
	s_cbranch_vccnz .LBB18_27
; %bb.23:                               ;   in Loop: Header=BB18_20 Depth=2
	v_ashrrev_i32_e32 v14, 31, v13
	v_dual_mov_b32 v12, 0 :: v_dual_mov_b32 v19, v5
	s_mov_b32 s1, s7
	s_delay_alu instid0(VALU_DEP_2) | instskip(NEXT) | instid1(VALU_DEP_1)
	v_lshlrev_b64 v[17:18], 2, v[13:14]
	v_add_co_u32 v17, vcc_lo, s46, v17
	s_delay_alu instid0(VALU_DEP_2)
	v_add_co_ci_u32_e32 v18, vcc_lo, s47, v18, vcc_lo
	.p2align	6
.LBB18_24:                              ;   Parent Loop BB18_17 Depth=1
                                        ;     Parent Loop BB18_20 Depth=2
                                        ; =>    This Inner Loop Header: Depth=3
	s_delay_alu instid0(VALU_DEP_1) | instskip(SKIP_1) | instid1(SALU_CYCLE_1)
	v_ashrrev_i32_e32 v20, 31, v19
	s_add_i32 s1, s1, -1
	s_cmp_lg_u32 s1, 0
	s_delay_alu instid0(VALU_DEP_1) | instskip(NEXT) | instid1(VALU_DEP_1)
	v_lshlrev_b64 v[28:29], 2, v[19:20]
	v_add_co_u32 v28, vcc_lo, s28, v28
	s_delay_alu instid0(VALU_DEP_2)
	v_add_co_ci_u32_e32 v29, vcc_lo, s29, v29, vcc_lo
	global_load_b32 v14, v[17:18], off
	global_load_b32 v20, v[28:29], off
	v_add_co_u32 v17, vcc_lo, v17, 4
	v_add_co_ci_u32_e32 v18, vcc_lo, 0, v18, vcc_lo
	s_waitcnt vmcnt(0)
	v_dual_fmac_f32 v12, v20, v14 :: v_dual_add_nc_u32 v19, s7, v19
	s_cbranch_scc1 .LBB18_24
; %bb.25:                               ;   in Loop: Header=BB18_20 Depth=2
	s_cbranch_execz .LBB18_28
	s_branch .LBB18_31
.LBB18_26:                              ;   in Loop: Header=BB18_20 Depth=2
                                        ; implicit-def: $vgpr12
	s_branch .LBB18_28
.LBB18_27:                              ;   in Loop: Header=BB18_20 Depth=2
	v_mov_b32_e32 v12, 0
	s_cbranch_execnz .LBB18_31
.LBB18_28:                              ;   in Loop: Header=BB18_20 Depth=2
	v_mov_b32_e32 v12, 0
	s_and_not1_b32 vcc_lo, exec_lo, s8
	s_cbranch_vccnz .LBB18_31
; %bb.29:                               ;   in Loop: Header=BB18_20 Depth=2
	v_dual_mov_b32 v18, v16 :: v_dual_mov_b32 v17, v15
	v_mov_b32_e32 v19, v7
	s_mov_b32 s1, s7
	.p2align	6
.LBB18_30:                              ;   Parent Loop BB18_17 Depth=1
                                        ;     Parent Loop BB18_20 Depth=2
                                        ; =>    This Inner Loop Header: Depth=3
	s_delay_alu instid0(VALU_DEP_1) | instskip(SKIP_1) | instid1(SALU_CYCLE_1)
	v_ashrrev_i32_e32 v20, 31, v19
	s_add_i32 s1, s1, -1
	s_cmp_eq_u32 s1, 0
	s_delay_alu instid0(VALU_DEP_1) | instskip(NEXT) | instid1(VALU_DEP_1)
	v_lshlrev_b64 v[28:29], 2, v[19:20]
	v_add_co_u32 v28, vcc_lo, s46, v28
	s_delay_alu instid0(VALU_DEP_2)
	v_add_co_ci_u32_e32 v29, vcc_lo, s47, v29, vcc_lo
	global_load_b32 v14, v[17:18], off
	global_load_b32 v20, v[28:29], off
	v_add_co_u32 v17, vcc_lo, v17, 4
	v_add_co_ci_u32_e32 v18, vcc_lo, 0, v18, vcc_lo
	s_waitcnt vmcnt(0)
	v_dual_fmac_f32 v12, v14, v20 :: v_dual_add_nc_u32 v19, s7, v19
	s_cbranch_scc0 .LBB18_30
.LBB18_31:                              ;   in Loop: Header=BB18_20 Depth=2
	s_waitcnt vmcnt(0)
	v_subrev_nc_u32_e32 v8, s41, v8
	s_delay_alu instid0(VALU_DEP_2) | instskip(SKIP_1) | instid1(VALU_DEP_2)
	v_mul_f32_e32 v12, v25, v12
	s_mov_b32 s1, 0
	v_and_b32_e32 v14, 7, v8
	s_branch .LBB18_33
.LBB18_32:                              ;   in Loop: Header=BB18_33 Depth=3
	s_or_b32 exec_lo, exec_lo, s14
	s_xor_b32 s14, s15, -1
	s_delay_alu instid0(SALU_CYCLE_1) | instskip(NEXT) | instid1(SALU_CYCLE_1)
	s_and_b32 s14, exec_lo, s14
	s_or_b32 s1, s14, s1
	s_delay_alu instid0(SALU_CYCLE_1)
	s_and_not1_b32 exec_lo, exec_lo, s1
	s_cbranch_execz .LBB18_19
.LBB18_33:                              ;   Parent Loop BB18_17 Depth=1
                                        ;     Parent Loop BB18_20 Depth=2
                                        ; =>    This Inner Loop Header: Depth=3
	s_delay_alu instid0(VALU_DEP_1)
	v_lshl_add_u32 v17, v14, 2, v23
	s_mov_b32 s14, exec_lo
                                        ; implicit-def: $sgpr15
	ds_load_b32 v18, v17
	s_waitcnt lgkmcnt(0)
	v_cmpx_ne_u32_e64 v18, v8
	s_xor_b32 s14, exec_lo, s14
	s_cbranch_execz .LBB18_41
; %bb.34:                               ;   in Loop: Header=BB18_33 Depth=3
	s_mov_b32 s24, exec_lo
                                        ; implicit-def: $sgpr15
	v_cmpx_ne_u32_e64 s6, v18
	s_xor_b32 s24, exec_lo, s24
; %bb.35:                               ;   in Loop: Header=BB18_33 Depth=3
	v_add_nc_u32_e32 v14, 1, v14
	s_mov_b32 s15, -1
                                        ; implicit-def: $vgpr17
	s_delay_alu instid0(VALU_DEP_1)
	v_and_b32_e32 v14, 7, v14
; %bb.36:                               ;   in Loop: Header=BB18_33 Depth=3
	s_and_not1_saveexec_b32 s24, s24
	s_cbranch_execz .LBB18_40
; %bb.37:                               ;   in Loop: Header=BB18_33 Depth=3
	v_mov_b32_e32 v18, s6
	s_mov_b32 s25, -1
	s_mov_b32 s33, exec_lo
	ds_cmpstore_rtn_b32 v17, v17, v8, v18
	s_waitcnt lgkmcnt(0)
	v_cmpx_eq_u32_e64 s6, v17
	s_cbranch_execz .LBB18_39
; %bb.38:                               ;   in Loop: Header=BB18_33 Depth=3
	v_lshl_or_b32 v17, v14, 8, v24
	s_xor_b32 s25, exec_lo, -1
	s_delay_alu instid0(VALU_DEP_1)
	v_add_nc_u32_e32 v17, v21, v17
	ds_add_f32 v17, v12
.LBB18_39:                              ;   in Loop: Header=BB18_33 Depth=3
	s_or_b32 exec_lo, exec_lo, s33
	s_delay_alu instid0(SALU_CYCLE_1) | instskip(SKIP_1) | instid1(SALU_CYCLE_1)
	s_and_not1_b32 s15, s15, exec_lo
	s_and_b32 s25, s25, exec_lo
	s_or_b32 s15, s15, s25
.LBB18_40:                              ;   in Loop: Header=BB18_33 Depth=3
	s_or_b32 exec_lo, exec_lo, s24
	s_delay_alu instid0(SALU_CYCLE_1)
	s_and_b32 s15, s15, exec_lo
.LBB18_41:                              ;   in Loop: Header=BB18_33 Depth=3
	s_and_not1_saveexec_b32 s14, s14
	s_cbranch_execz .LBB18_32
; %bb.42:                               ;   in Loop: Header=BB18_33 Depth=3
	v_lshl_or_b32 v17, v14, 8, v24
	s_and_not1_b32 s15, s15, exec_lo
	s_delay_alu instid0(VALU_DEP_1)
	v_add_nc_u32_e32 v17, v21, v17
	ds_add_f32 v17, v12
	s_branch .LBB18_32
.LBB18_43:
	s_or_b32 exec_lo, exec_lo, s2
.LBB18_44:
	s_delay_alu instid0(SALU_CYCLE_1)
	s_and_not1_b32 vcc_lo, exec_lo, s12
	s_waitcnt lgkmcnt(0)
	s_barrier
	buffer_gl0_inv
	s_cbranch_vccnz .LBB18_62
; %bb.45:
	v_add_co_u32 v3, vcc_lo, s16, v1
	v_add_co_ci_u32_e32 v4, vcc_lo, s17, v2, vcc_lo
	s_mov_b32 s1, exec_lo
	global_load_b64 v[3:4], v[3:4], off
	s_waitcnt vmcnt(0)
	v_cmpx_lt_i32_e64 v3, v4
	s_cbranch_execz .LBB18_61
; %bb.46:
	v_max_i32_e32 v5, v9, v10
	s_cmp_eq_u32 s4, 0
	v_subrev_nc_u32_e32 v7, s43, v4
	s_cselect_b32 s0, -1, 0
	v_subrev_nc_u32_e32 v3, s43, v3
	v_cmp_gt_i32_e32 vcc_lo, s7, v5
	v_cndmask_b32_e64 v5, v9, v10, s0
	v_cndmask_b32_e64 v6, v10, v9, s0
	s_mov_b32 s2, 0
	s_branch .LBB18_48
.LBB18_47:                              ;   in Loop: Header=BB18_48 Depth=1
	s_or_b32 exec_lo, exec_lo, s3
	v_add_nc_u32_e32 v3, 1, v3
	s_delay_alu instid0(VALU_DEP_1) | instskip(NEXT) | instid1(VALU_DEP_1)
	v_cmp_ge_i32_e64 s0, v3, v7
	s_or_b32 s2, s0, s2
	s_delay_alu instid0(SALU_CYCLE_1)
	s_and_not1_b32 exec_lo, exec_lo, s2
	s_cbranch_execz .LBB18_61
.LBB18_48:                              ; =>This Loop Header: Depth=1
                                        ;     Child Loop BB18_51 Depth 2
	s_and_saveexec_b32 s3, vcc_lo
	s_cbranch_execz .LBB18_47
; %bb.49:                               ;   in Loop: Header=BB18_48 Depth=1
	v_mad_u64_u32 v[11:12], null, v3, s7, v[5:6]
	v_ashrrev_i32_e32 v4, 31, v3
	s_mov_b32 s5, 0
	s_delay_alu instid0(VALU_DEP_1) | instskip(NEXT) | instid1(VALU_DEP_3)
	v_lshlrev_b64 v[14:15], 2, v[3:4]
	v_mad_u64_u32 v[12:13], null, v11, s7, v[6:7]
	s_delay_alu instid0(VALU_DEP_1) | instskip(NEXT) | instid1(VALU_DEP_1)
	v_ashrrev_i32_e32 v13, 31, v12
	v_lshlrev_b64 v[11:12], 2, v[12:13]
	s_delay_alu instid0(VALU_DEP_4) | instskip(NEXT) | instid1(VALU_DEP_1)
	v_add_co_u32 v13, s0, s18, v14
	v_add_co_ci_u32_e64 v14, s0, s19, v15, s0
	s_delay_alu instid0(VALU_DEP_3) | instskip(NEXT) | instid1(VALU_DEP_1)
	v_add_co_u32 v11, s0, s20, v11
	v_add_co_ci_u32_e64 v12, s0, s21, v12, s0
	global_load_b32 v4, v[13:14], off
	global_load_b32 v8, v[11:12], off
	s_waitcnt vmcnt(1)
	v_subrev_nc_u32_e32 v4, s43, v4
	s_waitcnt vmcnt(0)
	v_mul_f32_e32 v8, v22, v8
	s_delay_alu instid0(VALU_DEP_2)
	v_and_b32_e32 v11, 7, v4
	s_branch .LBB18_51
.LBB18_50:                              ;   in Loop: Header=BB18_51 Depth=2
	s_or_b32 exec_lo, exec_lo, s0
	s_xor_b32 s0, s9, -1
	s_delay_alu instid0(SALU_CYCLE_1) | instskip(NEXT) | instid1(SALU_CYCLE_1)
	s_and_b32 s0, exec_lo, s0
	s_or_b32 s5, s0, s5
	s_delay_alu instid0(SALU_CYCLE_1)
	s_and_not1_b32 exec_lo, exec_lo, s5
	s_cbranch_execz .LBB18_47
.LBB18_51:                              ;   Parent Loop BB18_48 Depth=1
                                        ; =>  This Inner Loop Header: Depth=2
	s_delay_alu instid0(VALU_DEP_1)
	v_lshl_add_u32 v12, v11, 2, v23
	s_mov_b32 s8, exec_lo
                                        ; implicit-def: $sgpr9
	ds_load_b32 v13, v12
	s_waitcnt lgkmcnt(0)
	v_cmpx_ne_u32_e64 v13, v4
	s_xor_b32 s8, exec_lo, s8
	s_cbranch_execz .LBB18_59
; %bb.52:                               ;   in Loop: Header=BB18_51 Depth=2
	v_cmp_ne_u32_e64 s0, s6, v13
                                        ; implicit-def: $sgpr9
	s_delay_alu instid0(VALU_DEP_1) | instskip(NEXT) | instid1(SALU_CYCLE_1)
	s_and_saveexec_b32 s10, s0
	s_xor_b32 s0, exec_lo, s10
; %bb.53:                               ;   in Loop: Header=BB18_51 Depth=2
	v_add_nc_u32_e32 v11, 1, v11
	s_mov_b32 s9, -1
                                        ; implicit-def: $vgpr12
	s_delay_alu instid0(VALU_DEP_1)
	v_and_b32_e32 v11, 7, v11
; %bb.54:                               ;   in Loop: Header=BB18_51 Depth=2
	s_and_not1_saveexec_b32 s10, s0
	s_cbranch_execz .LBB18_58
; %bb.55:                               ;   in Loop: Header=BB18_51 Depth=2
	v_mov_b32_e32 v13, s6
	s_mov_b32 s11, -1
	s_mov_b32 s12, exec_lo
	ds_cmpstore_rtn_b32 v12, v12, v4, v13
	s_waitcnt lgkmcnt(0)
	v_cmpx_eq_u32_e64 s6, v12
	s_cbranch_execz .LBB18_57
; %bb.56:                               ;   in Loop: Header=BB18_51 Depth=2
	v_lshl_or_b32 v12, v11, 8, v24
	s_xor_b32 s11, exec_lo, -1
	s_delay_alu instid0(VALU_DEP_1)
	v_add_nc_u32_e32 v12, v21, v12
	ds_add_f32 v12, v8
.LBB18_57:                              ;   in Loop: Header=BB18_51 Depth=2
	s_or_b32 exec_lo, exec_lo, s12
	s_delay_alu instid0(SALU_CYCLE_1) | instskip(SKIP_1) | instid1(SALU_CYCLE_1)
	s_and_not1_b32 s0, s9, exec_lo
	s_and_b32 s9, s11, exec_lo
	s_or_b32 s9, s0, s9
.LBB18_58:                              ;   in Loop: Header=BB18_51 Depth=2
	s_or_b32 exec_lo, exec_lo, s10
	s_delay_alu instid0(SALU_CYCLE_1)
	s_and_b32 s9, s9, exec_lo
.LBB18_59:                              ;   in Loop: Header=BB18_51 Depth=2
	s_and_not1_saveexec_b32 s0, s8
	s_cbranch_execz .LBB18_50
; %bb.60:                               ;   in Loop: Header=BB18_51 Depth=2
	v_lshl_or_b32 v12, v11, 8, v24
	s_and_not1_b32 s9, s9, exec_lo
	s_delay_alu instid0(VALU_DEP_1)
	v_add_nc_u32_e32 v12, v21, v12
	ds_add_f32 v12, v8
	s_branch .LBB18_50
.LBB18_61:
	s_or_b32 exec_lo, exec_lo, s1
.LBB18_62:
	v_add_co_u32 v1, vcc_lo, s22, v1
	v_add_co_ci_u32_e32 v2, vcc_lo, s23, v2, vcc_lo
	s_waitcnt lgkmcnt(0)
	s_barrier
	buffer_gl0_inv
	global_load_b32 v11, v[1:2], off
	ds_load_b128 v[5:8], v23
	ds_load_b128 v[1:4], v23 offset:16
	v_max_i32_e32 v12, v9, v10
	v_lshlrev_b32_e32 v13, 3, v9
	v_and_b32_e32 v0, 56, v0
	s_cmp_eq_u32 s4, 0
	s_mov_b32 s1, exec_lo
	s_cselect_b32 s0, -1, 0
	v_cmp_gt_i32_e32 vcc_lo, s7, v12
	v_cndmask_b32_e64 v13, v13, v0, s0
	v_cndmask_b32_e64 v14, v10, v9, s0
	s_waitcnt vmcnt(0)
	v_subrev_nc_u32_e32 v0, s42, v11
	s_waitcnt lgkmcnt(1)
	v_cmpx_gt_i32_e64 s6, v5
	s_cbranch_execz .LBB18_65
; %bb.63:
	v_cmp_gt_i32_e64 s0, v5, v6
	s_delay_alu instid0(VALU_DEP_1) | instskip(SKIP_1) | instid1(VALU_DEP_1)
	v_add_co_ci_u32_e64 v11, s0, 0, v0, s0
	v_cmp_gt_i32_e64 s0, v5, v7
	v_cndmask_b32_e64 v12, 0, 1, s0
	v_cmp_gt_i32_e64 s0, v5, v8
	s_delay_alu instid0(VALU_DEP_1) | instskip(SKIP_2) | instid1(VALU_DEP_1)
	v_add_co_ci_u32_e64 v11, s0, v11, v12, s0
	s_waitcnt lgkmcnt(0)
	v_cmp_gt_i32_e64 s0, v5, v1
	v_cndmask_b32_e64 v12, 0, 1, s0
	v_cmp_gt_i32_e64 s0, v5, v2
	s_delay_alu instid0(VALU_DEP_1) | instskip(SKIP_1) | instid1(VALU_DEP_1)
	v_add_co_ci_u32_e64 v11, s0, v11, v12, s0
	v_cmp_gt_i32_e64 s0, v5, v3
	v_cndmask_b32_e64 v12, 0, 1, s0
	v_cmp_gt_i32_e64 s0, v5, v4
	s_delay_alu instid0(VALU_DEP_1) | instskip(NEXT) | instid1(VALU_DEP_1)
	v_add_co_ci_u32_e64 v11, s0, v11, v12, s0
	v_ashrrev_i32_e32 v12, 31, v11
	s_delay_alu instid0(VALU_DEP_1) | instskip(SKIP_1) | instid1(VALU_DEP_2)
	v_lshlrev_b64 v[15:16], 2, v[11:12]
	v_add_nc_u32_e32 v12, s42, v5
	v_add_co_u32 v15, s0, s36, v15
	s_delay_alu instid0(VALU_DEP_1)
	v_add_co_ci_u32_e64 v16, s0, s37, v16, s0
	global_store_b32 v[15:16], v12, off
	s_and_b32 exec_lo, exec_lo, vcc_lo
	s_cbranch_execz .LBB18_65
; %bb.64:
	v_mad_u64_u32 v[15:16], null, v11, s7, v[10:11]
	v_or_b32_e32 v16, v13, v14
	s_delay_alu instid0(VALU_DEP_2) | instskip(NEXT) | instid1(VALU_DEP_2)
	v_mad_u64_u32 v[11:12], null, v15, s7, v[9:10]
	v_lshl_add_u32 v12, v16, 2, v21
	ds_load_b32 v15, v12
	v_ashrrev_i32_e32 v12, 31, v11
	s_delay_alu instid0(VALU_DEP_1) | instskip(NEXT) | instid1(VALU_DEP_1)
	v_lshlrev_b64 v[11:12], 2, v[11:12]
	v_add_co_u32 v11, s0, s38, v11
	s_delay_alu instid0(VALU_DEP_1)
	v_add_co_ci_u32_e64 v12, s0, s39, v12, s0
	s_waitcnt lgkmcnt(0)
	global_store_b32 v[11:12], v15, off
.LBB18_65:
	s_or_b32 exec_lo, exec_lo, s1
	s_delay_alu instid0(SALU_CYCLE_1)
	s_mov_b32 s1, exec_lo
	v_cmpx_gt_i32_e64 s6, v6
	s_cbranch_execz .LBB18_68
; %bb.66:
	v_cmp_gt_i32_e64 s0, v6, v5
	s_delay_alu instid0(VALU_DEP_1) | instskip(SKIP_1) | instid1(VALU_DEP_1)
	v_add_co_ci_u32_e64 v11, s0, 0, v0, s0
	v_cmp_gt_i32_e64 s0, v6, v7
	v_cndmask_b32_e64 v12, 0, 1, s0
	v_cmp_gt_i32_e64 s0, v6, v8
	s_delay_alu instid0(VALU_DEP_1) | instskip(SKIP_2) | instid1(VALU_DEP_1)
	v_add_co_ci_u32_e64 v11, s0, v11, v12, s0
	s_waitcnt lgkmcnt(0)
	v_cmp_gt_i32_e64 s0, v6, v1
	v_cndmask_b32_e64 v12, 0, 1, s0
	v_cmp_gt_i32_e64 s0, v6, v2
	s_delay_alu instid0(VALU_DEP_1) | instskip(SKIP_1) | instid1(VALU_DEP_1)
	v_add_co_ci_u32_e64 v11, s0, v11, v12, s0
	v_cmp_gt_i32_e64 s0, v6, v3
	v_cndmask_b32_e64 v12, 0, 1, s0
	v_cmp_gt_i32_e64 s0, v6, v4
	s_delay_alu instid0(VALU_DEP_1) | instskip(NEXT) | instid1(VALU_DEP_1)
	v_add_co_ci_u32_e64 v11, s0, v11, v12, s0
	v_ashrrev_i32_e32 v12, 31, v11
	s_delay_alu instid0(VALU_DEP_1) | instskip(SKIP_1) | instid1(VALU_DEP_2)
	v_lshlrev_b64 v[15:16], 2, v[11:12]
	v_add_nc_u32_e32 v12, s42, v6
	v_add_co_u32 v15, s0, s36, v15
	s_delay_alu instid0(VALU_DEP_1)
	v_add_co_ci_u32_e64 v16, s0, s37, v16, s0
	global_store_b32 v[15:16], v12, off
	s_and_b32 exec_lo, exec_lo, vcc_lo
	s_cbranch_execz .LBB18_68
; %bb.67:
	v_mad_u64_u32 v[15:16], null, v11, s7, v[10:11]
	v_or_b32_e32 v16, v13, v14
	s_delay_alu instid0(VALU_DEP_2) | instskip(NEXT) | instid1(VALU_DEP_2)
	v_mad_u64_u32 v[11:12], null, v15, s7, v[9:10]
	v_lshl_add_u32 v12, v16, 2, v21
	ds_load_b32 v15, v12 offset:256
	v_ashrrev_i32_e32 v12, 31, v11
	s_delay_alu instid0(VALU_DEP_1) | instskip(NEXT) | instid1(VALU_DEP_1)
	v_lshlrev_b64 v[11:12], 2, v[11:12]
	v_add_co_u32 v11, s0, s38, v11
	s_delay_alu instid0(VALU_DEP_1)
	v_add_co_ci_u32_e64 v12, s0, s39, v12, s0
	s_waitcnt lgkmcnt(0)
	global_store_b32 v[11:12], v15, off
.LBB18_68:
	s_or_b32 exec_lo, exec_lo, s1
	s_delay_alu instid0(SALU_CYCLE_1)
	s_mov_b32 s1, exec_lo
	v_cmpx_gt_i32_e64 s6, v7
	s_cbranch_execz .LBB18_71
; %bb.69:
	v_cmp_gt_i32_e64 s0, v7, v5
	s_delay_alu instid0(VALU_DEP_1) | instskip(SKIP_1) | instid1(VALU_DEP_1)
	v_add_co_ci_u32_e64 v11, s0, 0, v0, s0
	v_cmp_gt_i32_e64 s0, v7, v6
	v_cndmask_b32_e64 v12, 0, 1, s0
	v_cmp_gt_i32_e64 s0, v7, v8
	s_delay_alu instid0(VALU_DEP_1) | instskip(SKIP_2) | instid1(VALU_DEP_1)
	v_add_co_ci_u32_e64 v11, s0, v11, v12, s0
	s_waitcnt lgkmcnt(0)
	v_cmp_gt_i32_e64 s0, v7, v1
	v_cndmask_b32_e64 v12, 0, 1, s0
	v_cmp_gt_i32_e64 s0, v7, v2
	s_delay_alu instid0(VALU_DEP_1) | instskip(SKIP_1) | instid1(VALU_DEP_1)
	v_add_co_ci_u32_e64 v11, s0, v11, v12, s0
	v_cmp_gt_i32_e64 s0, v7, v3
	v_cndmask_b32_e64 v12, 0, 1, s0
	v_cmp_gt_i32_e64 s0, v7, v4
	s_delay_alu instid0(VALU_DEP_1) | instskip(NEXT) | instid1(VALU_DEP_1)
	v_add_co_ci_u32_e64 v11, s0, v11, v12, s0
	v_ashrrev_i32_e32 v12, 31, v11
	s_delay_alu instid0(VALU_DEP_1) | instskip(SKIP_1) | instid1(VALU_DEP_2)
	v_lshlrev_b64 v[15:16], 2, v[11:12]
	v_add_nc_u32_e32 v12, s42, v7
	v_add_co_u32 v15, s0, s36, v15
	s_delay_alu instid0(VALU_DEP_1)
	v_add_co_ci_u32_e64 v16, s0, s37, v16, s0
	global_store_b32 v[15:16], v12, off
	s_and_b32 exec_lo, exec_lo, vcc_lo
	s_cbranch_execz .LBB18_71
; %bb.70:
	v_mad_u64_u32 v[15:16], null, v11, s7, v[10:11]
	v_or_b32_e32 v16, v13, v14
	s_delay_alu instid0(VALU_DEP_2) | instskip(NEXT) | instid1(VALU_DEP_2)
	v_mad_u64_u32 v[11:12], null, v15, s7, v[9:10]
	v_lshl_add_u32 v12, v16, 2, v21
	ds_load_b32 v15, v12 offset:512
	v_ashrrev_i32_e32 v12, 31, v11
	s_delay_alu instid0(VALU_DEP_1) | instskip(NEXT) | instid1(VALU_DEP_1)
	v_lshlrev_b64 v[11:12], 2, v[11:12]
	v_add_co_u32 v11, s0, s38, v11
	s_delay_alu instid0(VALU_DEP_1)
	v_add_co_ci_u32_e64 v12, s0, s39, v12, s0
	s_waitcnt lgkmcnt(0)
	global_store_b32 v[11:12], v15, off
.LBB18_71:
	;; [unrolled: 51-line block ×3, first 2 shown]
	s_or_b32 exec_lo, exec_lo, s1
	s_delay_alu instid0(SALU_CYCLE_1)
	s_mov_b32 s1, exec_lo
	s_waitcnt lgkmcnt(0)
	v_cmpx_gt_i32_e64 s6, v1
	s_cbranch_execz .LBB18_77
; %bb.75:
	v_cmp_gt_i32_e64 s0, v1, v5
	s_delay_alu instid0(VALU_DEP_1) | instskip(SKIP_1) | instid1(VALU_DEP_1)
	v_add_co_ci_u32_e64 v11, s0, 0, v0, s0
	v_cmp_gt_i32_e64 s0, v1, v6
	v_cndmask_b32_e64 v12, 0, 1, s0
	v_cmp_gt_i32_e64 s0, v1, v7
	s_delay_alu instid0(VALU_DEP_1) | instskip(SKIP_1) | instid1(VALU_DEP_1)
	v_add_co_ci_u32_e64 v11, s0, v11, v12, s0
	v_cmp_gt_i32_e64 s0, v1, v8
	v_cndmask_b32_e64 v12, 0, 1, s0
	;; [unrolled: 5-line block ×3, first 2 shown]
	v_cmp_gt_i32_e64 s0, v1, v4
	s_delay_alu instid0(VALU_DEP_1) | instskip(NEXT) | instid1(VALU_DEP_1)
	v_add_co_ci_u32_e64 v11, s0, v11, v12, s0
	v_ashrrev_i32_e32 v12, 31, v11
	s_delay_alu instid0(VALU_DEP_1) | instskip(SKIP_1) | instid1(VALU_DEP_2)
	v_lshlrev_b64 v[15:16], 2, v[11:12]
	v_add_nc_u32_e32 v12, s42, v1
	v_add_co_u32 v15, s0, s36, v15
	s_delay_alu instid0(VALU_DEP_1)
	v_add_co_ci_u32_e64 v16, s0, s37, v16, s0
	global_store_b32 v[15:16], v12, off
	s_and_b32 exec_lo, exec_lo, vcc_lo
	s_cbranch_execz .LBB18_77
; %bb.76:
	v_mad_u64_u32 v[15:16], null, v11, s7, v[10:11]
	v_or_b32_e32 v16, v13, v14
	s_delay_alu instid0(VALU_DEP_2) | instskip(NEXT) | instid1(VALU_DEP_2)
	v_mad_u64_u32 v[11:12], null, v15, s7, v[9:10]
	v_lshl_add_u32 v12, v16, 2, v21
	ds_load_b32 v15, v12 offset:1024
	v_ashrrev_i32_e32 v12, 31, v11
	s_delay_alu instid0(VALU_DEP_1) | instskip(NEXT) | instid1(VALU_DEP_1)
	v_lshlrev_b64 v[11:12], 2, v[11:12]
	v_add_co_u32 v11, s0, s38, v11
	s_delay_alu instid0(VALU_DEP_1)
	v_add_co_ci_u32_e64 v12, s0, s39, v12, s0
	s_waitcnt lgkmcnt(0)
	global_store_b32 v[11:12], v15, off
.LBB18_77:
	s_or_b32 exec_lo, exec_lo, s1
	s_delay_alu instid0(SALU_CYCLE_1)
	s_mov_b32 s1, exec_lo
	v_cmpx_gt_i32_e64 s6, v2
	s_cbranch_execz .LBB18_80
; %bb.78:
	v_cmp_gt_i32_e64 s0, v2, v5
	s_delay_alu instid0(VALU_DEP_1) | instskip(SKIP_1) | instid1(VALU_DEP_1)
	v_add_co_ci_u32_e64 v11, s0, 0, v0, s0
	v_cmp_gt_i32_e64 s0, v2, v6
	v_cndmask_b32_e64 v12, 0, 1, s0
	v_cmp_gt_i32_e64 s0, v2, v7
	s_delay_alu instid0(VALU_DEP_1) | instskip(SKIP_1) | instid1(VALU_DEP_1)
	v_add_co_ci_u32_e64 v11, s0, v11, v12, s0
	v_cmp_gt_i32_e64 s0, v2, v8
	v_cndmask_b32_e64 v12, 0, 1, s0
	;; [unrolled: 5-line block ×3, first 2 shown]
	v_cmp_gt_i32_e64 s0, v2, v4
	s_delay_alu instid0(VALU_DEP_1) | instskip(NEXT) | instid1(VALU_DEP_1)
	v_add_co_ci_u32_e64 v11, s0, v11, v12, s0
	v_ashrrev_i32_e32 v12, 31, v11
	s_delay_alu instid0(VALU_DEP_1) | instskip(SKIP_1) | instid1(VALU_DEP_2)
	v_lshlrev_b64 v[15:16], 2, v[11:12]
	v_add_nc_u32_e32 v12, s42, v2
	v_add_co_u32 v15, s0, s36, v15
	s_delay_alu instid0(VALU_DEP_1)
	v_add_co_ci_u32_e64 v16, s0, s37, v16, s0
	global_store_b32 v[15:16], v12, off
	s_and_b32 exec_lo, exec_lo, vcc_lo
	s_cbranch_execz .LBB18_80
; %bb.79:
	v_mad_u64_u32 v[15:16], null, v11, s7, v[10:11]
	v_or_b32_e32 v16, v13, v14
	s_delay_alu instid0(VALU_DEP_2) | instskip(NEXT) | instid1(VALU_DEP_2)
	v_mad_u64_u32 v[11:12], null, v15, s7, v[9:10]
	v_lshl_add_u32 v12, v16, 2, v21
	ds_load_b32 v15, v12 offset:1280
	v_ashrrev_i32_e32 v12, 31, v11
	s_delay_alu instid0(VALU_DEP_1) | instskip(NEXT) | instid1(VALU_DEP_1)
	v_lshlrev_b64 v[11:12], 2, v[11:12]
	v_add_co_u32 v11, s0, s38, v11
	s_delay_alu instid0(VALU_DEP_1)
	v_add_co_ci_u32_e64 v12, s0, s39, v12, s0
	s_waitcnt lgkmcnt(0)
	global_store_b32 v[11:12], v15, off
.LBB18_80:
	s_or_b32 exec_lo, exec_lo, s1
	s_delay_alu instid0(SALU_CYCLE_1)
	s_mov_b32 s1, exec_lo
	v_cmpx_gt_i32_e64 s6, v3
	s_cbranch_execz .LBB18_83
; %bb.81:
	v_cmp_gt_i32_e64 s0, v3, v5
	s_delay_alu instid0(VALU_DEP_1) | instskip(SKIP_1) | instid1(VALU_DEP_1)
	v_add_co_ci_u32_e64 v11, s0, 0, v0, s0
	v_cmp_gt_i32_e64 s0, v3, v6
	v_cndmask_b32_e64 v12, 0, 1, s0
	v_cmp_gt_i32_e64 s0, v3, v7
	s_delay_alu instid0(VALU_DEP_1) | instskip(SKIP_1) | instid1(VALU_DEP_1)
	v_add_co_ci_u32_e64 v11, s0, v11, v12, s0
	v_cmp_gt_i32_e64 s0, v3, v8
	v_cndmask_b32_e64 v12, 0, 1, s0
	;; [unrolled: 5-line block ×3, first 2 shown]
	v_cmp_gt_i32_e64 s0, v3, v4
	s_delay_alu instid0(VALU_DEP_1) | instskip(NEXT) | instid1(VALU_DEP_1)
	v_add_co_ci_u32_e64 v11, s0, v11, v12, s0
	v_ashrrev_i32_e32 v12, 31, v11
	s_delay_alu instid0(VALU_DEP_1) | instskip(SKIP_1) | instid1(VALU_DEP_2)
	v_lshlrev_b64 v[15:16], 2, v[11:12]
	v_add_nc_u32_e32 v12, s42, v3
	v_add_co_u32 v15, s0, s36, v15
	s_delay_alu instid0(VALU_DEP_1)
	v_add_co_ci_u32_e64 v16, s0, s37, v16, s0
	global_store_b32 v[15:16], v12, off
	s_and_b32 exec_lo, exec_lo, vcc_lo
	s_cbranch_execz .LBB18_83
; %bb.82:
	v_mad_u64_u32 v[15:16], null, v11, s7, v[10:11]
	v_or_b32_e32 v16, v13, v14
	s_delay_alu instid0(VALU_DEP_2) | instskip(NEXT) | instid1(VALU_DEP_2)
	v_mad_u64_u32 v[11:12], null, v15, s7, v[9:10]
	v_lshl_add_u32 v12, v16, 2, v21
	ds_load_b32 v15, v12 offset:1536
	v_ashrrev_i32_e32 v12, 31, v11
	s_delay_alu instid0(VALU_DEP_1) | instskip(NEXT) | instid1(VALU_DEP_1)
	v_lshlrev_b64 v[11:12], 2, v[11:12]
	v_add_co_u32 v11, s0, s38, v11
	s_delay_alu instid0(VALU_DEP_1)
	v_add_co_ci_u32_e64 v12, s0, s39, v12, s0
	s_waitcnt lgkmcnt(0)
	global_store_b32 v[11:12], v15, off
.LBB18_83:
	s_or_b32 exec_lo, exec_lo, s1
	v_cmp_gt_i32_e64 s0, s6, v4
	s_delay_alu instid0(VALU_DEP_1)
	s_and_b32 exec_lo, exec_lo, s0
	s_cbranch_execz .LBB18_86
; %bb.84:
	v_cmp_gt_i32_e64 s0, v4, v5
	s_delay_alu instid0(VALU_DEP_1) | instskip(SKIP_1) | instid1(VALU_DEP_1)
	v_add_co_ci_u32_e64 v0, s0, 0, v0, s0
	v_cmp_gt_i32_e64 s0, v4, v6
	v_cndmask_b32_e64 v5, 0, 1, s0
	v_cmp_gt_i32_e64 s0, v4, v7
	s_delay_alu instid0(VALU_DEP_1) | instskip(SKIP_1) | instid1(VALU_DEP_1)
	v_add_co_ci_u32_e64 v0, s0, v0, v5, s0
	v_cmp_gt_i32_e64 s0, v4, v8
	v_cndmask_b32_e64 v5, 0, 1, s0
	v_cmp_gt_i32_e64 s0, v4, v1
	s_delay_alu instid0(VALU_DEP_1) | instskip(SKIP_1) | instid1(VALU_DEP_1)
	v_add_co_ci_u32_e64 v0, s0, v0, v5, s0
	v_cmp_gt_i32_e64 s0, v4, v2
	v_cndmask_b32_e64 v1, 0, 1, s0
	v_cmp_gt_i32_e64 s0, v4, v3
	v_add_nc_u32_e32 v3, s42, v4
	s_delay_alu instid0(VALU_DEP_2) | instskip(NEXT) | instid1(VALU_DEP_1)
	v_add_co_ci_u32_e64 v0, s0, v0, v1, s0
	v_ashrrev_i32_e32 v1, 31, v0
	s_delay_alu instid0(VALU_DEP_1) | instskip(NEXT) | instid1(VALU_DEP_1)
	v_lshlrev_b64 v[1:2], 2, v[0:1]
	v_add_co_u32 v1, s0, s36, v1
	s_delay_alu instid0(VALU_DEP_1)
	v_add_co_ci_u32_e64 v2, s0, s37, v2, s0
	global_store_b32 v[1:2], v3, off
	s_and_b32 exec_lo, exec_lo, vcc_lo
	s_cbranch_execz .LBB18_86
; %bb.85:
	v_mad_u64_u32 v[1:2], null, v0, s7, v[10:11]
	v_or_b32_e32 v0, v13, v14
	s_delay_alu instid0(VALU_DEP_1) | instskip(NEXT) | instid1(VALU_DEP_3)
	v_lshl_add_u32 v0, v0, 2, v21
	v_mad_u64_u32 v[2:3], null, v1, s7, v[9:10]
	ds_load_b32 v4, v0 offset:1792
	v_ashrrev_i32_e32 v3, 31, v2
	s_delay_alu instid0(VALU_DEP_1) | instskip(NEXT) | instid1(VALU_DEP_1)
	v_lshlrev_b64 v[0:1], 2, v[2:3]
	v_add_co_u32 v0, vcc_lo, s38, v0
	s_delay_alu instid0(VALU_DEP_2)
	v_add_co_ci_u32_e32 v1, vcc_lo, s39, v1, vcc_lo
	s_waitcnt lgkmcnt(0)
	global_store_b32 v[0:1], v4, off
.LBB18_86:
	s_nop 0
	s_sendmsg sendmsg(MSG_DEALLOC_VGPRS)
	s_endpgm
	.section	.rodata,"a",@progbits
	.p2align	6, 0x0
	.amdhsa_kernel _ZN9rocsparseL23bsrgemm_fill_wf_per_rowILj256ELj64ELj8ELj137ELj8EiifEEv20rocsparse_direction_T5_S2_S2_PKS2_S4_NS_24const_host_device_scalarIT6_EEPKT4_S4_PKS6_SA_S4_SC_S7_SA_S4_SC_SA_PS2_PS6_21rocsparse_index_base_SF_SF_SF_bbb
		.amdhsa_group_segment_fixed_size 8320
		.amdhsa_private_segment_fixed_size 0
		.amdhsa_kernarg_size 164
		.amdhsa_user_sgpr_count 15
		.amdhsa_user_sgpr_dispatch_ptr 0
		.amdhsa_user_sgpr_queue_ptr 0
		.amdhsa_user_sgpr_kernarg_segment_ptr 1
		.amdhsa_user_sgpr_dispatch_id 0
		.amdhsa_user_sgpr_private_segment_size 0
		.amdhsa_wavefront_size32 1
		.amdhsa_uses_dynamic_stack 0
		.amdhsa_enable_private_segment 0
		.amdhsa_system_sgpr_workgroup_id_x 1
		.amdhsa_system_sgpr_workgroup_id_y 0
		.amdhsa_system_sgpr_workgroup_id_z 0
		.amdhsa_system_sgpr_workgroup_info 0
		.amdhsa_system_vgpr_workitem_id 0
		.amdhsa_next_free_vgpr 30
		.amdhsa_next_free_sgpr 48
		.amdhsa_reserve_vcc 1
		.amdhsa_float_round_mode_32 0
		.amdhsa_float_round_mode_16_64 0
		.amdhsa_float_denorm_mode_32 3
		.amdhsa_float_denorm_mode_16_64 3
		.amdhsa_dx10_clamp 1
		.amdhsa_ieee_mode 1
		.amdhsa_fp16_overflow 0
		.amdhsa_workgroup_processor_mode 1
		.amdhsa_memory_ordered 1
		.amdhsa_forward_progress 0
		.amdhsa_shared_vgpr_count 0
		.amdhsa_exception_fp_ieee_invalid_op 0
		.amdhsa_exception_fp_denorm_src 0
		.amdhsa_exception_fp_ieee_div_zero 0
		.amdhsa_exception_fp_ieee_overflow 0
		.amdhsa_exception_fp_ieee_underflow 0
		.amdhsa_exception_fp_ieee_inexact 0
		.amdhsa_exception_int_div_zero 0
	.end_amdhsa_kernel
	.section	.text._ZN9rocsparseL23bsrgemm_fill_wf_per_rowILj256ELj64ELj8ELj137ELj8EiifEEv20rocsparse_direction_T5_S2_S2_PKS2_S4_NS_24const_host_device_scalarIT6_EEPKT4_S4_PKS6_SA_S4_SC_S7_SA_S4_SC_SA_PS2_PS6_21rocsparse_index_base_SF_SF_SF_bbb,"axG",@progbits,_ZN9rocsparseL23bsrgemm_fill_wf_per_rowILj256ELj64ELj8ELj137ELj8EiifEEv20rocsparse_direction_T5_S2_S2_PKS2_S4_NS_24const_host_device_scalarIT6_EEPKT4_S4_PKS6_SA_S4_SC_S7_SA_S4_SC_SA_PS2_PS6_21rocsparse_index_base_SF_SF_SF_bbb,comdat
.Lfunc_end18:
	.size	_ZN9rocsparseL23bsrgemm_fill_wf_per_rowILj256ELj64ELj8ELj137ELj8EiifEEv20rocsparse_direction_T5_S2_S2_PKS2_S4_NS_24const_host_device_scalarIT6_EEPKT4_S4_PKS6_SA_S4_SC_S7_SA_S4_SC_SA_PS2_PS6_21rocsparse_index_base_SF_SF_SF_bbb, .Lfunc_end18-_ZN9rocsparseL23bsrgemm_fill_wf_per_rowILj256ELj64ELj8ELj137ELj8EiifEEv20rocsparse_direction_T5_S2_S2_PKS2_S4_NS_24const_host_device_scalarIT6_EEPKT4_S4_PKS6_SA_S4_SC_S7_SA_S4_SC_SA_PS2_PS6_21rocsparse_index_base_SF_SF_SF_bbb
                                        ; -- End function
	.section	.AMDGPU.csdata,"",@progbits
; Kernel info:
; codeLenInByte = 4564
; NumSgprs: 50
; NumVgprs: 30
; ScratchSize: 0
; MemoryBound: 0
; FloatMode: 240
; IeeeMode: 1
; LDSByteSize: 8320 bytes/workgroup (compile time only)
; SGPRBlocks: 6
; VGPRBlocks: 3
; NumSGPRsForWavesPerEU: 50
; NumVGPRsForWavesPerEU: 30
; Occupancy: 16
; WaveLimiterHint : 1
; COMPUTE_PGM_RSRC2:SCRATCH_EN: 0
; COMPUTE_PGM_RSRC2:USER_SGPR: 15
; COMPUTE_PGM_RSRC2:TRAP_HANDLER: 0
; COMPUTE_PGM_RSRC2:TGID_X_EN: 1
; COMPUTE_PGM_RSRC2:TGID_Y_EN: 0
; COMPUTE_PGM_RSRC2:TGID_Z_EN: 0
; COMPUTE_PGM_RSRC2:TIDIG_COMP_CNT: 0
	.section	.text._ZN9rocsparseL38bsrgemm_block_per_row_atomic_multipassILj256ELj16ELj8EiifEEv20rocsparse_direction_T3_S2_PKS2_S4_NS_24const_host_device_scalarIT4_EEPKT2_S4_PKS6_SA_S4_SC_S7_SA_S4_SC_SA_PS2_PS6_PS8_21rocsparse_index_base_SG_SG_SG_bbb,"axG",@progbits,_ZN9rocsparseL38bsrgemm_block_per_row_atomic_multipassILj256ELj16ELj8EiifEEv20rocsparse_direction_T3_S2_PKS2_S4_NS_24const_host_device_scalarIT4_EEPKT2_S4_PKS6_SA_S4_SC_S7_SA_S4_SC_SA_PS2_PS6_PS8_21rocsparse_index_base_SG_SG_SG_bbb,comdat
	.globl	_ZN9rocsparseL38bsrgemm_block_per_row_atomic_multipassILj256ELj16ELj8EiifEEv20rocsparse_direction_T3_S2_PKS2_S4_NS_24const_host_device_scalarIT4_EEPKT2_S4_PKS6_SA_S4_SC_S7_SA_S4_SC_SA_PS2_PS6_PS8_21rocsparse_index_base_SG_SG_SG_bbb ; -- Begin function _ZN9rocsparseL38bsrgemm_block_per_row_atomic_multipassILj256ELj16ELj8EiifEEv20rocsparse_direction_T3_S2_PKS2_S4_NS_24const_host_device_scalarIT4_EEPKT2_S4_PKS6_SA_S4_SC_S7_SA_S4_SC_SA_PS2_PS6_PS8_21rocsparse_index_base_SG_SG_SG_bbb
	.p2align	8
	.type	_ZN9rocsparseL38bsrgemm_block_per_row_atomic_multipassILj256ELj16ELj8EiifEEv20rocsparse_direction_T3_S2_PKS2_S4_NS_24const_host_device_scalarIT4_EEPKT2_S4_PKS6_SA_S4_SC_S7_SA_S4_SC_SA_PS2_PS6_PS8_21rocsparse_index_base_SG_SG_SG_bbb,@function
_ZN9rocsparseL38bsrgemm_block_per_row_atomic_multipassILj256ELj16ELj8EiifEEv20rocsparse_direction_T3_S2_PKS2_S4_NS_24const_host_device_scalarIT4_EEPKT2_S4_PKS6_SA_S4_SC_S7_SA_S4_SC_SA_PS2_PS6_PS8_21rocsparse_index_base_SG_SG_SG_bbb: ; @_ZN9rocsparseL38bsrgemm_block_per_row_atomic_multipassILj256ELj16ELj8EiifEEv20rocsparse_direction_T3_S2_PKS2_S4_NS_24const_host_device_scalarIT4_EEPKT2_S4_PKS6_SA_S4_SC_S7_SA_S4_SC_SA_PS2_PS6_PS8_21rocsparse_index_base_SG_SG_SG_bbb
; %bb.0:
	s_clause 0x3
	s_load_b32 s3, s[0:1], 0xa8
	s_load_b128 s[28:31], s[0:1], 0x98
	s_load_b64 s[6:7], s[0:1], 0x20
	s_load_b64 s[4:5], s[0:1], 0x58
	s_mov_b32 s2, s15
	s_waitcnt lgkmcnt(0)
	s_bitcmp1_b32 s3, 0
	s_cselect_b32 s8, -1, 0
	s_bitcmp1_b32 s3, 16
	s_cselect_b32 s9, -1, 0
	s_xor_b32 s10, s8, -1
	s_delay_alu instid0(SALU_CYCLE_1) | instskip(NEXT) | instid1(SALU_CYCLE_1)
	s_or_b32 s10, s10, s9
	s_and_b32 vcc_lo, exec_lo, s10
	s_cbranch_vccnz .LBB19_2
; %bb.1:
	s_load_b32 s6, s[6:7], 0x0
	s_waitcnt lgkmcnt(0)
	v_mov_b32_e32 v11, s6
	s_branch .LBB19_3
.LBB19_2:
	v_cndmask_b32_e64 v11, 0, s6, s8
.LBB19_3:
	s_load_b64 s[6:7], s[0:1], 0x18
	s_bitcmp1_b32 s3, 8
	s_cselect_b32 s11, -1, 0
	s_delay_alu instid0(SALU_CYCLE_1) | instskip(NEXT) | instid1(SALU_CYCLE_1)
	s_xor_b32 s3, s11, -1
	s_or_b32 s3, s3, s9
	s_delay_alu instid0(SALU_CYCLE_1)
	s_and_b32 vcc_lo, exec_lo, s3
	s_cbranch_vccnz .LBB19_5
; %bb.4:
	s_load_b32 s3, s[4:5], 0x0
	s_waitcnt lgkmcnt(0)
	v_mov_b32_e32 v12, s3
	s_load_b64 s[4:5], s[0:1], 0x28
	s_cmp_eq_u64 s[6:7], 0
	s_cbranch_scc0 .LBB19_6
	s_branch .LBB19_7
.LBB19_5:
	v_cndmask_b32_e64 v12, 0, s4, s11
	s_load_b64 s[4:5], s[0:1], 0x28
	s_waitcnt lgkmcnt(0)
	s_cmp_eq_u64 s[6:7], 0
	s_cbranch_scc1 .LBB19_7
.LBB19_6:
	s_load_b64 s[12:13], s[0:1], 0x10
	s_waitcnt lgkmcnt(0)
	s_load_b32 s3, s[12:13], 0x0
	s_waitcnt lgkmcnt(0)
	s_add_i32 s2, s3, s2
	s_mov_b32 s3, 0
	s_delay_alu instid0(SALU_CYCLE_1) | instskip(NEXT) | instid1(SALU_CYCLE_1)
	s_lshl_b64 s[2:3], s[2:3], 2
	s_add_u32 s2, s6, s2
	s_addc_u32 s3, s7, s3
	s_load_b32 s2, s[2:3], 0x0
.LBB19_7:
	s_mov_b32 s33, 0
	s_and_not1_b32 vcc_lo, exec_lo, s8
	s_mov_b32 s46, 0
	s_cbranch_vccz .LBB19_10
; %bb.8:
	s_and_not1_b32 vcc_lo, exec_lo, s8
	s_cbranch_vccz .LBB19_11
.LBB19_9:
	s_load_b128 s[36:39], s[0:1], 0x0
	s_waitcnt lgkmcnt(0)
	s_cmp_lt_i32 s37, 1
	s_cbranch_scc0 .LBB19_12
	s_branch .LBB19_90
.LBB19_10:
	s_waitcnt lgkmcnt(0)
	s_ashr_i32 s3, s2, 31
	s_delay_alu instid0(SALU_CYCLE_1) | instskip(NEXT) | instid1(SALU_CYCLE_1)
	s_lshl_b64 s[6:7], s[2:3], 2
	s_add_u32 s6, s4, s6
	s_addc_u32 s7, s5, s7
	s_load_b32 s3, s[6:7], 0x0
	s_waitcnt lgkmcnt(0)
	s_sub_i32 s46, s3, s28
	s_and_not1_b32 vcc_lo, exec_lo, s8
	s_cbranch_vccnz .LBB19_9
.LBB19_11:
	s_waitcnt lgkmcnt(0)
	s_ashr_i32 s3, s2, 31
	s_delay_alu instid0(SALU_CYCLE_1) | instskip(NEXT) | instid1(SALU_CYCLE_1)
	s_lshl_b64 s[6:7], s[2:3], 2
	s_add_u32 s4, s4, s6
	s_addc_u32 s5, s5, s7
	s_load_b32 s3, s[4:5], 0x4
	s_waitcnt lgkmcnt(0)
	s_sub_i32 s33, s3, s28
	s_load_b128 s[36:39], s[0:1], 0x0
	s_waitcnt lgkmcnt(0)
	s_cmp_lt_i32 s37, 1
	s_cbranch_scc1 .LBB19_90
.LBB19_12:
	s_clause 0x4
	s_load_b256 s[12:19], s[0:1], 0x60
	s_load_b64 s[34:35], s[0:1], 0x90
	s_load_b128 s[40:43], s[0:1], 0x80
	s_load_b64 s[44:45], s[0:1], 0x50
	s_load_b256 s[20:27], s[0:1], 0x30
	s_ashr_i32 s3, s2, 31
	v_dual_mov_b32 v32, 16 :: v_dual_and_b32 v1, 7, v0
	s_lshl_b64 s[48:49], s[2:3], 2
	v_bfe_u32 v2, v0, 3, 3
	v_lshrrev_b32_e32 v13, 6, v0
	v_cmp_gt_u32_e64 s0, 16, v0
	v_cmp_eq_u32_e64 s1, 0, v0
	v_dual_mov_b32 v31, 0 :: v_dual_and_b32 v4, 15, v0
	v_or_b32_e32 v16, 0xffffff00, v0
	v_lshlrev_b32_e32 v6, 2, v2
	v_subrev_nc_u32_e32 v18, s31, v13
	s_delay_alu instid0(VALU_DEP_4)
	v_cmp_lt_u32_e64 s4, 1, v4
	v_cmp_lt_u32_e64 s5, 3, v4
	s_waitcnt lgkmcnt(0)
	s_add_u32 s2, s18, s48
	s_addc_u32 s3, s19, s49
	v_add_co_u32 v5, s18, v4, -1
	s_load_b32 s9, s[2:3], 0x0
	v_cmp_ne_u32_e64 s3, 0, v4
	v_cmp_lt_u32_e64 s6, 7, v4
	s_delay_alu instid0(VALU_DEP_3)
	v_lshl_add_u32 v21, v5, 2, 0x1400
	v_lshl_or_b32 v27, v13, 2, 0x1400
	v_dual_mov_b32 v29, 0 :: v_dual_mov_b32 v30, 1
	s_waitcnt lgkmcnt(0)
	s_sub_i32 s9, s9, s30
	s_cmp_lt_i32 s46, s33
	v_dual_mov_b32 v28, s9 :: v_dual_and_b32 v15, 56, v0
	s_cselect_b32 s10, -1, 0
	s_cmp_eq_u32 s36, 0
	s_cselect_b32 vcc_lo, -1, 0
	v_and_b32_e32 v3, 63, v0
	v_lshlrev_b32_e32 v14, 2, v0
	v_max_i32_e32 v0, v1, v2
	s_cmp_lg_u32 s36, 0
	s_cselect_b32 s19, -1, 0
	s_cmp_gt_i32 s38, 0
	s_delay_alu instid0(VALU_DEP_1)
	v_cmp_gt_i32_e64 s7, s38, v0
	v_cndmask_b32_e32 v0, v1, v2, vcc_lo
	v_cmp_eq_u32_e64 s2, 63, v3
	v_lshlrev_b32_e32 v3, 2, v4
	v_lshlrev_b32_e32 v4, 8, v13
	s_cselect_b32 s36, -1, 0
	s_add_u32 s12, s12, s48
	s_addc_u32 s13, s13, s49
	s_and_b32 s39, s8, s10
	s_movk_i32 s8, 0x3e0
	v_or_b32_e32 v20, 0x1400, v3
	v_add_nc_u32_e32 v22, 0x13f8, v3
	v_add_nc_u32_e32 v23, 0x13f0, v3
	v_dual_cndmask_b32 v3, v2, v1 :: v_dual_add_nc_u32 v24, 0x13e0, v3
	v_or_b32_e32 v17, 0x1000, v14
	v_or_b32_e32 v19, 0x1400, v14
	v_or3_b32 v25, v4, v6, 0x1000
	v_and_or_b32 v26, v14, s8, 0x1000
	s_mul_i32 s48, s38, s38
	s_add_u32 s47, s24, 4
	s_addc_u32 s49, s25, 0
	s_lshl_b32 s50, s48, 2
	s_branch .LBB19_14
.LBB19_13:                              ;   in Loop: Header=BB19_14 Depth=1
	s_set_inst_prefetch_distance 0x2
	s_or_b32 exec_lo, exec_lo, s8
	s_waitcnt_vscnt null, 0x0
	s_barrier
	buffer_gl0_inv
	ds_load_b32 v31, v29 offset:5184
	v_add_nc_u32_e32 v28, v6, v28
	s_waitcnt lgkmcnt(0)
	s_barrier
	buffer_gl0_inv
	v_cmp_le_i32_e32 vcc_lo, s37, v31
	v_add_nc_u32_e32 v32, 16, v31
	s_cbranch_vccnz .LBB19_90
.LBB19_14:                              ; =>This Loop Header: Depth=1
                                        ;     Child Loop BB19_17 Depth 2
                                        ;     Child Loop BB19_23 Depth 2
                                        ;       Child Loop BB19_36 Depth 3
                                        ;         Child Loop BB19_45 Depth 4
                                        ;         Child Loop BB19_50 Depth 4
                                        ;     Child Loop BB19_61 Depth 2
                                        ;     Child Loop BB19_70 Depth 2
	;; [unrolled: 1-line block ×3, first 2 shown]
	s_and_saveexec_b32 s8, s0
	s_cbranch_execz .LBB19_16
; %bb.15:                               ;   in Loop: Header=BB19_14 Depth=1
	ds_store_b32 v19, v29
.LBB19_16:                              ;   in Loop: Header=BB19_14 Depth=1
	s_or_b32 exec_lo, exec_lo, s8
	v_dual_mov_b32 v4, v14 :: v_dual_mov_b32 v5, v16
	s_mov_b32 s8, 0
.LBB19_17:                              ;   Parent Loop BB19_14 Depth=1
                                        ; =>  This Inner Loop Header: Depth=2
	s_delay_alu instid0(VALU_DEP_1) | instskip(SKIP_4) | instid1(SALU_CYCLE_1)
	v_add_nc_u32_e32 v5, 0x100, v5
	ds_store_b32 v4, v29
	v_add_nc_u32_e32 v4, 0x400, v4
	v_cmp_lt_u32_e32 vcc_lo, 0x2ff, v5
	s_or_b32 s8, vcc_lo, s8
	s_and_not1_b32 exec_lo, exec_lo, s8
	s_cbranch_execnz .LBB19_17
; %bb.18:                               ;   in Loop: Header=BB19_14 Depth=1
	s_or_b32 exec_lo, exec_lo, s8
	s_and_saveexec_b32 s8, s1
	s_cbranch_execz .LBB19_20
; %bb.19:                               ;   in Loop: Header=BB19_14 Depth=1
	v_mov_b32_e32 v4, s37
	ds_store_b32 v29, v4 offset:5184
.LBB19_20:                              ;   in Loop: Header=BB19_14 Depth=1
	s_or_b32 exec_lo, exec_lo, s8
	v_mov_b32_e32 v33, s37
	s_and_not1_b32 vcc_lo, exec_lo, s39
	s_waitcnt lgkmcnt(0)
	s_barrier
	buffer_gl0_inv
	s_cbranch_vccnz .LBB19_56
; %bb.21:                               ;   in Loop: Header=BB19_14 Depth=1
	v_cmp_ne_u32_e64 s8, 0, v31
	v_mov_b32_e32 v33, s37
	s_mov_b32 s51, s46
	s_branch .LBB19_23
.LBB19_22:                              ;   in Loop: Header=BB19_23 Depth=2
	s_or_b32 exec_lo, exec_lo, s10
	s_add_i32 s51, s51, 4
	s_delay_alu instid0(SALU_CYCLE_1)
	s_cmp_lt_i32 s51, s33
	s_cbranch_scc0 .LBB19_56
.LBB19_23:                              ;   Parent Loop BB19_14 Depth=1
                                        ; =>  This Loop Header: Depth=2
                                        ;       Child Loop BB19_36 Depth 3
                                        ;         Child Loop BB19_45 Depth 4
                                        ;         Child Loop BB19_50 Depth 4
	v_add_nc_u32_e32 v4, s51, v13
	s_waitcnt_vscnt null, 0x0
	s_barrier
	buffer_gl0_inv
	v_cmp_gt_i32_e64 s9, s33, v4
	s_delay_alu instid0(VALU_DEP_1)
	s_and_saveexec_b32 s10, s9
	s_cbranch_execz .LBB19_27
; %bb.24:                               ;   in Loop: Header=BB19_23 Depth=2
	v_mov_b32_e32 v5, 0
	s_and_saveexec_b32 s52, s7
	s_cbranch_execz .LBB19_26
; %bb.25:                               ;   in Loop: Header=BB19_23 Depth=2
	v_mad_u64_u32 v[5:6], null, v4, s38, v[2:3]
	s_delay_alu instid0(VALU_DEP_1) | instskip(NEXT) | instid1(VALU_DEP_1)
	v_mad_u64_u32 v[6:7], null, v5, s38, v[1:2]
	v_ashrrev_i32_e32 v7, 31, v6
	s_delay_alu instid0(VALU_DEP_1) | instskip(NEXT) | instid1(VALU_DEP_1)
	v_lshlrev_b64 v[5:6], 2, v[6:7]
	v_add_co_u32 v5, vcc_lo, s22, v5
	s_delay_alu instid0(VALU_DEP_2)
	v_add_co_ci_u32_e32 v6, vcc_lo, s23, v6, vcc_lo
	global_load_b32 v5, v[5:6], off
.LBB19_26:                              ;   in Loop: Header=BB19_23 Depth=2
	s_or_b32 exec_lo, exec_lo, s52
	s_waitcnt vmcnt(0)
	ds_store_b32 v17, v5
.LBB19_27:                              ;   in Loop: Header=BB19_23 Depth=2
	s_or_b32 exec_lo, exec_lo, s10
	v_mov_b32_e32 v6, 0
	s_waitcnt lgkmcnt(0)
	s_barrier
	buffer_gl0_inv
	s_and_saveexec_b32 s52, s9
	s_cbranch_execz .LBB19_53
; %bb.28:                               ;   in Loop: Header=BB19_23 Depth=2
	v_ashrrev_i32_e32 v5, 31, v4
	s_delay_alu instid0(VALU_DEP_1) | instskip(NEXT) | instid1(VALU_DEP_1)
	v_lshlrev_b64 v[5:6], 2, v[4:5]
	v_add_co_u32 v7, vcc_lo, s20, v5
	s_delay_alu instid0(VALU_DEP_2) | instskip(SKIP_4) | instid1(VALU_DEP_1)
	v_add_co_ci_u32_e32 v8, vcc_lo, s21, v6, vcc_lo
	s_and_b32 vcc_lo, exec_lo, s8
	global_load_b32 v7, v[7:8], off
	s_waitcnt vmcnt(0)
	v_subrev_nc_u32_e32 v7, s28, v7
	v_ashrrev_i32_e32 v8, 31, v7
	s_cbranch_vccz .LBB19_55
; %bb.29:                               ;   in Loop: Header=BB19_23 Depth=2
	v_add_co_u32 v5, vcc_lo, s34, v5
	v_add_co_ci_u32_e32 v6, vcc_lo, s35, v6, vcc_lo
	global_load_b32 v6, v[5:6], off
	s_cbranch_execnz .LBB19_31
.LBB19_30:                              ;   in Loop: Header=BB19_23 Depth=2
	s_waitcnt vmcnt(0)
	s_delay_alu instid0(VALU_DEP_1) | instskip(NEXT) | instid1(VALU_DEP_1)
	v_lshlrev_b64 v[5:6], 2, v[7:8]
	v_add_co_u32 v5, vcc_lo, s24, v5
	s_delay_alu instid0(VALU_DEP_2)
	v_add_co_ci_u32_e32 v6, vcc_lo, s25, v6, vcc_lo
	global_load_b32 v5, v[5:6], off
	s_waitcnt vmcnt(0)
	v_subrev_nc_u32_e32 v6, s29, v5
.LBB19_31:                              ;   in Loop: Header=BB19_23 Depth=2
	v_lshlrev_b64 v[7:8], 2, v[7:8]
	s_mov_b32 s53, exec_lo
	s_delay_alu instid0(VALU_DEP_1) | instskip(NEXT) | instid1(VALU_DEP_2)
	v_add_co_u32 v7, vcc_lo, s47, v7
	v_add_co_ci_u32_e32 v8, vcc_lo, s49, v8, vcc_lo
	global_load_b32 v5, v[7:8], off
	s_waitcnt vmcnt(0)
	v_subrev_nc_u32_e32 v5, s29, v5
	s_delay_alu instid0(VALU_DEP_1)
	v_cmpx_lt_i32_e64 v6, v5
	s_cbranch_execz .LBB19_52
; %bb.32:                               ;   in Loop: Header=BB19_23 Depth=2
	v_mad_u64_u32 v[7:8], null, s38, v6, v[1:2]
	v_mad_u64_u32 v[8:9], null, s48, v6, v[1:2]
	v_mov_b32_e32 v35, v6
	s_mov_b32 s54, 0
	s_delay_alu instid0(VALU_DEP_3)
	v_mul_lo_u32 v34, s38, v7
	s_branch .LBB19_36
.LBB19_33:                              ;   in Loop: Header=BB19_36 Depth=3
	v_lshlrev_b32_e32 v7, 6, v7
	s_delay_alu instid0(VALU_DEP_2) | instskip(NEXT) | instid1(VALU_DEP_2)
	v_mul_f32_e32 v9, v11, v36
	v_or3_b32 v7, v7, v15, v1
	s_delay_alu instid0(VALU_DEP_1)
	v_lshlrev_b32_e32 v7, 2, v7
	ds_add_f32 v7, v9
.LBB19_34:                              ;   in Loop: Header=BB19_36 Depth=3
	s_or_b32 exec_lo, exec_lo, s57
	s_delay_alu instid0(SALU_CYCLE_1)
	s_or_b32 s55, s55, exec_lo
.LBB19_35:                              ;   in Loop: Header=BB19_36 Depth=3
	s_or_b32 exec_lo, exec_lo, s56
	v_add_nc_u32_e32 v6, 1, v6
	s_xor_b32 s10, s55, -1
	v_add_nc_u32_e32 v34, s48, v34
	v_add_nc_u32_e32 v8, s48, v8
	s_delay_alu instid0(VALU_DEP_3) | instskip(SKIP_1) | instid1(SALU_CYCLE_1)
	v_cmp_ge_i32_e32 vcc_lo, v6, v5
	s_or_b32 s10, s10, vcc_lo
	s_and_b32 s10, exec_lo, s10
	s_delay_alu instid0(SALU_CYCLE_1) | instskip(NEXT) | instid1(SALU_CYCLE_1)
	s_or_b32 s54, s10, s54
	s_and_not1_b32 exec_lo, exec_lo, s54
	s_cbranch_execz .LBB19_51
.LBB19_36:                              ;   Parent Loop BB19_14 Depth=1
                                        ;     Parent Loop BB19_23 Depth=2
                                        ; =>    This Loop Header: Depth=3
                                        ;         Child Loop BB19_45 Depth 4
                                        ;         Child Loop BB19_50 Depth 4
	v_ashrrev_i32_e32 v7, 31, v6
                                        ; implicit-def: $sgpr55
	s_delay_alu instid0(VALU_DEP_1) | instskip(NEXT) | instid1(VALU_DEP_1)
	v_lshlrev_b64 v[9:10], 2, v[6:7]
	v_add_co_u32 v9, vcc_lo, s26, v9
	s_delay_alu instid0(VALU_DEP_2) | instskip(SKIP_3) | instid1(VALU_DEP_1)
	v_add_co_ci_u32_e32 v10, vcc_lo, s27, v10, vcc_lo
	global_load_b32 v7, v[9:10], off
	s_waitcnt vmcnt(0)
	v_subrev_nc_u32_e32 v7, s29, v7
	v_cmp_lt_i32_e64 s10, v7, v31
	v_cmp_ge_i32_e32 vcc_lo, v7, v32
	s_delay_alu instid0(VALU_DEP_2) | instskip(NEXT) | instid1(SALU_CYCLE_1)
	s_or_b32 s10, s10, vcc_lo
	s_and_saveexec_b32 s56, s10
	s_delay_alu instid0(SALU_CYCLE_1)
	s_xor_b32 s10, exec_lo, s56
	s_cbranch_execz .LBB19_40
; %bb.37:                               ;   in Loop: Header=BB19_36 Depth=3
	s_mov_b32 s55, -1
	s_and_saveexec_b32 s56, vcc_lo
; %bb.38:                               ;   in Loop: Header=BB19_36 Depth=3
	v_min_i32_e32 v33, v7, v33
	v_mov_b32_e32 v35, v6
	s_xor_b32 s55, exec_lo, -1
; %bb.39:                               ;   in Loop: Header=BB19_36 Depth=3
	s_or_b32 exec_lo, exec_lo, s56
	s_delay_alu instid0(SALU_CYCLE_1)
	s_and_b32 s55, s55, exec_lo
                                        ; implicit-def: $vgpr7
.LBB19_40:                              ;   in Loop: Header=BB19_36 Depth=3
	s_and_not1_saveexec_b32 s56, s10
	s_cbranch_execz .LBB19_35
; %bb.41:                               ;   in Loop: Header=BB19_36 Depth=3
	v_sub_nc_u32_e32 v7, v7, v31
	s_delay_alu instid0(VALU_DEP_1)
	v_lshlrev_b32_e32 v9, 2, v7
	ds_store_b32 v9, v30 offset:5120
	s_and_saveexec_b32 s57, s7
	s_cbranch_execz .LBB19_34
; %bb.42:                               ;   in Loop: Header=BB19_36 Depth=3
	v_cndmask_b32_e64 v9, 0, 1, s36
	s_and_not1_b32 vcc_lo, exec_lo, s19
	s_delay_alu instid0(VALU_DEP_1)
	v_cmp_ne_u32_e64 s10, 1, v9
	s_cbranch_vccnz .LBB19_47
; %bb.43:                               ;   in Loop: Header=BB19_36 Depth=3
	v_mov_b32_e32 v36, 0
	s_delay_alu instid0(VALU_DEP_2)
	s_and_b32 vcc_lo, exec_lo, s10
	s_cbranch_vccnz .LBB19_46
; %bb.44:                               ;   in Loop: Header=BB19_36 Depth=3
	v_mov_b32_e32 v9, v34
	v_mov_b32_e32 v37, v25
	s_mov_b32 s10, s38
.LBB19_45:                              ;   Parent Loop BB19_14 Depth=1
                                        ;     Parent Loop BB19_23 Depth=2
                                        ;       Parent Loop BB19_36 Depth=3
                                        ; =>      This Inner Loop Header: Depth=4
	s_delay_alu instid0(VALU_DEP_2) | instskip(SKIP_1) | instid1(SALU_CYCLE_1)
	v_ashrrev_i32_e32 v10, 31, v9
	s_add_i32 s10, s10, -1
	s_cmp_lg_u32 s10, 0
	s_delay_alu instid0(VALU_DEP_1) | instskip(SKIP_1) | instid1(VALU_DEP_2)
	v_lshlrev_b64 v[38:39], 2, v[9:10]
	v_add_nc_u32_e32 v9, 1, v9
	v_add_co_u32 v38, vcc_lo, s44, v38
	s_delay_alu instid0(VALU_DEP_3)
	v_add_co_ci_u32_e32 v39, vcc_lo, s45, v39, vcc_lo
	global_load_b32 v10, v[38:39], off
	ds_load_b32 v38, v37
	s_waitcnt vmcnt(0) lgkmcnt(0)
	v_dual_fmac_f32 v36, v38, v10 :: v_dual_add_nc_u32 v37, 32, v37
	s_cbranch_scc1 .LBB19_45
.LBB19_46:                              ;   in Loop: Header=BB19_36 Depth=3
	s_cbranch_execnz .LBB19_33
	s_branch .LBB19_48
.LBB19_47:                              ;   in Loop: Header=BB19_36 Depth=3
                                        ; implicit-def: $vgpr36
.LBB19_48:                              ;   in Loop: Header=BB19_36 Depth=3
	v_mov_b32_e32 v36, 0
	s_and_not1_b32 vcc_lo, exec_lo, s36
	s_cbranch_vccnz .LBB19_33
; %bb.49:                               ;   in Loop: Header=BB19_36 Depth=3
	v_mov_b32_e32 v37, v26
	v_mov_b32_e32 v9, v8
	s_mov_b32 s10, s38
	.p2align	6
.LBB19_50:                              ;   Parent Loop BB19_14 Depth=1
                                        ;     Parent Loop BB19_23 Depth=2
                                        ;       Parent Loop BB19_36 Depth=3
                                        ; =>      This Inner Loop Header: Depth=4
	s_delay_alu instid0(VALU_DEP_1) | instskip(SKIP_1) | instid1(SALU_CYCLE_1)
	v_ashrrev_i32_e32 v10, 31, v9
	s_add_i32 s10, s10, -1
	s_cmp_eq_u32 s10, 0
	s_delay_alu instid0(VALU_DEP_1) | instskip(SKIP_1) | instid1(VALU_DEP_2)
	v_lshlrev_b64 v[38:39], 2, v[9:10]
	v_add_nc_u32_e32 v9, s38, v9
	v_add_co_u32 v38, vcc_lo, s44, v38
	s_delay_alu instid0(VALU_DEP_3)
	v_add_co_ci_u32_e32 v39, vcc_lo, s45, v39, vcc_lo
	global_load_b32 v10, v[38:39], off
	ds_load_b32 v38, v37
	s_waitcnt vmcnt(0) lgkmcnt(0)
	v_dual_fmac_f32 v36, v38, v10 :: v_dual_add_nc_u32 v37, 4, v37
	s_cbranch_scc0 .LBB19_50
	s_branch .LBB19_33
.LBB19_51:                              ;   in Loop: Header=BB19_23 Depth=2
	s_or_b32 exec_lo, exec_lo, s54
	v_mov_b32_e32 v6, v35
.LBB19_52:                              ;   in Loop: Header=BB19_23 Depth=2
	s_or_b32 exec_lo, exec_lo, s53
.LBB19_53:                              ;   in Loop: Header=BB19_23 Depth=2
	s_delay_alu instid0(SALU_CYCLE_1)
	s_or_b32 exec_lo, exec_lo, s52
	s_waitcnt lgkmcnt(0)
	s_barrier
	buffer_gl0_inv
	s_and_saveexec_b32 s10, s9
	s_cbranch_execz .LBB19_22
; %bb.54:                               ;   in Loop: Header=BB19_23 Depth=2
	v_ashrrev_i32_e32 v5, 31, v4
	s_delay_alu instid0(VALU_DEP_1) | instskip(NEXT) | instid1(VALU_DEP_1)
	v_lshlrev_b64 v[4:5], 2, v[4:5]
	v_add_co_u32 v4, vcc_lo, s34, v4
	s_delay_alu instid0(VALU_DEP_2)
	v_add_co_ci_u32_e32 v5, vcc_lo, s35, v5, vcc_lo
	global_store_b32 v[4:5], v6, off
	s_branch .LBB19_22
.LBB19_55:                              ;   in Loop: Header=BB19_23 Depth=2
                                        ; implicit-def: $vgpr6
	s_branch .LBB19_30
.LBB19_56:                              ;   in Loop: Header=BB19_14 Depth=1
	s_and_not1_b32 vcc_lo, exec_lo, s11
	s_cbranch_vccnz .LBB19_68
; %bb.57:                               ;   in Loop: Header=BB19_14 Depth=1
	s_load_b64 s[8:9], s[12:13], 0x0
	s_mov_b32 s10, exec_lo
	s_waitcnt lgkmcnt(0)
	v_add_nc_u32_e32 v4, s8, v18
	s_sub_i32 s51, s9, s31
	s_delay_alu instid0(VALU_DEP_1) | instid1(SALU_CYCLE_1)
	v_cmpx_gt_i32_e64 s51, v4
	s_cbranch_execz .LBB19_67
; %bb.58:                               ;   in Loop: Header=BB19_14 Depth=1
	v_mad_u64_u32 v[5:6], null, s38, v4, v[0:1]
	s_mov_b32 s52, 0
	s_delay_alu instid0(VALU_DEP_1)
	v_mad_u64_u32 v[6:7], null, s38, v5, v[3:4]
	s_branch .LBB19_61
.LBB19_59:                              ;   in Loop: Header=BB19_61 Depth=2
	s_or_b32 exec_lo, exec_lo, s53
	s_delay_alu instid0(SALU_CYCLE_1)
	s_or_b32 s8, s8, exec_lo
.LBB19_60:                              ;   in Loop: Header=BB19_61 Depth=2
	s_or_b32 exec_lo, exec_lo, s9
	v_add_nc_u32_e32 v4, 4, v4
	s_xor_b32 s8, s8, -1
	v_add_nc_u32_e32 v6, s50, v6
	s_delay_alu instid0(VALU_DEP_2) | instskip(SKIP_1) | instid1(SALU_CYCLE_1)
	v_cmp_le_i32_e32 vcc_lo, s51, v4
	s_or_b32 s8, vcc_lo, s8
	s_and_b32 s8, exec_lo, s8
	s_delay_alu instid0(SALU_CYCLE_1) | instskip(NEXT) | instid1(SALU_CYCLE_1)
	s_or_b32 s52, s8, s52
	s_and_not1_b32 exec_lo, exec_lo, s52
	s_cbranch_execz .LBB19_66
.LBB19_61:                              ;   Parent Loop BB19_14 Depth=1
                                        ; =>  This Inner Loop Header: Depth=2
	v_ashrrev_i32_e32 v5, 31, v4
	s_delay_alu instid0(VALU_DEP_1) | instskip(NEXT) | instid1(VALU_DEP_1)
	v_lshlrev_b64 v[7:8], 2, v[4:5]
	v_add_co_u32 v7, vcc_lo, s14, v7
	s_delay_alu instid0(VALU_DEP_2) | instskip(SKIP_3) | instid1(VALU_DEP_1)
	v_add_co_ci_u32_e32 v8, vcc_lo, s15, v8, vcc_lo
	global_load_b32 v5, v[7:8], off
	s_waitcnt vmcnt(0)
	v_subrev_nc_u32_e32 v5, s31, v5
	v_cmp_lt_i32_e64 s8, v5, v31
	v_cmp_ge_i32_e64 s9, v5, v32
	v_cmp_lt_i32_e32 vcc_lo, v5, v32
	s_delay_alu instid0(VALU_DEP_2) | instskip(NEXT) | instid1(SALU_CYCLE_1)
	s_or_b32 s9, s8, s9
                                        ; implicit-def: $sgpr8
	s_and_saveexec_b32 s53, s9
	s_delay_alu instid0(SALU_CYCLE_1)
	s_xor_b32 s9, exec_lo, s53
; %bb.62:                               ;   in Loop: Header=BB19_61 Depth=2
	v_min_i32_e32 v5, v5, v33
	s_and_b32 s8, vcc_lo, exec_lo
	s_delay_alu instid0(VALU_DEP_1)
	v_cndmask_b32_e32 v33, v5, v33, vcc_lo
                                        ; implicit-def: $vgpr5
; %bb.63:                               ;   in Loop: Header=BB19_61 Depth=2
	s_and_not1_saveexec_b32 s9, s9
	s_cbranch_execz .LBB19_60
; %bb.64:                               ;   in Loop: Header=BB19_61 Depth=2
	v_sub_nc_u32_e32 v5, v5, v31
	s_delay_alu instid0(VALU_DEP_1)
	v_lshlrev_b32_e32 v7, 2, v5
	ds_store_b32 v7, v30 offset:5120
	s_and_saveexec_b32 s53, s7
	s_cbranch_execz .LBB19_59
; %bb.65:                               ;   in Loop: Header=BB19_61 Depth=2
	v_ashrrev_i32_e32 v7, 31, v6
	v_lshlrev_b32_e32 v5, 6, v5
	s_delay_alu instid0(VALU_DEP_2) | instskip(NEXT) | instid1(VALU_DEP_2)
	v_lshlrev_b64 v[7:8], 2, v[6:7]
	v_or3_b32 v5, v5, v15, v1
	s_delay_alu instid0(VALU_DEP_1) | instskip(NEXT) | instid1(VALU_DEP_3)
	v_lshlrev_b32_e32 v5, 2, v5
	v_add_co_u32 v7, vcc_lo, s16, v7
	s_delay_alu instid0(VALU_DEP_4)
	v_add_co_ci_u32_e32 v8, vcc_lo, s17, v8, vcc_lo
	global_load_b32 v7, v[7:8], off
	s_waitcnt vmcnt(0)
	v_mul_f32_e32 v7, v12, v7
	ds_add_f32 v5, v7
	s_branch .LBB19_59
.LBB19_66:                              ;   in Loop: Header=BB19_14 Depth=1
	s_or_b32 exec_lo, exec_lo, s52
.LBB19_67:                              ;   in Loop: Header=BB19_14 Depth=1
	s_delay_alu instid0(SALU_CYCLE_1)
	s_or_b32 exec_lo, exec_lo, s10
.LBB19_68:                              ;   in Loop: Header=BB19_14 Depth=1
	s_and_saveexec_b32 s8, s2
	s_cbranch_execz .LBB19_73
; %bb.69:                               ;   in Loop: Header=BB19_14 Depth=1
	s_mov_b32 s10, exec_lo
	s_brev_b32 s9, -2
.LBB19_70:                              ;   Parent Loop BB19_14 Depth=1
                                        ; =>  This Inner Loop Header: Depth=2
	s_ctz_i32_b32 s51, s10
	s_delay_alu instid0(SALU_CYCLE_1) | instskip(SKIP_1) | instid1(SALU_CYCLE_1)
	v_readlane_b32 s52, v33, s51
	s_lshl_b32 s51, 1, s51
	s_and_not1_b32 s10, s10, s51
	s_delay_alu instid0(VALU_DEP_1)
	s_min_i32 s9, s9, s52
	s_cmp_lg_u32 s10, 0
	s_cbranch_scc1 .LBB19_70
; %bb.71:                               ;   in Loop: Header=BB19_14 Depth=1
	v_mbcnt_lo_u32_b32 v4, exec_lo, 0
	s_mov_b32 s10, exec_lo
	s_delay_alu instid0(VALU_DEP_1)
	v_cmpx_eq_u32_e32 0, v4
	s_xor_b32 s10, exec_lo, s10
	s_cbranch_execz .LBB19_73
; %bb.72:                               ;   in Loop: Header=BB19_14 Depth=1
	v_mov_b32_e32 v4, s9
	ds_min_i32 v29, v4 offset:5184
.LBB19_73:                              ;   in Loop: Header=BB19_14 Depth=1
	s_or_b32 exec_lo, exec_lo, s8
	s_waitcnt lgkmcnt(0)
	s_waitcnt_vscnt null, 0x0
	s_barrier
	buffer_gl0_inv
	ds_load_b32 v4, v20
	s_waitcnt lgkmcnt(0)
	s_barrier
	buffer_gl0_inv
	s_and_saveexec_b32 s8, s3
	s_cbranch_execz .LBB19_75
; %bb.74:                               ;   in Loop: Header=BB19_14 Depth=1
	ds_load_b32 v5, v21
	s_waitcnt lgkmcnt(0)
	v_add_nc_u32_e32 v4, v5, v4
.LBB19_75:                              ;   in Loop: Header=BB19_14 Depth=1
	s_or_b32 exec_lo, exec_lo, s8
	s_barrier
	buffer_gl0_inv
	ds_store_b32 v20, v4
	s_waitcnt lgkmcnt(0)
	s_barrier
	buffer_gl0_inv
	s_and_saveexec_b32 s8, s4
	s_cbranch_execz .LBB19_77
; %bb.76:                               ;   in Loop: Header=BB19_14 Depth=1
	ds_load_b32 v5, v22
	s_waitcnt lgkmcnt(0)
	v_add_nc_u32_e32 v4, v5, v4
.LBB19_77:                              ;   in Loop: Header=BB19_14 Depth=1
	s_or_b32 exec_lo, exec_lo, s8
	s_barrier
	buffer_gl0_inv
	ds_store_b32 v20, v4
	;; [unrolled: 14-line block ×4, first 2 shown]
	s_waitcnt lgkmcnt(0)
	s_barrier
	buffer_gl0_inv
	ds_load_b32 v6, v29 offset:5180
	v_mov_b32_e32 v5, 0
	s_and_saveexec_b32 s8, s18
	s_cbranch_execz .LBB19_83
; %bb.82:                               ;   in Loop: Header=BB19_14 Depth=1
	ds_load_b32 v5, v21
.LBB19_83:                              ;   in Loop: Header=BB19_14 Depth=1
	s_or_b32 exec_lo, exec_lo, s8
	s_waitcnt lgkmcnt(0)
	v_cmp_eq_u32_e32 vcc_lo, v4, v5
	s_barrier
	buffer_gl0_inv
	s_and_b32 s9, s18, vcc_lo
	s_delay_alu instid0(SALU_CYCLE_1)
	s_and_saveexec_b32 s8, s9
	s_cbranch_execz .LBB19_85
; %bb.84:                               ;   in Loop: Header=BB19_14 Depth=1
	ds_store_b32 v20, v29
.LBB19_85:                              ;   in Loop: Header=BB19_14 Depth=1
	s_or_b32 exec_lo, exec_lo, s8
	v_dual_mov_b32 v10, v14 :: v_dual_add_nc_u32 v7, -1, v28
	v_dual_mov_b32 v9, v27 :: v_dual_add_nc_u32 v8, s30, v31
	v_mov_b32_e32 v31, v13
	s_mov_b32 s8, 0
	s_waitcnt lgkmcnt(0)
	s_barrier
	buffer_gl0_inv
	s_set_inst_prefetch_distance 0x1
	s_branch .LBB19_87
	.p2align	6
.LBB19_86:                              ;   in Loop: Header=BB19_87 Depth=2
	s_or_b32 exec_lo, exec_lo, s9
	v_add_nc_u32_e32 v4, 4, v31
	v_cmp_lt_u32_e32 vcc_lo, 11, v31
	v_add_nc_u32_e32 v10, 0x400, v10
	v_add_nc_u32_e32 v9, 16, v9
	s_delay_alu instid0(VALU_DEP_4) | instskip(SKIP_1) | instid1(SALU_CYCLE_1)
	v_mov_b32_e32 v31, v4
	s_or_b32 s8, vcc_lo, s8
	s_and_not1_b32 exec_lo, exec_lo, s8
	s_cbranch_execz .LBB19_13
.LBB19_87:                              ;   Parent Loop BB19_14 Depth=1
                                        ; =>  This Inner Loop Header: Depth=2
	ds_load_b32 v4, v9
	s_mov_b32 s9, exec_lo
	s_waitcnt lgkmcnt(0)
	v_cmpx_ne_u32_e32 0, v4
	s_cbranch_execz .LBB19_86
; %bb.88:                               ;   in Loop: Header=BB19_87 Depth=2
	v_add_nc_u32_e32 v4, v7, v4
	s_delay_alu instid0(VALU_DEP_1) | instskip(NEXT) | instid1(VALU_DEP_1)
	v_ashrrev_i32_e32 v5, 31, v4
	v_lshlrev_b64 v[32:33], 2, v[4:5]
	v_add_nc_u32_e32 v5, v8, v31
	s_delay_alu instid0(VALU_DEP_2) | instskip(NEXT) | instid1(VALU_DEP_3)
	v_add_co_u32 v32, vcc_lo, s40, v32
	v_add_co_ci_u32_e32 v33, vcc_lo, s41, v33, vcc_lo
	global_store_b32 v[32:33], v5, off
	s_and_b32 exec_lo, exec_lo, s7
	s_cbranch_execz .LBB19_86
; %bb.89:                               ;   in Loop: Header=BB19_87 Depth=2
	v_mad_u64_u32 v[32:33], null, v4, s38, v[0:1]
	s_delay_alu instid0(VALU_DEP_1) | instskip(SKIP_2) | instid1(VALU_DEP_1)
	v_mad_u64_u32 v[4:5], null, v32, s38, v[3:4]
	ds_load_b32 v32, v10
	v_ashrrev_i32_e32 v5, 31, v4
	v_lshlrev_b64 v[4:5], 2, v[4:5]
	s_delay_alu instid0(VALU_DEP_1) | instskip(NEXT) | instid1(VALU_DEP_2)
	v_add_co_u32 v4, vcc_lo, s42, v4
	v_add_co_ci_u32_e32 v5, vcc_lo, s43, v5, vcc_lo
	s_waitcnt lgkmcnt(0)
	global_store_b32 v[4:5], v32, off
	s_branch .LBB19_86
.LBB19_90:
	s_endpgm
	.section	.rodata,"a",@progbits
	.p2align	6, 0x0
	.amdhsa_kernel _ZN9rocsparseL38bsrgemm_block_per_row_atomic_multipassILj256ELj16ELj8EiifEEv20rocsparse_direction_T3_S2_PKS2_S4_NS_24const_host_device_scalarIT4_EEPKT2_S4_PKS6_SA_S4_SC_S7_SA_S4_SC_SA_PS2_PS6_PS8_21rocsparse_index_base_SG_SG_SG_bbb
		.amdhsa_group_segment_fixed_size 5188
		.amdhsa_private_segment_fixed_size 0
		.amdhsa_kernarg_size 172
		.amdhsa_user_sgpr_count 15
		.amdhsa_user_sgpr_dispatch_ptr 0
		.amdhsa_user_sgpr_queue_ptr 0
		.amdhsa_user_sgpr_kernarg_segment_ptr 1
		.amdhsa_user_sgpr_dispatch_id 0
		.amdhsa_user_sgpr_private_segment_size 0
		.amdhsa_wavefront_size32 1
		.amdhsa_uses_dynamic_stack 0
		.amdhsa_enable_private_segment 0
		.amdhsa_system_sgpr_workgroup_id_x 1
		.amdhsa_system_sgpr_workgroup_id_y 0
		.amdhsa_system_sgpr_workgroup_id_z 0
		.amdhsa_system_sgpr_workgroup_info 0
		.amdhsa_system_vgpr_workitem_id 0
		.amdhsa_next_free_vgpr 40
		.amdhsa_next_free_sgpr 58
		.amdhsa_reserve_vcc 1
		.amdhsa_float_round_mode_32 0
		.amdhsa_float_round_mode_16_64 0
		.amdhsa_float_denorm_mode_32 3
		.amdhsa_float_denorm_mode_16_64 3
		.amdhsa_dx10_clamp 1
		.amdhsa_ieee_mode 1
		.amdhsa_fp16_overflow 0
		.amdhsa_workgroup_processor_mode 1
		.amdhsa_memory_ordered 1
		.amdhsa_forward_progress 0
		.amdhsa_shared_vgpr_count 0
		.amdhsa_exception_fp_ieee_invalid_op 0
		.amdhsa_exception_fp_denorm_src 0
		.amdhsa_exception_fp_ieee_div_zero 0
		.amdhsa_exception_fp_ieee_overflow 0
		.amdhsa_exception_fp_ieee_underflow 0
		.amdhsa_exception_fp_ieee_inexact 0
		.amdhsa_exception_int_div_zero 0
	.end_amdhsa_kernel
	.section	.text._ZN9rocsparseL38bsrgemm_block_per_row_atomic_multipassILj256ELj16ELj8EiifEEv20rocsparse_direction_T3_S2_PKS2_S4_NS_24const_host_device_scalarIT4_EEPKT2_S4_PKS6_SA_S4_SC_S7_SA_S4_SC_SA_PS2_PS6_PS8_21rocsparse_index_base_SG_SG_SG_bbb,"axG",@progbits,_ZN9rocsparseL38bsrgemm_block_per_row_atomic_multipassILj256ELj16ELj8EiifEEv20rocsparse_direction_T3_S2_PKS2_S4_NS_24const_host_device_scalarIT4_EEPKT2_S4_PKS6_SA_S4_SC_S7_SA_S4_SC_SA_PS2_PS6_PS8_21rocsparse_index_base_SG_SG_SG_bbb,comdat
.Lfunc_end19:
	.size	_ZN9rocsparseL38bsrgemm_block_per_row_atomic_multipassILj256ELj16ELj8EiifEEv20rocsparse_direction_T3_S2_PKS2_S4_NS_24const_host_device_scalarIT4_EEPKT2_S4_PKS6_SA_S4_SC_S7_SA_S4_SC_SA_PS2_PS6_PS8_21rocsparse_index_base_SG_SG_SG_bbb, .Lfunc_end19-_ZN9rocsparseL38bsrgemm_block_per_row_atomic_multipassILj256ELj16ELj8EiifEEv20rocsparse_direction_T3_S2_PKS2_S4_NS_24const_host_device_scalarIT4_EEPKT2_S4_PKS6_SA_S4_SC_S7_SA_S4_SC_SA_PS2_PS6_PS8_21rocsparse_index_base_SG_SG_SG_bbb
                                        ; -- End function
	.section	.AMDGPU.csdata,"",@progbits
; Kernel info:
; codeLenInByte = 3164
; NumSgprs: 60
; NumVgprs: 40
; ScratchSize: 0
; MemoryBound: 0
; FloatMode: 240
; IeeeMode: 1
; LDSByteSize: 5188 bytes/workgroup (compile time only)
; SGPRBlocks: 7
; VGPRBlocks: 4
; NumSGPRsForWavesPerEU: 60
; NumVGPRsForWavesPerEU: 40
; Occupancy: 16
; WaveLimiterHint : 1
; COMPUTE_PGM_RSRC2:SCRATCH_EN: 0
; COMPUTE_PGM_RSRC2:USER_SGPR: 15
; COMPUTE_PGM_RSRC2:TRAP_HANDLER: 0
; COMPUTE_PGM_RSRC2:TGID_X_EN: 1
; COMPUTE_PGM_RSRC2:TGID_Y_EN: 0
; COMPUTE_PGM_RSRC2:TGID_Z_EN: 0
; COMPUTE_PGM_RSRC2:TIDIG_COMP_CNT: 0
	.section	.text._ZN9rocsparseL38bsrgemm_block_per_row_atomic_multipassILj256ELj32ELj8EiifEEv20rocsparse_direction_T3_S2_PKS2_S4_NS_24const_host_device_scalarIT4_EEPKT2_S4_PKS6_SA_S4_SC_S7_SA_S4_SC_SA_PS2_PS6_PS8_21rocsparse_index_base_SG_SG_SG_bbb,"axG",@progbits,_ZN9rocsparseL38bsrgemm_block_per_row_atomic_multipassILj256ELj32ELj8EiifEEv20rocsparse_direction_T3_S2_PKS2_S4_NS_24const_host_device_scalarIT4_EEPKT2_S4_PKS6_SA_S4_SC_S7_SA_S4_SC_SA_PS2_PS6_PS8_21rocsparse_index_base_SG_SG_SG_bbb,comdat
	.globl	_ZN9rocsparseL38bsrgemm_block_per_row_atomic_multipassILj256ELj32ELj8EiifEEv20rocsparse_direction_T3_S2_PKS2_S4_NS_24const_host_device_scalarIT4_EEPKT2_S4_PKS6_SA_S4_SC_S7_SA_S4_SC_SA_PS2_PS6_PS8_21rocsparse_index_base_SG_SG_SG_bbb ; -- Begin function _ZN9rocsparseL38bsrgemm_block_per_row_atomic_multipassILj256ELj32ELj8EiifEEv20rocsparse_direction_T3_S2_PKS2_S4_NS_24const_host_device_scalarIT4_EEPKT2_S4_PKS6_SA_S4_SC_S7_SA_S4_SC_SA_PS2_PS6_PS8_21rocsparse_index_base_SG_SG_SG_bbb
	.p2align	8
	.type	_ZN9rocsparseL38bsrgemm_block_per_row_atomic_multipassILj256ELj32ELj8EiifEEv20rocsparse_direction_T3_S2_PKS2_S4_NS_24const_host_device_scalarIT4_EEPKT2_S4_PKS6_SA_S4_SC_S7_SA_S4_SC_SA_PS2_PS6_PS8_21rocsparse_index_base_SG_SG_SG_bbb,@function
_ZN9rocsparseL38bsrgemm_block_per_row_atomic_multipassILj256ELj32ELj8EiifEEv20rocsparse_direction_T3_S2_PKS2_S4_NS_24const_host_device_scalarIT4_EEPKT2_S4_PKS6_SA_S4_SC_S7_SA_S4_SC_SA_PS2_PS6_PS8_21rocsparse_index_base_SG_SG_SG_bbb: ; @_ZN9rocsparseL38bsrgemm_block_per_row_atomic_multipassILj256ELj32ELj8EiifEEv20rocsparse_direction_T3_S2_PKS2_S4_NS_24const_host_device_scalarIT4_EEPKT2_S4_PKS6_SA_S4_SC_S7_SA_S4_SC_SA_PS2_PS6_PS8_21rocsparse_index_base_SG_SG_SG_bbb
; %bb.0:
	s_clause 0x3
	s_load_b32 s3, s[0:1], 0xa8
	s_load_b128 s[36:39], s[0:1], 0x98
	s_load_b64 s[6:7], s[0:1], 0x20
	s_load_b64 s[4:5], s[0:1], 0x58
	s_mov_b32 s2, s15
	s_waitcnt lgkmcnt(0)
	s_bitcmp1_b32 s3, 0
	s_cselect_b32 s12, -1, 0
	s_bitcmp1_b32 s3, 16
	s_cselect_b32 s8, -1, 0
	s_xor_b32 s9, s12, -1
	s_delay_alu instid0(SALU_CYCLE_1) | instskip(NEXT) | instid1(SALU_CYCLE_1)
	s_or_b32 s9, s9, s8
	s_and_b32 vcc_lo, exec_lo, s9
	s_cbranch_vccnz .LBB20_2
; %bb.1:
	s_load_b32 s6, s[6:7], 0x0
	s_waitcnt lgkmcnt(0)
	v_mov_b32_e32 v12, s6
	s_branch .LBB20_3
.LBB20_2:
	v_cndmask_b32_e64 v12, 0, s6, s12
.LBB20_3:
	s_load_b64 s[6:7], s[0:1], 0x18
	s_bitcmp1_b32 s3, 8
	s_cselect_b32 s15, -1, 0
	s_delay_alu instid0(SALU_CYCLE_1) | instskip(NEXT) | instid1(SALU_CYCLE_1)
	s_xor_b32 s3, s15, -1
	s_or_b32 s3, s3, s8
	s_delay_alu instid0(SALU_CYCLE_1)
	s_and_b32 vcc_lo, exec_lo, s3
	s_cbranch_vccnz .LBB20_5
; %bb.4:
	s_load_b32 s3, s[4:5], 0x0
	s_waitcnt lgkmcnt(0)
	v_mov_b32_e32 v13, s3
	s_load_b64 s[4:5], s[0:1], 0x28
	s_cmp_eq_u64 s[6:7], 0
	s_cbranch_scc0 .LBB20_6
	s_branch .LBB20_7
.LBB20_5:
	v_cndmask_b32_e64 v13, 0, s4, s15
	s_load_b64 s[4:5], s[0:1], 0x28
	s_waitcnt lgkmcnt(0)
	s_cmp_eq_u64 s[6:7], 0
	s_cbranch_scc1 .LBB20_7
.LBB20_6:
	s_load_b64 s[8:9], s[0:1], 0x10
	s_waitcnt lgkmcnt(0)
	s_load_b32 s3, s[8:9], 0x0
	s_waitcnt lgkmcnt(0)
	s_add_i32 s2, s3, s2
	s_mov_b32 s3, 0
	s_delay_alu instid0(SALU_CYCLE_1) | instskip(NEXT) | instid1(SALU_CYCLE_1)
	s_lshl_b64 s[2:3], s[2:3], 2
	s_add_u32 s2, s6, s2
	s_addc_u32 s3, s7, s3
	s_load_b32 s2, s[2:3], 0x0
.LBB20_7:
	s_mov_b32 s33, 0
	s_and_not1_b32 vcc_lo, exec_lo, s12
	s_mov_b32 s50, 0
	s_cbranch_vccz .LBB20_10
; %bb.8:
	s_and_not1_b32 vcc_lo, exec_lo, s12
	s_cbranch_vccz .LBB20_11
.LBB20_9:
	s_load_b128 s[40:43], s[0:1], 0x0
	s_waitcnt lgkmcnt(0)
	s_cmp_lt_i32 s41, 1
	s_cbranch_scc0 .LBB20_12
	s_branch .LBB20_96
.LBB20_10:
	s_waitcnt lgkmcnt(0)
	s_ashr_i32 s3, s2, 31
	s_delay_alu instid0(SALU_CYCLE_1) | instskip(NEXT) | instid1(SALU_CYCLE_1)
	s_lshl_b64 s[6:7], s[2:3], 2
	s_add_u32 s6, s4, s6
	s_addc_u32 s7, s5, s7
	s_load_b32 s3, s[6:7], 0x0
	s_waitcnt lgkmcnt(0)
	s_sub_i32 s50, s3, s36
	s_and_not1_b32 vcc_lo, exec_lo, s12
	s_cbranch_vccnz .LBB20_9
.LBB20_11:
	s_waitcnt lgkmcnt(0)
	s_ashr_i32 s3, s2, 31
	s_delay_alu instid0(SALU_CYCLE_1) | instskip(NEXT) | instid1(SALU_CYCLE_1)
	s_lshl_b64 s[6:7], s[2:3], 2
	s_add_u32 s4, s4, s6
	s_addc_u32 s5, s5, s7
	s_load_b32 s3, s[4:5], 0x4
	s_waitcnt lgkmcnt(0)
	s_sub_i32 s33, s3, s36
	s_load_b128 s[40:43], s[0:1], 0x0
	s_waitcnt lgkmcnt(0)
	s_cmp_lt_i32 s41, 1
	s_cbranch_scc1 .LBB20_96
.LBB20_12:
	s_clause 0x4
	s_load_b256 s[16:23], s[0:1], 0x60
	s_load_b64 s[34:35], s[0:1], 0x90
	s_load_b128 s[44:47], s[0:1], 0x80
	s_load_b64 s[48:49], s[0:1], 0x50
	s_load_b256 s[24:31], s[0:1], 0x30
	s_ashr_i32 s3, s2, 31
	v_dual_mov_b32 v32, 0 :: v_dual_and_b32 v1, 7, v0
	s_lshl_b64 s[10:11], s[2:3], 2
	v_bfe_u32 v2, v0, 3, 3
	v_lshrrev_b32_e32 v14, 6, v0
	v_dual_mov_b32 v33, 32 :: v_dual_and_b32 v4, 31, v0
	v_or_b32_e32 v5, 0x400, v0
	s_delay_alu instid0(VALU_DEP_4)
	v_max_i32_e32 v6, v1, v2
	v_cmp_gt_u32_e64 s0, 32, v0
	v_cmp_eq_u32_e64 s1, 0, v0
	v_subrev_nc_u32_e32 v18, s39, v14
	v_cmp_gt_u32_e64 s8, 0x700, v5
	v_cmp_gt_i32_e64 s9, s42, v6
	s_waitcnt lgkmcnt(0)
	s_add_u32 s2, s22, s10
	s_addc_u32 s3, s23, s11
	v_add_co_u32 v7, s22, v4, -1
	s_load_b32 s13, s[2:3], 0x0
	v_lshlrev_b32_e32 v5, 8, v14
	v_lshlrev_b32_e32 v6, 2, v2
	v_cmp_ne_u32_e64 s3, 0, v4
	v_cmp_lt_u32_e64 s4, 1, v4
	v_cmp_lt_u32_e64 s5, 3, v4
	;; [unrolled: 1-line block ×4, first 2 shown]
	v_lshl_add_u32 v21, v7, 2, 0x2400
	v_lshl_or_b32 v27, v14, 2, 0x2400
	s_mul_i32 s52, s42, s42
	v_dual_mov_b32 v30, 1 :: v_dual_mov_b32 v29, 0
	s_waitcnt lgkmcnt(0)
	s_sub_i32 s13, s13, s38
	s_cmp_lt_i32 s50, s33
	v_dual_mov_b32 v28, s13 :: v_dual_lshlrev_b32 v15, 2, v0
	s_cselect_b32 s14, -1, 0
	s_cmp_eq_u32 s40, 0
	s_cselect_b32 vcc_lo, -1, 0
	v_and_b32_e32 v3, 63, v0
	s_cmp_lg_u32 s40, 0
	v_and_b32_e32 v16, 56, v0
	s_cselect_b32 s23, -1, 0
	s_cmp_gt_i32 s42, 0
	v_cmp_eq_u32_e64 s2, 63, v3
	v_lshlrev_b32_e32 v3, 2, v4
	s_cselect_b32 s40, -1, 0
	s_add_u32 s16, s16, s10
	s_addc_u32 s17, s17, s11
	s_and_b32 s43, s12, s14
	s_movk_i32 s12, 0x3e0
	v_or_b32_e32 v17, 0x2000, v15
	v_or_b32_e32 v19, 0x2400, v15
	v_or_b32_e32 v20, 0x2400, v3
	v_add_nc_u32_e32 v22, 0x23f8, v3
	v_add_nc_u32_e32 v23, 0x23f0, v3
	v_add_nc_u32_e32 v24, 0x23e0, v3
	v_add_nc_u32_e32 v25, 0x23c0, v3
	v_dual_cndmask_b32 v3, v1, v2 :: v_dual_cndmask_b32 v4, v2, v1
	v_cmp_gt_u32_e64 s10, 0x200, v0
	v_cmp_gt_u32_e64 s11, 0x100, v0
	v_or3_b32 v0, v5, v6, 0x2000
	v_and_or_b32 v26, v15, s12, 0x2000
	v_cndmask_b32_e64 v31, 0, 1, s40
	s_add_u32 s51, s28, 4
	s_addc_u32 s53, s29, 0
	s_lshl_b32 s54, s52, 2
	s_branch .LBB20_14
.LBB20_13:                              ;   in Loop: Header=BB20_14 Depth=1
	s_set_inst_prefetch_distance 0x2
	s_or_b32 exec_lo, exec_lo, s12
	s_waitcnt_vscnt null, 0x0
	s_barrier
	buffer_gl0_inv
	ds_load_b32 v32, v29 offset:9344
	v_add_nc_u32_e32 v28, v7, v28
	s_waitcnt lgkmcnt(0)
	s_barrier
	buffer_gl0_inv
	v_cmp_le_i32_e32 vcc_lo, s41, v32
	v_add_nc_u32_e32 v33, 32, v32
	s_cbranch_vccnz .LBB20_96
.LBB20_14:                              ; =>This Loop Header: Depth=1
                                        ;     Child Loop BB20_27 Depth 2
                                        ;       Child Loop BB20_40 Depth 3
                                        ;         Child Loop BB20_49 Depth 4
                                        ;         Child Loop BB20_54 Depth 4
                                        ;     Child Loop BB20_65 Depth 2
                                        ;     Child Loop BB20_74 Depth 2
	;; [unrolled: 1-line block ×3, first 2 shown]
	s_and_saveexec_b32 s12, s0
	s_cbranch_execz .LBB20_16
; %bb.15:                               ;   in Loop: Header=BB20_14 Depth=1
	ds_store_b32 v19, v29
.LBB20_16:                              ;   in Loop: Header=BB20_14 Depth=1
	s_or_b32 exec_lo, exec_lo, s12
	ds_store_2addr_stride64_b32 v15, v29, v29 offset1:4
	ds_store_2addr_stride64_b32 v15, v29, v29 offset0:8 offset1:12
	ds_store_b32 v15, v29 offset:4096
	s_and_saveexec_b32 s12, s8
	s_delay_alu instid0(SALU_CYCLE_1)
	s_xor_b32 s12, exec_lo, s12
	s_cbranch_execz .LBB20_22
; %bb.17:                               ;   in Loop: Header=BB20_14 Depth=1
	ds_store_b32 v15, v29 offset:5120
	s_and_saveexec_b32 s13, s10
	s_delay_alu instid0(SALU_CYCLE_1)
	s_xor_b32 s13, exec_lo, s13
	s_cbranch_execz .LBB20_21
; %bb.18:                               ;   in Loop: Header=BB20_14 Depth=1
	;; [unrolled: 6-line block ×3, first 2 shown]
	ds_store_b32 v15, v29 offset:7168
.LBB20_20:                              ;   in Loop: Header=BB20_14 Depth=1
	s_or_b32 exec_lo, exec_lo, s14
.LBB20_21:                              ;   in Loop: Header=BB20_14 Depth=1
	s_delay_alu instid0(SALU_CYCLE_1)
	s_or_b32 exec_lo, exec_lo, s13
.LBB20_22:                              ;   in Loop: Header=BB20_14 Depth=1
	s_delay_alu instid0(SALU_CYCLE_1)
	s_or_b32 exec_lo, exec_lo, s12
	s_and_saveexec_b32 s12, s1
	s_cbranch_execz .LBB20_24
; %bb.23:                               ;   in Loop: Header=BB20_14 Depth=1
	v_mov_b32_e32 v5, s41
	ds_store_b32 v29, v5 offset:9344
.LBB20_24:                              ;   in Loop: Header=BB20_14 Depth=1
	s_or_b32 exec_lo, exec_lo, s12
	v_mov_b32_e32 v34, s41
	s_and_not1_b32 vcc_lo, exec_lo, s43
	s_waitcnt lgkmcnt(0)
	s_barrier
	buffer_gl0_inv
	s_cbranch_vccnz .LBB20_60
; %bb.25:                               ;   in Loop: Header=BB20_14 Depth=1
	v_cmp_ne_u32_e64 s12, 0, v32
	v_mov_b32_e32 v34, s41
	s_mov_b32 s55, s50
	s_branch .LBB20_27
.LBB20_26:                              ;   in Loop: Header=BB20_27 Depth=2
	s_or_b32 exec_lo, exec_lo, s14
	s_add_i32 s55, s55, 4
	s_delay_alu instid0(SALU_CYCLE_1)
	s_cmp_lt_i32 s55, s33
	s_cbranch_scc0 .LBB20_60
.LBB20_27:                              ;   Parent Loop BB20_14 Depth=1
                                        ; =>  This Loop Header: Depth=2
                                        ;       Child Loop BB20_40 Depth 3
                                        ;         Child Loop BB20_49 Depth 4
                                        ;         Child Loop BB20_54 Depth 4
	v_add_nc_u32_e32 v5, s55, v14
	s_waitcnt_vscnt null, 0x0
	s_barrier
	buffer_gl0_inv
	v_cmp_gt_i32_e64 s13, s33, v5
	s_delay_alu instid0(VALU_DEP_1)
	s_and_saveexec_b32 s14, s13
	s_cbranch_execz .LBB20_31
; %bb.28:                               ;   in Loop: Header=BB20_27 Depth=2
	v_mov_b32_e32 v6, 0
	s_and_saveexec_b32 s56, s9
	s_cbranch_execz .LBB20_30
; %bb.29:                               ;   in Loop: Header=BB20_27 Depth=2
	v_mad_u64_u32 v[6:7], null, v5, s42, v[2:3]
	s_delay_alu instid0(VALU_DEP_1) | instskip(NEXT) | instid1(VALU_DEP_1)
	v_mad_u64_u32 v[7:8], null, v6, s42, v[1:2]
	v_ashrrev_i32_e32 v8, 31, v7
	s_delay_alu instid0(VALU_DEP_1) | instskip(NEXT) | instid1(VALU_DEP_1)
	v_lshlrev_b64 v[6:7], 2, v[7:8]
	v_add_co_u32 v6, vcc_lo, s26, v6
	s_delay_alu instid0(VALU_DEP_2)
	v_add_co_ci_u32_e32 v7, vcc_lo, s27, v7, vcc_lo
	global_load_b32 v6, v[6:7], off
.LBB20_30:                              ;   in Loop: Header=BB20_27 Depth=2
	s_or_b32 exec_lo, exec_lo, s56
	s_waitcnt vmcnt(0)
	ds_store_b32 v17, v6
.LBB20_31:                              ;   in Loop: Header=BB20_27 Depth=2
	s_or_b32 exec_lo, exec_lo, s14
	v_mov_b32_e32 v7, 0
	s_waitcnt lgkmcnt(0)
	s_barrier
	buffer_gl0_inv
	s_and_saveexec_b32 s56, s13
	s_cbranch_execz .LBB20_57
; %bb.32:                               ;   in Loop: Header=BB20_27 Depth=2
	v_ashrrev_i32_e32 v6, 31, v5
	s_delay_alu instid0(VALU_DEP_1) | instskip(NEXT) | instid1(VALU_DEP_1)
	v_lshlrev_b64 v[6:7], 2, v[5:6]
	v_add_co_u32 v8, vcc_lo, s24, v6
	s_delay_alu instid0(VALU_DEP_2) | instskip(SKIP_4) | instid1(VALU_DEP_1)
	v_add_co_ci_u32_e32 v9, vcc_lo, s25, v7, vcc_lo
	s_and_b32 vcc_lo, exec_lo, s12
	global_load_b32 v8, v[8:9], off
	s_waitcnt vmcnt(0)
	v_subrev_nc_u32_e32 v8, s36, v8
	v_ashrrev_i32_e32 v9, 31, v8
	s_cbranch_vccz .LBB20_59
; %bb.33:                               ;   in Loop: Header=BB20_27 Depth=2
	v_add_co_u32 v6, vcc_lo, s34, v6
	v_add_co_ci_u32_e32 v7, vcc_lo, s35, v7, vcc_lo
	global_load_b32 v7, v[6:7], off
	s_cbranch_execnz .LBB20_35
.LBB20_34:                              ;   in Loop: Header=BB20_27 Depth=2
	s_waitcnt vmcnt(0)
	s_delay_alu instid0(VALU_DEP_1) | instskip(NEXT) | instid1(VALU_DEP_1)
	v_lshlrev_b64 v[6:7], 2, v[8:9]
	v_add_co_u32 v6, vcc_lo, s28, v6
	s_delay_alu instid0(VALU_DEP_2)
	v_add_co_ci_u32_e32 v7, vcc_lo, s29, v7, vcc_lo
	global_load_b32 v6, v[6:7], off
	s_waitcnt vmcnt(0)
	v_subrev_nc_u32_e32 v7, s37, v6
.LBB20_35:                              ;   in Loop: Header=BB20_27 Depth=2
	v_lshlrev_b64 v[8:9], 2, v[8:9]
	s_mov_b32 s57, exec_lo
	s_delay_alu instid0(VALU_DEP_1) | instskip(NEXT) | instid1(VALU_DEP_2)
	v_add_co_u32 v8, vcc_lo, s51, v8
	v_add_co_ci_u32_e32 v9, vcc_lo, s53, v9, vcc_lo
	global_load_b32 v6, v[8:9], off
	s_waitcnt vmcnt(0)
	v_subrev_nc_u32_e32 v6, s37, v6
	s_delay_alu instid0(VALU_DEP_1)
	v_cmpx_lt_i32_e64 v7, v6
	s_cbranch_execz .LBB20_56
; %bb.36:                               ;   in Loop: Header=BB20_27 Depth=2
	v_mad_u64_u32 v[8:9], null, s42, v7, v[1:2]
	v_mad_u64_u32 v[9:10], null, s52, v7, v[1:2]
	v_mov_b32_e32 v36, v7
	s_mov_b32 s58, 0
	s_delay_alu instid0(VALU_DEP_3)
	v_mul_lo_u32 v35, s42, v8
	s_branch .LBB20_40
.LBB20_37:                              ;   in Loop: Header=BB20_40 Depth=3
	v_lshlrev_b32_e32 v8, 6, v8
	s_delay_alu instid0(VALU_DEP_2) | instskip(NEXT) | instid1(VALU_DEP_2)
	v_mul_f32_e32 v10, v12, v37
	v_or3_b32 v8, v8, v16, v1
	s_delay_alu instid0(VALU_DEP_1)
	v_lshlrev_b32_e32 v8, 2, v8
	ds_add_f32 v8, v10
.LBB20_38:                              ;   in Loop: Header=BB20_40 Depth=3
	s_or_b32 exec_lo, exec_lo, s61
	s_delay_alu instid0(SALU_CYCLE_1)
	s_or_b32 s59, s59, exec_lo
.LBB20_39:                              ;   in Loop: Header=BB20_40 Depth=3
	s_or_b32 exec_lo, exec_lo, s60
	v_add_nc_u32_e32 v7, 1, v7
	s_xor_b32 s14, s59, -1
	v_add_nc_u32_e32 v35, s52, v35
	v_add_nc_u32_e32 v9, s52, v9
	s_delay_alu instid0(VALU_DEP_3) | instskip(SKIP_1) | instid1(SALU_CYCLE_1)
	v_cmp_ge_i32_e32 vcc_lo, v7, v6
	s_or_b32 s14, s14, vcc_lo
	s_and_b32 s14, exec_lo, s14
	s_delay_alu instid0(SALU_CYCLE_1) | instskip(NEXT) | instid1(SALU_CYCLE_1)
	s_or_b32 s58, s14, s58
	s_and_not1_b32 exec_lo, exec_lo, s58
	s_cbranch_execz .LBB20_55
.LBB20_40:                              ;   Parent Loop BB20_14 Depth=1
                                        ;     Parent Loop BB20_27 Depth=2
                                        ; =>    This Loop Header: Depth=3
                                        ;         Child Loop BB20_49 Depth 4
                                        ;         Child Loop BB20_54 Depth 4
	v_ashrrev_i32_e32 v8, 31, v7
                                        ; implicit-def: $sgpr59
	s_delay_alu instid0(VALU_DEP_1) | instskip(NEXT) | instid1(VALU_DEP_1)
	v_lshlrev_b64 v[10:11], 2, v[7:8]
	v_add_co_u32 v10, vcc_lo, s30, v10
	s_delay_alu instid0(VALU_DEP_2) | instskip(SKIP_3) | instid1(VALU_DEP_1)
	v_add_co_ci_u32_e32 v11, vcc_lo, s31, v11, vcc_lo
	global_load_b32 v8, v[10:11], off
	s_waitcnt vmcnt(0)
	v_subrev_nc_u32_e32 v8, s37, v8
	v_cmp_lt_i32_e64 s14, v8, v32
	v_cmp_ge_i32_e32 vcc_lo, v8, v33
	s_delay_alu instid0(VALU_DEP_2) | instskip(NEXT) | instid1(SALU_CYCLE_1)
	s_or_b32 s14, s14, vcc_lo
	s_and_saveexec_b32 s60, s14
	s_delay_alu instid0(SALU_CYCLE_1)
	s_xor_b32 s14, exec_lo, s60
	s_cbranch_execz .LBB20_44
; %bb.41:                               ;   in Loop: Header=BB20_40 Depth=3
	s_mov_b32 s59, -1
	s_and_saveexec_b32 s60, vcc_lo
; %bb.42:                               ;   in Loop: Header=BB20_40 Depth=3
	v_min_i32_e32 v34, v8, v34
	v_mov_b32_e32 v36, v7
	s_xor_b32 s59, exec_lo, -1
; %bb.43:                               ;   in Loop: Header=BB20_40 Depth=3
	s_or_b32 exec_lo, exec_lo, s60
	s_delay_alu instid0(SALU_CYCLE_1)
	s_and_b32 s59, s59, exec_lo
                                        ; implicit-def: $vgpr8
.LBB20_44:                              ;   in Loop: Header=BB20_40 Depth=3
	s_and_not1_saveexec_b32 s60, s14
	s_cbranch_execz .LBB20_39
; %bb.45:                               ;   in Loop: Header=BB20_40 Depth=3
	v_sub_nc_u32_e32 v8, v8, v32
	s_delay_alu instid0(VALU_DEP_1)
	v_lshlrev_b32_e32 v10, 2, v8
	ds_store_b32 v10, v30 offset:9216
	s_and_saveexec_b32 s61, s9
	s_cbranch_execz .LBB20_38
; %bb.46:                               ;   in Loop: Header=BB20_40 Depth=3
	v_cmp_ne_u32_e64 s14, 1, v31
	s_and_not1_b32 vcc_lo, exec_lo, s23
	s_cbranch_vccnz .LBB20_51
; %bb.47:                               ;   in Loop: Header=BB20_40 Depth=3
	v_mov_b32_e32 v37, 0
	s_delay_alu instid0(VALU_DEP_2)
	s_and_b32 vcc_lo, exec_lo, s14
	s_cbranch_vccnz .LBB20_50
; %bb.48:                               ;   in Loop: Header=BB20_40 Depth=3
	v_mov_b32_e32 v10, v35
	v_mov_b32_e32 v38, v0
	s_mov_b32 s14, s42
.LBB20_49:                              ;   Parent Loop BB20_14 Depth=1
                                        ;     Parent Loop BB20_27 Depth=2
                                        ;       Parent Loop BB20_40 Depth=3
                                        ; =>      This Inner Loop Header: Depth=4
	s_delay_alu instid0(VALU_DEP_2) | instskip(SKIP_1) | instid1(SALU_CYCLE_1)
	v_ashrrev_i32_e32 v11, 31, v10
	s_add_i32 s14, s14, -1
	s_cmp_lg_u32 s14, 0
	s_delay_alu instid0(VALU_DEP_1) | instskip(SKIP_1) | instid1(VALU_DEP_2)
	v_lshlrev_b64 v[39:40], 2, v[10:11]
	v_add_nc_u32_e32 v10, 1, v10
	v_add_co_u32 v39, vcc_lo, s48, v39
	s_delay_alu instid0(VALU_DEP_3)
	v_add_co_ci_u32_e32 v40, vcc_lo, s49, v40, vcc_lo
	global_load_b32 v11, v[39:40], off
	ds_load_b32 v39, v38
	s_waitcnt vmcnt(0) lgkmcnt(0)
	v_dual_fmac_f32 v37, v39, v11 :: v_dual_add_nc_u32 v38, 32, v38
	s_cbranch_scc1 .LBB20_49
.LBB20_50:                              ;   in Loop: Header=BB20_40 Depth=3
	s_cbranch_execnz .LBB20_37
	s_branch .LBB20_52
.LBB20_51:                              ;   in Loop: Header=BB20_40 Depth=3
                                        ; implicit-def: $vgpr37
.LBB20_52:                              ;   in Loop: Header=BB20_40 Depth=3
	v_mov_b32_e32 v37, 0
	s_and_not1_b32 vcc_lo, exec_lo, s40
	s_cbranch_vccnz .LBB20_37
; %bb.53:                               ;   in Loop: Header=BB20_40 Depth=3
	v_mov_b32_e32 v38, v26
	v_mov_b32_e32 v10, v9
	s_mov_b32 s14, s42
	.p2align	6
.LBB20_54:                              ;   Parent Loop BB20_14 Depth=1
                                        ;     Parent Loop BB20_27 Depth=2
                                        ;       Parent Loop BB20_40 Depth=3
                                        ; =>      This Inner Loop Header: Depth=4
	s_delay_alu instid0(VALU_DEP_1) | instskip(SKIP_1) | instid1(SALU_CYCLE_1)
	v_ashrrev_i32_e32 v11, 31, v10
	s_add_i32 s14, s14, -1
	s_cmp_eq_u32 s14, 0
	s_delay_alu instid0(VALU_DEP_1) | instskip(SKIP_1) | instid1(VALU_DEP_2)
	v_lshlrev_b64 v[39:40], 2, v[10:11]
	v_add_nc_u32_e32 v10, s42, v10
	v_add_co_u32 v39, vcc_lo, s48, v39
	s_delay_alu instid0(VALU_DEP_3)
	v_add_co_ci_u32_e32 v40, vcc_lo, s49, v40, vcc_lo
	global_load_b32 v11, v[39:40], off
	ds_load_b32 v39, v38
	s_waitcnt vmcnt(0) lgkmcnt(0)
	v_dual_fmac_f32 v37, v39, v11 :: v_dual_add_nc_u32 v38, 4, v38
	s_cbranch_scc0 .LBB20_54
	s_branch .LBB20_37
.LBB20_55:                              ;   in Loop: Header=BB20_27 Depth=2
	s_or_b32 exec_lo, exec_lo, s58
	v_mov_b32_e32 v7, v36
.LBB20_56:                              ;   in Loop: Header=BB20_27 Depth=2
	s_or_b32 exec_lo, exec_lo, s57
.LBB20_57:                              ;   in Loop: Header=BB20_27 Depth=2
	s_delay_alu instid0(SALU_CYCLE_1)
	s_or_b32 exec_lo, exec_lo, s56
	s_waitcnt lgkmcnt(0)
	s_barrier
	buffer_gl0_inv
	s_and_saveexec_b32 s14, s13
	s_cbranch_execz .LBB20_26
; %bb.58:                               ;   in Loop: Header=BB20_27 Depth=2
	v_ashrrev_i32_e32 v6, 31, v5
	s_delay_alu instid0(VALU_DEP_1) | instskip(NEXT) | instid1(VALU_DEP_1)
	v_lshlrev_b64 v[5:6], 2, v[5:6]
	v_add_co_u32 v5, vcc_lo, s34, v5
	s_delay_alu instid0(VALU_DEP_2)
	v_add_co_ci_u32_e32 v6, vcc_lo, s35, v6, vcc_lo
	global_store_b32 v[5:6], v7, off
	s_branch .LBB20_26
.LBB20_59:                              ;   in Loop: Header=BB20_27 Depth=2
                                        ; implicit-def: $vgpr7
	s_branch .LBB20_34
.LBB20_60:                              ;   in Loop: Header=BB20_14 Depth=1
	s_and_not1_b32 vcc_lo, exec_lo, s15
	s_cbranch_vccnz .LBB20_72
; %bb.61:                               ;   in Loop: Header=BB20_14 Depth=1
	s_load_b64 s[12:13], s[16:17], 0x0
	s_mov_b32 s14, exec_lo
	s_waitcnt lgkmcnt(0)
	v_add_nc_u32_e32 v5, s12, v18
	s_sub_i32 s55, s13, s39
	s_delay_alu instid0(VALU_DEP_1) | instid1(SALU_CYCLE_1)
	v_cmpx_gt_i32_e64 s55, v5
	s_cbranch_execz .LBB20_71
; %bb.62:                               ;   in Loop: Header=BB20_14 Depth=1
	v_mad_u64_u32 v[6:7], null, s42, v5, v[3:4]
	s_mov_b32 s56, 0
	s_delay_alu instid0(VALU_DEP_1)
	v_mad_u64_u32 v[7:8], null, s42, v6, v[4:5]
	s_branch .LBB20_65
.LBB20_63:                              ;   in Loop: Header=BB20_65 Depth=2
	s_or_b32 exec_lo, exec_lo, s57
	s_delay_alu instid0(SALU_CYCLE_1)
	s_or_b32 s12, s12, exec_lo
.LBB20_64:                              ;   in Loop: Header=BB20_65 Depth=2
	s_or_b32 exec_lo, exec_lo, s13
	v_add_nc_u32_e32 v5, 4, v5
	s_xor_b32 s12, s12, -1
	v_add_nc_u32_e32 v7, s54, v7
	s_delay_alu instid0(VALU_DEP_2) | instskip(SKIP_1) | instid1(SALU_CYCLE_1)
	v_cmp_le_i32_e32 vcc_lo, s55, v5
	s_or_b32 s12, vcc_lo, s12
	s_and_b32 s12, exec_lo, s12
	s_delay_alu instid0(SALU_CYCLE_1) | instskip(NEXT) | instid1(SALU_CYCLE_1)
	s_or_b32 s56, s12, s56
	s_and_not1_b32 exec_lo, exec_lo, s56
	s_cbranch_execz .LBB20_70
.LBB20_65:                              ;   Parent Loop BB20_14 Depth=1
                                        ; =>  This Inner Loop Header: Depth=2
	v_ashrrev_i32_e32 v6, 31, v5
	s_delay_alu instid0(VALU_DEP_1) | instskip(NEXT) | instid1(VALU_DEP_1)
	v_lshlrev_b64 v[8:9], 2, v[5:6]
	v_add_co_u32 v8, vcc_lo, s18, v8
	s_delay_alu instid0(VALU_DEP_2) | instskip(SKIP_3) | instid1(VALU_DEP_1)
	v_add_co_ci_u32_e32 v9, vcc_lo, s19, v9, vcc_lo
	global_load_b32 v6, v[8:9], off
	s_waitcnt vmcnt(0)
	v_subrev_nc_u32_e32 v6, s39, v6
	v_cmp_lt_i32_e64 s12, v6, v32
	v_cmp_ge_i32_e64 s13, v6, v33
	v_cmp_lt_i32_e32 vcc_lo, v6, v33
	s_delay_alu instid0(VALU_DEP_2) | instskip(NEXT) | instid1(SALU_CYCLE_1)
	s_or_b32 s13, s12, s13
                                        ; implicit-def: $sgpr12
	s_and_saveexec_b32 s57, s13
	s_delay_alu instid0(SALU_CYCLE_1)
	s_xor_b32 s13, exec_lo, s57
; %bb.66:                               ;   in Loop: Header=BB20_65 Depth=2
	v_min_i32_e32 v6, v6, v34
	s_and_b32 s12, vcc_lo, exec_lo
	s_delay_alu instid0(VALU_DEP_1)
	v_cndmask_b32_e32 v34, v6, v34, vcc_lo
                                        ; implicit-def: $vgpr6
; %bb.67:                               ;   in Loop: Header=BB20_65 Depth=2
	s_and_not1_saveexec_b32 s13, s13
	s_cbranch_execz .LBB20_64
; %bb.68:                               ;   in Loop: Header=BB20_65 Depth=2
	v_sub_nc_u32_e32 v6, v6, v32
	s_delay_alu instid0(VALU_DEP_1)
	v_lshlrev_b32_e32 v8, 2, v6
	ds_store_b32 v8, v30 offset:9216
	s_and_saveexec_b32 s57, s9
	s_cbranch_execz .LBB20_63
; %bb.69:                               ;   in Loop: Header=BB20_65 Depth=2
	v_ashrrev_i32_e32 v8, 31, v7
	v_lshlrev_b32_e32 v6, 6, v6
	s_delay_alu instid0(VALU_DEP_2) | instskip(NEXT) | instid1(VALU_DEP_2)
	v_lshlrev_b64 v[8:9], 2, v[7:8]
	v_or3_b32 v6, v6, v16, v1
	s_delay_alu instid0(VALU_DEP_1) | instskip(NEXT) | instid1(VALU_DEP_3)
	v_lshlrev_b32_e32 v6, 2, v6
	v_add_co_u32 v8, vcc_lo, s20, v8
	s_delay_alu instid0(VALU_DEP_4)
	v_add_co_ci_u32_e32 v9, vcc_lo, s21, v9, vcc_lo
	global_load_b32 v8, v[8:9], off
	s_waitcnt vmcnt(0)
	v_mul_f32_e32 v8, v13, v8
	ds_add_f32 v6, v8
	s_branch .LBB20_63
.LBB20_70:                              ;   in Loop: Header=BB20_14 Depth=1
	s_or_b32 exec_lo, exec_lo, s56
.LBB20_71:                              ;   in Loop: Header=BB20_14 Depth=1
	s_delay_alu instid0(SALU_CYCLE_1)
	s_or_b32 exec_lo, exec_lo, s14
.LBB20_72:                              ;   in Loop: Header=BB20_14 Depth=1
	s_and_saveexec_b32 s12, s2
	s_cbranch_execz .LBB20_77
; %bb.73:                               ;   in Loop: Header=BB20_14 Depth=1
	s_mov_b32 s14, exec_lo
	s_brev_b32 s13, -2
.LBB20_74:                              ;   Parent Loop BB20_14 Depth=1
                                        ; =>  This Inner Loop Header: Depth=2
	s_ctz_i32_b32 s55, s14
	s_delay_alu instid0(SALU_CYCLE_1) | instskip(SKIP_1) | instid1(SALU_CYCLE_1)
	v_readlane_b32 s56, v34, s55
	s_lshl_b32 s55, 1, s55
	s_and_not1_b32 s14, s14, s55
	s_delay_alu instid0(VALU_DEP_1)
	s_min_i32 s13, s13, s56
	s_cmp_lg_u32 s14, 0
	s_cbranch_scc1 .LBB20_74
; %bb.75:                               ;   in Loop: Header=BB20_14 Depth=1
	v_mbcnt_lo_u32_b32 v5, exec_lo, 0
	s_mov_b32 s14, exec_lo
	s_delay_alu instid0(VALU_DEP_1)
	v_cmpx_eq_u32_e32 0, v5
	s_xor_b32 s14, exec_lo, s14
	s_cbranch_execz .LBB20_77
; %bb.76:                               ;   in Loop: Header=BB20_14 Depth=1
	v_mov_b32_e32 v5, s13
	ds_min_i32 v29, v5 offset:9344
.LBB20_77:                              ;   in Loop: Header=BB20_14 Depth=1
	s_or_b32 exec_lo, exec_lo, s12
	s_waitcnt lgkmcnt(0)
	s_waitcnt_vscnt null, 0x0
	s_barrier
	buffer_gl0_inv
	ds_load_b32 v5, v20
	s_waitcnt lgkmcnt(0)
	s_barrier
	buffer_gl0_inv
	s_and_saveexec_b32 s12, s3
	s_cbranch_execz .LBB20_79
; %bb.78:                               ;   in Loop: Header=BB20_14 Depth=1
	ds_load_b32 v6, v21
	s_waitcnt lgkmcnt(0)
	v_add_nc_u32_e32 v5, v6, v5
.LBB20_79:                              ;   in Loop: Header=BB20_14 Depth=1
	s_or_b32 exec_lo, exec_lo, s12
	s_barrier
	buffer_gl0_inv
	ds_store_b32 v20, v5
	s_waitcnt lgkmcnt(0)
	s_barrier
	buffer_gl0_inv
	s_and_saveexec_b32 s12, s4
	s_cbranch_execz .LBB20_81
; %bb.80:                               ;   in Loop: Header=BB20_14 Depth=1
	ds_load_b32 v6, v22
	s_waitcnt lgkmcnt(0)
	v_add_nc_u32_e32 v5, v6, v5
.LBB20_81:                              ;   in Loop: Header=BB20_14 Depth=1
	s_or_b32 exec_lo, exec_lo, s12
	s_barrier
	buffer_gl0_inv
	ds_store_b32 v20, v5
	;; [unrolled: 14-line block ×5, first 2 shown]
	s_waitcnt lgkmcnt(0)
	s_barrier
	buffer_gl0_inv
	ds_load_b32 v7, v29 offset:9340
	v_mov_b32_e32 v6, 0
	s_and_saveexec_b32 s12, s22
	s_cbranch_execz .LBB20_89
; %bb.88:                               ;   in Loop: Header=BB20_14 Depth=1
	ds_load_b32 v6, v21
.LBB20_89:                              ;   in Loop: Header=BB20_14 Depth=1
	s_or_b32 exec_lo, exec_lo, s12
	s_waitcnt lgkmcnt(0)
	v_cmp_eq_u32_e32 vcc_lo, v5, v6
	s_barrier
	buffer_gl0_inv
	s_and_b32 s13, s22, vcc_lo
	s_delay_alu instid0(SALU_CYCLE_1)
	s_and_saveexec_b32 s12, s13
	s_cbranch_execz .LBB20_91
; %bb.90:                               ;   in Loop: Header=BB20_14 Depth=1
	ds_store_b32 v20, v29
.LBB20_91:                              ;   in Loop: Header=BB20_14 Depth=1
	s_or_b32 exec_lo, exec_lo, s12
	v_dual_mov_b32 v11, v15 :: v_dual_add_nc_u32 v8, -1, v28
	v_dual_mov_b32 v10, v27 :: v_dual_add_nc_u32 v9, s38, v32
	v_mov_b32_e32 v32, v14
	s_mov_b32 s12, 0
	s_waitcnt lgkmcnt(0)
	s_barrier
	buffer_gl0_inv
	s_set_inst_prefetch_distance 0x1
	s_branch .LBB20_93
	.p2align	6
.LBB20_92:                              ;   in Loop: Header=BB20_93 Depth=2
	s_or_b32 exec_lo, exec_lo, s13
	v_add_nc_u32_e32 v5, 4, v32
	v_cmp_lt_u32_e32 vcc_lo, 27, v32
	v_add_nc_u32_e32 v11, 0x400, v11
	v_add_nc_u32_e32 v10, 16, v10
	s_delay_alu instid0(VALU_DEP_4) | instskip(SKIP_1) | instid1(SALU_CYCLE_1)
	v_mov_b32_e32 v32, v5
	s_or_b32 s12, vcc_lo, s12
	s_and_not1_b32 exec_lo, exec_lo, s12
	s_cbranch_execz .LBB20_13
.LBB20_93:                              ;   Parent Loop BB20_14 Depth=1
                                        ; =>  This Inner Loop Header: Depth=2
	ds_load_b32 v5, v10
	s_mov_b32 s13, exec_lo
	s_waitcnt lgkmcnt(0)
	v_cmpx_ne_u32_e32 0, v5
	s_cbranch_execz .LBB20_92
; %bb.94:                               ;   in Loop: Header=BB20_93 Depth=2
	v_add_nc_u32_e32 v5, v8, v5
	s_delay_alu instid0(VALU_DEP_1) | instskip(NEXT) | instid1(VALU_DEP_1)
	v_ashrrev_i32_e32 v6, 31, v5
	v_lshlrev_b64 v[33:34], 2, v[5:6]
	v_add_nc_u32_e32 v6, v9, v32
	s_delay_alu instid0(VALU_DEP_2) | instskip(NEXT) | instid1(VALU_DEP_3)
	v_add_co_u32 v33, vcc_lo, s44, v33
	v_add_co_ci_u32_e32 v34, vcc_lo, s45, v34, vcc_lo
	global_store_b32 v[33:34], v6, off
	s_and_b32 exec_lo, exec_lo, s9
	s_cbranch_execz .LBB20_92
; %bb.95:                               ;   in Loop: Header=BB20_93 Depth=2
	v_mad_u64_u32 v[33:34], null, v5, s42, v[3:4]
	s_delay_alu instid0(VALU_DEP_1) | instskip(SKIP_2) | instid1(VALU_DEP_1)
	v_mad_u64_u32 v[5:6], null, v33, s42, v[4:5]
	ds_load_b32 v33, v11
	v_ashrrev_i32_e32 v6, 31, v5
	v_lshlrev_b64 v[5:6], 2, v[5:6]
	s_delay_alu instid0(VALU_DEP_1) | instskip(NEXT) | instid1(VALU_DEP_2)
	v_add_co_u32 v5, vcc_lo, s46, v5
	v_add_co_ci_u32_e32 v6, vcc_lo, s47, v6, vcc_lo
	s_waitcnt lgkmcnt(0)
	global_store_b32 v[5:6], v33, off
	s_branch .LBB20_92
.LBB20_96:
	s_endpgm
	.section	.rodata,"a",@progbits
	.p2align	6, 0x0
	.amdhsa_kernel _ZN9rocsparseL38bsrgemm_block_per_row_atomic_multipassILj256ELj32ELj8EiifEEv20rocsparse_direction_T3_S2_PKS2_S4_NS_24const_host_device_scalarIT4_EEPKT2_S4_PKS6_SA_S4_SC_S7_SA_S4_SC_SA_PS2_PS6_PS8_21rocsparse_index_base_SG_SG_SG_bbb
		.amdhsa_group_segment_fixed_size 9348
		.amdhsa_private_segment_fixed_size 0
		.amdhsa_kernarg_size 172
		.amdhsa_user_sgpr_count 15
		.amdhsa_user_sgpr_dispatch_ptr 0
		.amdhsa_user_sgpr_queue_ptr 0
		.amdhsa_user_sgpr_kernarg_segment_ptr 1
		.amdhsa_user_sgpr_dispatch_id 0
		.amdhsa_user_sgpr_private_segment_size 0
		.amdhsa_wavefront_size32 1
		.amdhsa_uses_dynamic_stack 0
		.amdhsa_enable_private_segment 0
		.amdhsa_system_sgpr_workgroup_id_x 1
		.amdhsa_system_sgpr_workgroup_id_y 0
		.amdhsa_system_sgpr_workgroup_id_z 0
		.amdhsa_system_sgpr_workgroup_info 0
		.amdhsa_system_vgpr_workitem_id 0
		.amdhsa_next_free_vgpr 41
		.amdhsa_next_free_sgpr 62
		.amdhsa_reserve_vcc 1
		.amdhsa_float_round_mode_32 0
		.amdhsa_float_round_mode_16_64 0
		.amdhsa_float_denorm_mode_32 3
		.amdhsa_float_denorm_mode_16_64 3
		.amdhsa_dx10_clamp 1
		.amdhsa_ieee_mode 1
		.amdhsa_fp16_overflow 0
		.amdhsa_workgroup_processor_mode 1
		.amdhsa_memory_ordered 1
		.amdhsa_forward_progress 0
		.amdhsa_shared_vgpr_count 0
		.amdhsa_exception_fp_ieee_invalid_op 0
		.amdhsa_exception_fp_denorm_src 0
		.amdhsa_exception_fp_ieee_div_zero 0
		.amdhsa_exception_fp_ieee_overflow 0
		.amdhsa_exception_fp_ieee_underflow 0
		.amdhsa_exception_fp_ieee_inexact 0
		.amdhsa_exception_int_div_zero 0
	.end_amdhsa_kernel
	.section	.text._ZN9rocsparseL38bsrgemm_block_per_row_atomic_multipassILj256ELj32ELj8EiifEEv20rocsparse_direction_T3_S2_PKS2_S4_NS_24const_host_device_scalarIT4_EEPKT2_S4_PKS6_SA_S4_SC_S7_SA_S4_SC_SA_PS2_PS6_PS8_21rocsparse_index_base_SG_SG_SG_bbb,"axG",@progbits,_ZN9rocsparseL38bsrgemm_block_per_row_atomic_multipassILj256ELj32ELj8EiifEEv20rocsparse_direction_T3_S2_PKS2_S4_NS_24const_host_device_scalarIT4_EEPKT2_S4_PKS6_SA_S4_SC_S7_SA_S4_SC_SA_PS2_PS6_PS8_21rocsparse_index_base_SG_SG_SG_bbb,comdat
.Lfunc_end20:
	.size	_ZN9rocsparseL38bsrgemm_block_per_row_atomic_multipassILj256ELj32ELj8EiifEEv20rocsparse_direction_T3_S2_PKS2_S4_NS_24const_host_device_scalarIT4_EEPKT2_S4_PKS6_SA_S4_SC_S7_SA_S4_SC_SA_PS2_PS6_PS8_21rocsparse_index_base_SG_SG_SG_bbb, .Lfunc_end20-_ZN9rocsparseL38bsrgemm_block_per_row_atomic_multipassILj256ELj32ELj8EiifEEv20rocsparse_direction_T3_S2_PKS2_S4_NS_24const_host_device_scalarIT4_EEPKT2_S4_PKS6_SA_S4_SC_S7_SA_S4_SC_SA_PS2_PS6_PS8_21rocsparse_index_base_SG_SG_SG_bbb
                                        ; -- End function
	.section	.AMDGPU.csdata,"",@progbits
; Kernel info:
; codeLenInByte = 3320
; NumSgprs: 64
; NumVgprs: 41
; ScratchSize: 0
; MemoryBound: 0
; FloatMode: 240
; IeeeMode: 1
; LDSByteSize: 9348 bytes/workgroup (compile time only)
; SGPRBlocks: 7
; VGPRBlocks: 5
; NumSGPRsForWavesPerEU: 64
; NumVGPRsForWavesPerEU: 41
; Occupancy: 16
; WaveLimiterHint : 1
; COMPUTE_PGM_RSRC2:SCRATCH_EN: 0
; COMPUTE_PGM_RSRC2:USER_SGPR: 15
; COMPUTE_PGM_RSRC2:TRAP_HANDLER: 0
; COMPUTE_PGM_RSRC2:TGID_X_EN: 1
; COMPUTE_PGM_RSRC2:TGID_Y_EN: 0
; COMPUTE_PGM_RSRC2:TGID_Z_EN: 0
; COMPUTE_PGM_RSRC2:TIDIG_COMP_CNT: 0
	.section	.text._ZN9rocsparseL31bsrgemm_block_per_row_multipassILj256ELj8ELj16EiifEEv20rocsparse_direction_T3_S2_PKS2_S4_NS_24const_host_device_scalarIT4_EEPKT2_S4_PKS6_SA_S4_SC_S7_SA_S4_SC_SA_PS2_PS6_PS8_21rocsparse_index_base_SG_SG_SG_bbb,"axG",@progbits,_ZN9rocsparseL31bsrgemm_block_per_row_multipassILj256ELj8ELj16EiifEEv20rocsparse_direction_T3_S2_PKS2_S4_NS_24const_host_device_scalarIT4_EEPKT2_S4_PKS6_SA_S4_SC_S7_SA_S4_SC_SA_PS2_PS6_PS8_21rocsparse_index_base_SG_SG_SG_bbb,comdat
	.globl	_ZN9rocsparseL31bsrgemm_block_per_row_multipassILj256ELj8ELj16EiifEEv20rocsparse_direction_T3_S2_PKS2_S4_NS_24const_host_device_scalarIT4_EEPKT2_S4_PKS6_SA_S4_SC_S7_SA_S4_SC_SA_PS2_PS6_PS8_21rocsparse_index_base_SG_SG_SG_bbb ; -- Begin function _ZN9rocsparseL31bsrgemm_block_per_row_multipassILj256ELj8ELj16EiifEEv20rocsparse_direction_T3_S2_PKS2_S4_NS_24const_host_device_scalarIT4_EEPKT2_S4_PKS6_SA_S4_SC_S7_SA_S4_SC_SA_PS2_PS6_PS8_21rocsparse_index_base_SG_SG_SG_bbb
	.p2align	8
	.type	_ZN9rocsparseL31bsrgemm_block_per_row_multipassILj256ELj8ELj16EiifEEv20rocsparse_direction_T3_S2_PKS2_S4_NS_24const_host_device_scalarIT4_EEPKT2_S4_PKS6_SA_S4_SC_S7_SA_S4_SC_SA_PS2_PS6_PS8_21rocsparse_index_base_SG_SG_SG_bbb,@function
_ZN9rocsparseL31bsrgemm_block_per_row_multipassILj256ELj8ELj16EiifEEv20rocsparse_direction_T3_S2_PKS2_S4_NS_24const_host_device_scalarIT4_EEPKT2_S4_PKS6_SA_S4_SC_S7_SA_S4_SC_SA_PS2_PS6_PS8_21rocsparse_index_base_SG_SG_SG_bbb: ; @_ZN9rocsparseL31bsrgemm_block_per_row_multipassILj256ELj8ELj16EiifEEv20rocsparse_direction_T3_S2_PKS2_S4_NS_24const_host_device_scalarIT4_EEPKT2_S4_PKS6_SA_S4_SC_S7_SA_S4_SC_SA_PS2_PS6_PS8_21rocsparse_index_base_SG_SG_SG_bbb
; %bb.0:
	s_clause 0x3
	s_load_b32 s3, s[0:1], 0xa8
	s_load_b128 s[24:27], s[0:1], 0x98
	s_load_b64 s[6:7], s[0:1], 0x20
	s_load_b64 s[4:5], s[0:1], 0x58
	s_mov_b32 s2, s15
	s_waitcnt lgkmcnt(0)
	s_bitcmp1_b32 s3, 0
	s_cselect_b32 s40, -1, 0
	s_bitcmp1_b32 s3, 16
	s_cselect_b32 s8, -1, 0
	s_xor_b32 s9, s40, -1
	s_delay_alu instid0(SALU_CYCLE_1) | instskip(NEXT) | instid1(SALU_CYCLE_1)
	s_or_b32 s9, s9, s8
	s_and_b32 vcc_lo, exec_lo, s9
	s_cbranch_vccnz .LBB21_2
; %bb.1:
	s_load_b32 s6, s[6:7], 0x0
	s_waitcnt lgkmcnt(0)
	v_mov_b32_e32 v13, s6
	s_branch .LBB21_3
.LBB21_2:
	v_cndmask_b32_e64 v13, 0, s6, s40
.LBB21_3:
	s_load_b64 s[6:7], s[0:1], 0x18
	s_bitcmp1_b32 s3, 8
	s_cselect_b32 s33, -1, 0
	s_delay_alu instid0(SALU_CYCLE_1) | instskip(NEXT) | instid1(SALU_CYCLE_1)
	s_xor_b32 s3, s33, -1
	s_or_b32 s3, s3, s8
	s_delay_alu instid0(SALU_CYCLE_1)
	s_and_b32 vcc_lo, exec_lo, s3
	s_cbranch_vccnz .LBB21_5
; %bb.4:
	s_load_b32 s3, s[4:5], 0x0
	s_waitcnt lgkmcnt(0)
	v_mov_b32_e32 v14, s3
	s_load_b64 s[4:5], s[0:1], 0x28
	s_cmp_eq_u64 s[6:7], 0
	s_cbranch_scc0 .LBB21_6
	s_branch .LBB21_7
.LBB21_5:
	v_cndmask_b32_e64 v14, 0, s4, s33
	s_load_b64 s[4:5], s[0:1], 0x28
	s_waitcnt lgkmcnt(0)
	s_cmp_eq_u64 s[6:7], 0
	s_cbranch_scc1 .LBB21_7
.LBB21_6:
	s_load_b64 s[8:9], s[0:1], 0x10
	s_waitcnt lgkmcnt(0)
	s_load_b32 s3, s[8:9], 0x0
	s_waitcnt lgkmcnt(0)
	s_add_i32 s2, s3, s2
	s_mov_b32 s3, 0
	s_delay_alu instid0(SALU_CYCLE_1) | instskip(NEXT) | instid1(SALU_CYCLE_1)
	s_lshl_b64 s[2:3], s[2:3], 2
	s_add_u32 s2, s6, s2
	s_addc_u32 s3, s7, s3
	s_load_b32 s2, s[2:3], 0x0
.LBB21_7:
	s_mov_b32 s46, 0
	s_and_not1_b32 vcc_lo, exec_lo, s40
	s_mov_b32 s47, 0
	s_cbranch_vccz .LBB21_10
; %bb.8:
	s_and_not1_b32 vcc_lo, exec_lo, s40
	s_cbranch_vccz .LBB21_11
.LBB21_9:
	s_load_b128 s[28:31], s[0:1], 0x0
	s_waitcnt lgkmcnt(0)
	s_cmp_lt_i32 s29, 1
	s_cbranch_scc0 .LBB21_12
	s_branch .LBB21_96
.LBB21_10:
	s_waitcnt lgkmcnt(0)
	s_ashr_i32 s3, s2, 31
	s_delay_alu instid0(SALU_CYCLE_1) | instskip(NEXT) | instid1(SALU_CYCLE_1)
	s_lshl_b64 s[6:7], s[2:3], 2
	s_add_u32 s6, s4, s6
	s_addc_u32 s7, s5, s7
	s_load_b32 s3, s[6:7], 0x0
	s_waitcnt lgkmcnt(0)
	s_sub_i32 s47, s3, s24
	s_and_not1_b32 vcc_lo, exec_lo, s40
	s_cbranch_vccnz .LBB21_9
.LBB21_11:
	s_waitcnt lgkmcnt(0)
	s_ashr_i32 s3, s2, 31
	s_delay_alu instid0(SALU_CYCLE_1) | instskip(NEXT) | instid1(SALU_CYCLE_1)
	s_lshl_b64 s[6:7], s[2:3], 2
	s_add_u32 s4, s4, s6
	s_addc_u32 s5, s5, s7
	s_load_b32 s3, s[4:5], 0x4
	s_waitcnt lgkmcnt(0)
	s_sub_i32 s46, s3, s24
	s_load_b128 s[28:31], s[0:1], 0x0
	s_waitcnt lgkmcnt(0)
	s_cmp_lt_i32 s29, 1
	s_cbranch_scc1 .LBB21_96
.LBB21_12:
	s_clause 0x3
	s_load_b256 s[8:15], s[0:1], 0x60
	s_load_b64 s[6:7], s[0:1], 0x90
	s_load_b128 s[36:39], s[0:1], 0x80
	s_load_b64 s[34:35], s[0:1], 0x50
	s_ashr_i32 s3, s2, 31
	s_load_b256 s[16:23], s[0:1], 0x30
	s_lshl_b64 s[42:43], s[2:3], 2
	v_dual_mov_b32 v20, 1 :: v_dual_and_b32 v1, 15, v0
	v_lshrrev_b32_e32 v2, 4, v0
	v_dual_mov_b32 v3, 0 :: v_dual_lshlrev_b32 v16, 2, v0
	s_delay_alu instid0(VALU_DEP_3) | instskip(SKIP_1) | instid1(VALU_DEP_4)
	v_cmp_gt_u32_e32 vcc_lo, s30, v1
	v_or_b32_e32 v4, 0x400, v0
	v_cmp_gt_i32_e64 s4, s30, v2
	s_mul_i32 s31, s30, s30
	v_mad_u64_u32 v[6:7], null, s47, s30, v[2:3]
	s_delay_alu instid0(VALU_DEP_3)
	v_cmp_gt_u32_e64 s3, 0x700, v4
	v_mad_u64_u32 v[4:5], null, s47, s31, v[2:3]
	s_waitcnt lgkmcnt(0)
	s_add_u32 s0, s14, s42
	s_addc_u32 s1, s15, s43
	v_cmp_gt_u32_e64 s2, 0x100, v0
	s_load_b32 s5, s[0:1], 0x0
	v_mul_lo_u32 v18, s30, v6
	v_cmp_gt_u32_e64 s0, 8, v0
	v_cmp_gt_u32_e64 s1, 0x200, v0
	s_mov_b32 s54, 8
	s_mov_b32 s15, 0
	s_waitcnt lgkmcnt(0)
	s_sub_i32 s14, s5, s26
	s_cmp_lt_i32 s47, s46
	s_cselect_b32 s5, -1, 0
	s_and_b32 s48, vcc_lo, s4
	s_cmp_eq_u32 s28, 0
	s_cselect_b32 vcc_lo, -1, 0
	v_dual_cndmask_b32 v6, v2, v1 :: v_dual_and_b32 v15, 0xf0, v0
	s_cmp_lg_u32 s28, 0
	v_cndmask_b32_e32 v5, v1, v2, vcc_lo
	s_cselect_b32 s28, -1, 0
	s_delay_alu instid0(VALU_DEP_2) | instskip(SKIP_3) | instid1(VALU_DEP_1)
	v_or_b32_e32 v8, v15, v1
	s_cmp_gt_i32 s30, 0
	s_cselect_b32 s49, -1, 0
	s_add_u32 s8, s8, s42
	v_lshlrev_b32_e32 v17, 2, v8
	v_cndmask_b32_e64 v19, 0, 1, s49
	s_addc_u32 s9, s9, s43
	s_and_b32 s50, s40, s5
	s_add_u32 s51, s20, 4
	s_addc_u32 s52, s21, 0
	s_sub_i32 s53, 1, s27
	s_branch .LBB21_15
.LBB21_13:                              ;   in Loop: Header=BB21_15 Depth=1
	s_or_b32 exec_lo, exec_lo, s5
	s_add_i32 s40, s40, 1
.LBB21_14:                              ;   in Loop: Header=BB21_15 Depth=1
	s_min_i32 s15, s41, s29
	s_add_i32 s14, s40, s14
	s_add_i32 s54, s15, 8
	s_cmp_lt_i32 s41, s29
	s_waitcnt_vscnt null, 0x0
	s_barrier
	buffer_gl0_inv
	s_barrier
	buffer_gl0_inv
	s_cbranch_scc0 .LBB21_96
.LBB21_15:                              ; =>This Loop Header: Depth=1
                                        ;     Child Loop BB21_25 Depth 2
                                        ;       Child Loop BB21_30 Depth 3
                                        ;         Child Loop BB21_39 Depth 4
                                        ;         Child Loop BB21_44 Depth 4
                                        ;     Child Loop BB21_56 Depth 2
	s_and_saveexec_b32 s4, s0
	s_cbranch_execz .LBB21_17
; %bb.16:                               ;   in Loop: Header=BB21_15 Depth=1
	ds_store_b8 v0, v3 offset:8192
.LBB21_17:                              ;   in Loop: Header=BB21_15 Depth=1
	s_or_b32 exec_lo, exec_lo, s4
	ds_store_2addr_stride64_b32 v16, v3, v3 offset1:4
	ds_store_2addr_stride64_b32 v16, v3, v3 offset0:8 offset1:12
	ds_store_b32 v16, v3 offset:4096
	s_and_saveexec_b32 s4, s3
	s_delay_alu instid0(SALU_CYCLE_1)
	s_xor_b32 s4, exec_lo, s4
	s_cbranch_execz .LBB21_23
; %bb.18:                               ;   in Loop: Header=BB21_15 Depth=1
	ds_store_b32 v16, v3 offset:5120
	s_and_saveexec_b32 s5, s1
	s_delay_alu instid0(SALU_CYCLE_1)
	s_xor_b32 s5, exec_lo, s5
	s_cbranch_execz .LBB21_22
; %bb.19:                               ;   in Loop: Header=BB21_15 Depth=1
	;; [unrolled: 6-line block ×3, first 2 shown]
	ds_store_b32 v16, v3 offset:7168
.LBB21_21:                              ;   in Loop: Header=BB21_15 Depth=1
	s_or_b32 exec_lo, exec_lo, s40
.LBB21_22:                              ;   in Loop: Header=BB21_15 Depth=1
	s_delay_alu instid0(SALU_CYCLE_1)
	s_or_b32 exec_lo, exec_lo, s5
.LBB21_23:                              ;   in Loop: Header=BB21_15 Depth=1
	s_delay_alu instid0(SALU_CYCLE_1) | instskip(NEXT) | instid1(SALU_CYCLE_1)
	s_or_b32 exec_lo, exec_lo, s4
	s_and_not1_b32 vcc_lo, exec_lo, s50
	s_mov_b32 s41, s29
	s_waitcnt lgkmcnt(0)
	s_barrier
	buffer_gl0_inv
	s_cbranch_vccnz .LBB21_53
; %bb.24:                               ;   in Loop: Header=BB21_15 Depth=1
	v_mov_b32_e32 v7, v18
	v_mov_b32_e32 v21, v4
	s_cmp_lg_u32 s15, 0
	s_mov_b32 s56, s29
	s_cselect_b32 s55, -1, 0
	s_mov_b32 s40, s47
.LBB21_25:                              ;   Parent Loop BB21_15 Depth=1
                                        ; =>  This Loop Header: Depth=2
                                        ;       Child Loop BB21_30 Depth 3
                                        ;         Child Loop BB21_39 Depth 4
                                        ;         Child Loop BB21_44 Depth 4
	s_delay_alu instid0(SALU_CYCLE_1) | instskip(NEXT) | instid1(SALU_CYCLE_1)
	s_ashr_i32 s41, s40, 31
	s_lshl_b64 s[42:43], s[40:41], 2
	s_delay_alu instid0(SALU_CYCLE_1)
	s_add_u32 s4, s16, s42
	s_addc_u32 s5, s17, s43
	s_and_b32 vcc_lo, exec_lo, s55
	s_load_b32 s4, s[4:5], 0x0
	s_waitcnt lgkmcnt(0)
	s_sub_i32 s4, s4, s24
	s_cbranch_vccz .LBB21_52
; %bb.26:                               ;   in Loop: Header=BB21_25 Depth=2
	s_add_u32 s44, s6, s42
	s_addc_u32 s45, s7, s43
	s_ashr_i32 s5, s4, 31
	global_load_b32 v2, v3, s[44:45]
	s_waitcnt vmcnt(0)
	v_readfirstlane_b32 s44, v2
	s_cbranch_execnz .LBB21_28
.LBB21_27:                              ;   in Loop: Header=BB21_25 Depth=2
	s_ashr_i32 s5, s4, 31
	s_delay_alu instid0(SALU_CYCLE_1) | instskip(NEXT) | instid1(SALU_CYCLE_1)
	s_lshl_b64 s[44:45], s[4:5], 2
	s_add_u32 s44, s20, s44
	s_addc_u32 s45, s21, s45
	s_load_b32 s41, s[44:45], 0x0
	s_waitcnt lgkmcnt(0)
	s_sub_i32 s44, s41, s25
.LBB21_28:                              ;   in Loop: Header=BB21_25 Depth=2
	s_lshl_b64 s[4:5], s[4:5], 2
	s_delay_alu instid0(SALU_CYCLE_1) | instskip(SKIP_4) | instid1(SALU_CYCLE_1)
	s_add_u32 s4, s51, s4
	s_addc_u32 s5, s52, s5
	s_load_b32 s4, s[4:5], 0x0
	s_waitcnt lgkmcnt(0)
	s_sub_i32 s5, s4, s25
	s_cmp_ge_i32 s44, s5
	s_cbranch_scc1 .LBB21_49
; %bb.29:                               ;   in Loop: Header=BB21_25 Depth=2
	v_ashrrev_i32_e32 v8, 31, v7
	v_mad_u64_u32 v[10:11], null, s30, s44, v[1:2]
	s_mov_b32 s57, s44
	s_delay_alu instid0(VALU_DEP_2) | instskip(SKIP_1) | instid1(VALU_DEP_3)
	v_lshlrev_b64 v[11:12], 2, v[7:8]
	v_mad_u64_u32 v[8:9], null, s31, s44, v[1:2]
	v_mul_lo_u32 v22, s30, v10
	s_delay_alu instid0(VALU_DEP_3) | instskip(NEXT) | instid1(VALU_DEP_4)
	v_add_co_u32 v9, vcc_lo, s18, v11
	v_add_co_ci_u32_e32 v10, vcc_lo, s19, v12, vcc_lo
.LBB21_30:                              ;   Parent Loop BB21_15 Depth=1
                                        ;     Parent Loop BB21_25 Depth=2
                                        ; =>    This Loop Header: Depth=3
                                        ;         Child Loop BB21_39 Depth 4
                                        ;         Child Loop BB21_44 Depth 4
	s_ashr_i32 s45, s44, 31
                                        ; implicit-def: $sgpr41
	s_delay_alu instid0(SALU_CYCLE_1) | instskip(NEXT) | instid1(SALU_CYCLE_1)
	s_lshl_b64 s[58:59], s[44:45], 2
	s_add_u32 s58, s22, s58
	s_addc_u32 s59, s23, s59
	s_load_b32 s4, s[58:59], 0x0
	s_mov_b32 s59, -1
                                        ; implicit-def: $sgpr58
	s_waitcnt lgkmcnt(0)
	s_sub_i32 s45, s4, s25
	s_delay_alu instid0(SALU_CYCLE_1) | instskip(SKIP_3) | instid1(SALU_CYCLE_1)
	s_cmp_lt_i32 s45, s15
	s_cselect_b32 s4, -1, 0
	s_cmp_ge_i32 s45, s54
	s_cselect_b32 s60, -1, 0
	s_or_b32 s4, s4, s60
	s_delay_alu instid0(SALU_CYCLE_1)
	s_and_b32 vcc_lo, exec_lo, s4
                                        ; implicit-def: $sgpr4
	s_cbranch_vccz .LBB21_34
; %bb.31:                               ;   in Loop: Header=BB21_30 Depth=3
	s_mov_b32 s58, -1
	s_and_not1_b32 vcc_lo, exec_lo, s60
	s_mov_b32 s4, s57
	s_mov_b32 s41, s56
	s_cbranch_vccnz .LBB21_33
; %bb.32:                               ;   in Loop: Header=BB21_30 Depth=3
	s_min_i32 s41, s45, s56
	s_mov_b32 s58, 0
	s_mov_b32 s4, s44
.LBB21_33:                              ;   in Loop: Header=BB21_30 Depth=3
	s_mov_b32 s59, 0
.LBB21_34:                              ;   in Loop: Header=BB21_30 Depth=3
	s_delay_alu instid0(SALU_CYCLE_1)
	s_and_not1_b32 vcc_lo, exec_lo, s59
	s_cbranch_vccnz .LBB21_47
; %bb.35:                               ;   in Loop: Header=BB21_30 Depth=3
	s_sub_i32 s45, s45, s15
	s_delay_alu instid0(SALU_CYCLE_1)
	v_mov_b32_e32 v2, s45
	ds_store_b8 v2, v20 offset:8192
	s_and_saveexec_b32 s41, s48
	s_cbranch_execz .LBB21_46
; %bb.36:                               ;   in Loop: Header=BB21_30 Depth=3
	v_cmp_ne_u32_e64 s4, 1, v19
	s_and_not1_b32 vcc_lo, exec_lo, s28
	s_cbranch_vccnz .LBB21_41
; %bb.37:                               ;   in Loop: Header=BB21_30 Depth=3
	v_mov_b32_e32 v23, 0
	s_delay_alu instid0(VALU_DEP_2)
	s_and_b32 vcc_lo, exec_lo, s4
	s_cbranch_vccnz .LBB21_40
; %bb.38:                               ;   in Loop: Header=BB21_30 Depth=3
	v_mov_b32_e32 v11, v21
	s_mov_b32 s4, 0
	.p2align	6
.LBB21_39:                              ;   Parent Loop BB21_15 Depth=1
                                        ;     Parent Loop BB21_25 Depth=2
                                        ;       Parent Loop BB21_30 Depth=3
                                        ; =>      This Inner Loop Header: Depth=4
	s_delay_alu instid0(VALU_DEP_1) | instskip(SKIP_2) | instid1(SALU_CYCLE_1)
	v_ashrrev_i32_e32 v12, 31, v11
	v_add_nc_u32_e32 v2, s4, v22
	s_add_i32 s4, s4, 1
	s_cmp_lg_u32 s30, s4
	s_delay_alu instid0(VALU_DEP_2) | instskip(NEXT) | instid1(VALU_DEP_2)
	v_lshlrev_b64 v[24:25], 2, v[11:12]
	v_lshlrev_b64 v[26:27], 2, v[2:3]
	v_add_nc_u32_e32 v11, s30, v11
	s_delay_alu instid0(VALU_DEP_3) | instskip(NEXT) | instid1(VALU_DEP_4)
	v_add_co_u32 v24, vcc_lo, s18, v24
	v_add_co_ci_u32_e32 v25, vcc_lo, s19, v25, vcc_lo
	s_delay_alu instid0(VALU_DEP_4)
	v_add_co_u32 v26, vcc_lo, s34, v26
	v_add_co_ci_u32_e32 v27, vcc_lo, s35, v27, vcc_lo
	global_load_b32 v2, v[24:25], off
	global_load_b32 v12, v[26:27], off
	s_waitcnt vmcnt(0)
	v_fmac_f32_e32 v23, v2, v12
	s_cbranch_scc1 .LBB21_39
.LBB21_40:                              ;   in Loop: Header=BB21_30 Depth=3
	s_cbranch_execz .LBB21_42
	s_branch .LBB21_45
.LBB21_41:                              ;   in Loop: Header=BB21_30 Depth=3
                                        ; implicit-def: $vgpr23
.LBB21_42:                              ;   in Loop: Header=BB21_30 Depth=3
	v_mov_b32_e32 v23, 0
	s_and_not1_b32 vcc_lo, exec_lo, s49
	s_cbranch_vccnz .LBB21_45
; %bb.43:                               ;   in Loop: Header=BB21_30 Depth=3
	v_dual_mov_b32 v12, v10 :: v_dual_mov_b32 v11, v9
	v_mov_b32_e32 v2, v8
	s_mov_b32 s4, s30
	.p2align	6
.LBB21_44:                              ;   Parent Loop BB21_15 Depth=1
                                        ;     Parent Loop BB21_25 Depth=2
                                        ;       Parent Loop BB21_30 Depth=3
                                        ; =>      This Inner Loop Header: Depth=4
	s_delay_alu instid0(VALU_DEP_1) | instskip(SKIP_1) | instid1(SALU_CYCLE_1)
	v_lshlrev_b64 v[24:25], 2, v[2:3]
	s_add_i32 s4, s4, -1
	s_cmp_eq_u32 s4, 0
	s_delay_alu instid0(VALU_DEP_1) | instskip(NEXT) | instid1(VALU_DEP_2)
	v_add_co_u32 v24, vcc_lo, s34, v24
	v_add_co_ci_u32_e32 v25, vcc_lo, s35, v25, vcc_lo
	global_load_b32 v26, v[11:12], off
	global_load_b32 v24, v[24:25], off
	v_add_co_u32 v11, vcc_lo, v11, 4
	v_add_nc_u32_e32 v2, s30, v2
	v_add_co_ci_u32_e32 v12, vcc_lo, 0, v12, vcc_lo
	s_waitcnt vmcnt(0)
	v_fmac_f32_e32 v23, v26, v24
	s_cbranch_scc0 .LBB21_44
.LBB21_45:                              ;   in Loop: Header=BB21_30 Depth=3
	s_lshl_b32 s4, s45, 8
	s_delay_alu instid0(SALU_CYCLE_1) | instskip(NEXT) | instid1(VALU_DEP_1)
	v_or3_b32 v2, s4, v15, v1
	v_lshlrev_b32_e32 v2, 2, v2
	ds_load_b32 v11, v2
	s_waitcnt lgkmcnt(0)
	v_fmac_f32_e32 v11, v13, v23
	ds_store_b32 v2, v11
.LBB21_46:                              ;   in Loop: Header=BB21_30 Depth=3
	s_or_b32 exec_lo, exec_lo, s41
	s_mov_b32 s58, -1
	s_mov_b32 s4, s57
	s_mov_b32 s41, s56
	s_waitcnt lgkmcnt(0)
	s_waitcnt_vscnt null, 0x0
	s_barrier
	buffer_gl0_inv
.LBB21_47:                              ;   in Loop: Header=BB21_30 Depth=3
	s_add_i32 s44, s44, 1
	v_add_nc_u32_e32 v22, s31, v22
	s_cmp_lt_i32 s44, s5
	v_add_nc_u32_e32 v8, s31, v8
	s_cselect_b32 s45, -1, 0
	s_delay_alu instid0(SALU_CYCLE_1) | instskip(NEXT) | instid1(SALU_CYCLE_1)
	s_and_b32 s45, s58, s45
	s_and_b32 vcc_lo, exec_lo, s45
	s_cbranch_vccz .LBB21_50
; %bb.48:                               ;   in Loop: Header=BB21_30 Depth=3
	s_mov_b32 s57, s4
	s_mov_b32 s56, s41
	s_branch .LBB21_30
.LBB21_49:                              ;   in Loop: Header=BB21_25 Depth=2
	s_mov_b32 s4, s44
	s_mov_b32 s41, s56
.LBB21_50:                              ;   in Loop: Header=BB21_25 Depth=2
	s_add_u32 s42, s6, s42
	v_dual_mov_b32 v2, s4 :: v_dual_add_nc_u32 v21, s31, v21
	v_add_nc_u32_e32 v7, s31, v7
	s_addc_u32 s43, s7, s43
	s_add_i32 s40, s40, 1
	global_store_b32 v3, v2, s[42:43]
	s_cmp_lt_i32 s40, s46
	s_cbranch_scc0 .LBB21_53
; %bb.51:                               ;   in Loop: Header=BB21_25 Depth=2
	s_mov_b32 s56, s41
	s_branch .LBB21_25
.LBB21_52:                              ;   in Loop: Header=BB21_25 Depth=2
                                        ; implicit-def: $sgpr44
	s_branch .LBB21_27
.LBB21_53:                              ;   in Loop: Header=BB21_15 Depth=1
	s_and_not1_b32 vcc_lo, exec_lo, s33
	s_cbranch_vccnz .LBB21_65
; %bb.54:                               ;   in Loop: Header=BB21_15 Depth=1
	s_load_b64 s[4:5], s[8:9], 0x0
	s_waitcnt lgkmcnt(0)
	s_cmp_ge_i32 s4, s5
	s_cbranch_scc1 .LBB21_65
; %bb.55:                               ;   in Loop: Header=BB21_15 Depth=1
	s_sub_i32 s42, s4, s27
	s_sub_i32 s40, s5, s27
	v_mad_u64_u32 v[7:8], null, s30, s42, v[5:6]
	s_ashr_i32 s43, s42, 31
	s_delay_alu instid0(SALU_CYCLE_1) | instskip(SKIP_3) | instid1(VALU_DEP_1)
	s_lshl_b64 s[44:45], s[42:43], 2
	s_add_i32 s42, s53, s4
	s_add_u32 s4, s10, s44
	s_addc_u32 s5, s11, s45
	v_mad_u64_u32 v[8:9], null, s30, v7, v[6:7]
	s_delay_alu instid0(VALU_DEP_1)
	v_mov_b32_e32 v2, v8
.LBB21_56:                              ;   Parent Loop BB21_15 Depth=1
                                        ; =>  This Inner Loop Header: Depth=2
	s_load_b32 s43, s[4:5], 0x0
	s_waitcnt lgkmcnt(0)
	s_sub_i32 s45, s43, s27
	s_delay_alu instid0(SALU_CYCLE_1)
	s_cmp_lt_i32 s45, s15
	s_cselect_b32 s43, -1, 0
	s_cmp_lt_i32 s45, s54
	s_cselect_b32 s44, -1, 0
	s_cmp_ge_i32 s45, s54
	s_cselect_b32 s55, -1, 0
	s_delay_alu instid0(SALU_CYCLE_1)
	s_or_b32 s43, s43, s55
	s_mov_b32 s55, -1
	s_and_b32 vcc_lo, exec_lo, s43
                                        ; implicit-def: $sgpr43
	s_cbranch_vccz .LBB21_58
; %bb.57:                               ;   in Loop: Header=BB21_56 Depth=2
	s_min_i32 s43, s45, s41
	s_and_b32 s55, s44, exec_lo
	s_cselect_b32 s43, s41, s43
	s_mov_b32 s55, 0
.LBB21_58:                              ;   in Loop: Header=BB21_56 Depth=2
	s_delay_alu instid0(SALU_CYCLE_1)
	s_and_not1_b32 vcc_lo, exec_lo, s55
	s_cbranch_vccnz .LBB21_62
; %bb.59:                               ;   in Loop: Header=BB21_56 Depth=2
	s_sub_i32 s44, s45, s15
	s_delay_alu instid0(SALU_CYCLE_1)
	v_mov_b32_e32 v7, s44
	ds_store_b8 v7, v20 offset:8192
	s_and_saveexec_b32 s43, s48
	s_cbranch_execz .LBB21_61
; %bb.60:                               ;   in Loop: Header=BB21_56 Depth=2
	v_lshlrev_b64 v[7:8], 2, v[2:3]
	s_lshl_b32 s44, s44, 8
	s_delay_alu instid0(VALU_DEP_1) | instskip(NEXT) | instid1(VALU_DEP_2)
	v_add_co_u32 v7, vcc_lo, s12, v7
	v_add_co_ci_u32_e32 v8, vcc_lo, s13, v8, vcc_lo
	global_load_b32 v7, v[7:8], off
	v_or3_b32 v8, s44, v15, v1
	s_delay_alu instid0(VALU_DEP_1)
	v_lshlrev_b32_e32 v8, 2, v8
	ds_load_b32 v9, v8
	s_waitcnt vmcnt(0) lgkmcnt(0)
	v_fmac_f32_e32 v9, v14, v7
	ds_store_b32 v8, v9
.LBB21_61:                              ;   in Loop: Header=BB21_56 Depth=2
	s_or_b32 exec_lo, exec_lo, s43
	s_mov_b32 s44, -1
	s_mov_b32 s43, s41
	s_waitcnt lgkmcnt(0)
	s_waitcnt_vscnt null, 0x0
	s_barrier
	buffer_gl0_inv
.LBB21_62:                              ;   in Loop: Header=BB21_56 Depth=2
	s_cmp_lt_i32 s42, s40
	v_add_nc_u32_e32 v2, s31, v2
	s_cselect_b32 s41, -1, 0
	s_add_i32 s42, s42, 1
	s_and_b32 s41, s44, s41
	s_add_u32 s4, s4, 4
	s_addc_u32 s5, s5, 0
	s_and_b32 vcc_lo, exec_lo, s41
	s_cbranch_vccz .LBB21_64
; %bb.63:                               ;   in Loop: Header=BB21_56 Depth=2
	s_mov_b32 s41, s43
	s_branch .LBB21_56
.LBB21_64:                              ;   in Loop: Header=BB21_15 Depth=1
	s_mov_b32 s41, s43
.LBB21_65:                              ;   in Loop: Header=BB21_15 Depth=1
	s_waitcnt_vscnt null, 0x0
	s_barrier
	buffer_gl0_inv
	ds_load_u8 v2, v3 offset:8192
	s_add_i32 s42, s15, s26
	s_mov_b32 s40, 0
	s_waitcnt lgkmcnt(0)
	v_cmp_eq_u32_e32 vcc_lo, 0, v2
	s_cbranch_vccz .LBB21_73
; %bb.66:                               ;   in Loop: Header=BB21_15 Depth=1
	ds_load_u8 v2, v3 offset:8193
	s_waitcnt lgkmcnt(0)
	v_cmp_eq_u32_e32 vcc_lo, 0, v2
	s_cbranch_vccz .LBB21_76
.LBB21_67:                              ;   in Loop: Header=BB21_15 Depth=1
	ds_load_u8 v2, v3 offset:8194
	s_waitcnt lgkmcnt(0)
	v_cmp_eq_u32_e32 vcc_lo, 0, v2
	s_cbranch_vccz .LBB21_79
.LBB21_68:                              ;   in Loop: Header=BB21_15 Depth=1
	ds_load_u8 v2, v3 offset:8195
	s_waitcnt lgkmcnt(0)
	v_cmp_eq_u32_e32 vcc_lo, 0, v2
	s_cbranch_vccz .LBB21_82
.LBB21_69:                              ;   in Loop: Header=BB21_15 Depth=1
	ds_load_u8 v2, v3 offset:8196
	s_waitcnt lgkmcnt(0)
	v_cmp_eq_u32_e32 vcc_lo, 0, v2
	s_cbranch_vccz .LBB21_85
.LBB21_70:                              ;   in Loop: Header=BB21_15 Depth=1
	ds_load_u8 v2, v3 offset:8197
	s_waitcnt lgkmcnt(0)
	v_cmp_eq_u32_e32 vcc_lo, 0, v2
	s_cbranch_vccz .LBB21_88
.LBB21_71:                              ;   in Loop: Header=BB21_15 Depth=1
	ds_load_u8 v2, v3 offset:8198
	s_waitcnt lgkmcnt(0)
	v_cmp_eq_u32_e32 vcc_lo, 0, v2
	s_cbranch_vccz .LBB21_91
.LBB21_72:                              ;   in Loop: Header=BB21_15 Depth=1
	ds_load_u8 v2, v3 offset:8199
	s_waitcnt lgkmcnt(0)
	v_cmp_eq_u32_e32 vcc_lo, 0, v2
	s_cbranch_vccnz .LBB21_14
	s_branch .LBB21_94
.LBB21_73:                              ;   in Loop: Header=BB21_15 Depth=1
	s_ashr_i32 s15, s14, 31
	v_mov_b32_e32 v2, s42
	s_lshl_b64 s[4:5], s[14:15], 2
	s_delay_alu instid0(SALU_CYCLE_1)
	s_add_u32 s4, s36, s4
	s_addc_u32 s5, s37, s5
	global_store_b32 v3, v2, s[4:5]
	s_and_saveexec_b32 s4, s48
	s_cbranch_execz .LBB21_75
; %bb.74:                               ;   in Loop: Header=BB21_15 Depth=1
	v_mad_u64_u32 v[7:8], null, s14, s30, v[5:6]
	ds_load_b32 v2, v16
	v_mad_u64_u32 v[8:9], null, v7, s30, v[6:7]
	v_mov_b32_e32 v9, v3
	s_delay_alu instid0(VALU_DEP_1) | instskip(NEXT) | instid1(VALU_DEP_1)
	v_lshlrev_b64 v[7:8], 2, v[8:9]
	v_add_co_u32 v7, vcc_lo, s38, v7
	s_delay_alu instid0(VALU_DEP_2)
	v_add_co_ci_u32_e32 v8, vcc_lo, s39, v8, vcc_lo
	s_waitcnt lgkmcnt(0)
	global_store_b32 v[7:8], v2, off
.LBB21_75:                              ;   in Loop: Header=BB21_15 Depth=1
	s_or_b32 exec_lo, exec_lo, s4
	s_mov_b32 s40, 1
	ds_load_u8 v2, v3 offset:8193
	s_waitcnt lgkmcnt(0)
	v_cmp_eq_u32_e32 vcc_lo, 0, v2
	s_cbranch_vccnz .LBB21_67
.LBB21_76:                              ;   in Loop: Header=BB21_15 Depth=1
	s_add_i32 s4, s40, s14
	s_add_i32 s15, s42, 1
	s_ashr_i32 s5, s4, 31
	v_mov_b32_e32 v2, s15
	s_lshl_b64 s[44:45], s[4:5], 2
	s_delay_alu instid0(SALU_CYCLE_1)
	s_add_u32 s44, s36, s44
	s_addc_u32 s45, s37, s45
	global_store_b32 v3, v2, s[44:45]
	s_and_saveexec_b32 s5, s48
	s_cbranch_execz .LBB21_78
; %bb.77:                               ;   in Loop: Header=BB21_15 Depth=1
	v_mad_u64_u32 v[7:8], null, s4, s30, v[5:6]
	ds_load_b32 v2, v17 offset:1024
	v_mad_u64_u32 v[8:9], null, v7, s30, v[6:7]
	v_mov_b32_e32 v9, v3
	s_delay_alu instid0(VALU_DEP_1) | instskip(NEXT) | instid1(VALU_DEP_1)
	v_lshlrev_b64 v[7:8], 2, v[8:9]
	v_add_co_u32 v7, vcc_lo, s38, v7
	s_delay_alu instid0(VALU_DEP_2)
	v_add_co_ci_u32_e32 v8, vcc_lo, s39, v8, vcc_lo
	s_waitcnt lgkmcnt(0)
	global_store_b32 v[7:8], v2, off
.LBB21_78:                              ;   in Loop: Header=BB21_15 Depth=1
	s_or_b32 exec_lo, exec_lo, s5
	s_add_i32 s40, s40, 1
	ds_load_u8 v2, v3 offset:8194
	s_waitcnt lgkmcnt(0)
	v_cmp_eq_u32_e32 vcc_lo, 0, v2
	s_cbranch_vccnz .LBB21_68
.LBB21_79:                              ;   in Loop: Header=BB21_15 Depth=1
	s_add_i32 s4, s40, s14
	s_add_i32 s15, s42, 2
	s_ashr_i32 s5, s4, 31
	v_mov_b32_e32 v2, s15
	s_lshl_b64 s[44:45], s[4:5], 2
	s_delay_alu instid0(SALU_CYCLE_1)
	s_add_u32 s44, s36, s44
	s_addc_u32 s45, s37, s45
	global_store_b32 v3, v2, s[44:45]
	s_and_saveexec_b32 s5, s48
	s_cbranch_execz .LBB21_81
; %bb.80:                               ;   in Loop: Header=BB21_15 Depth=1
	v_mad_u64_u32 v[7:8], null, s4, s30, v[5:6]
	ds_load_b32 v2, v17 offset:2048
	v_mad_u64_u32 v[8:9], null, v7, s30, v[6:7]
	v_mov_b32_e32 v9, v3
	s_delay_alu instid0(VALU_DEP_1) | instskip(NEXT) | instid1(VALU_DEP_1)
	v_lshlrev_b64 v[7:8], 2, v[8:9]
	v_add_co_u32 v7, vcc_lo, s38, v7
	s_delay_alu instid0(VALU_DEP_2)
	v_add_co_ci_u32_e32 v8, vcc_lo, s39, v8, vcc_lo
	s_waitcnt lgkmcnt(0)
	global_store_b32 v[7:8], v2, off
.LBB21_81:                              ;   in Loop: Header=BB21_15 Depth=1
	s_or_b32 exec_lo, exec_lo, s5
	s_add_i32 s40, s40, 1
	ds_load_u8 v2, v3 offset:8195
	s_waitcnt lgkmcnt(0)
	v_cmp_eq_u32_e32 vcc_lo, 0, v2
	s_cbranch_vccnz .LBB21_69
.LBB21_82:                              ;   in Loop: Header=BB21_15 Depth=1
	s_add_i32 s4, s40, s14
	s_add_i32 s15, s42, 3
	s_ashr_i32 s5, s4, 31
	v_mov_b32_e32 v2, s15
	s_lshl_b64 s[44:45], s[4:5], 2
	s_delay_alu instid0(SALU_CYCLE_1)
	s_add_u32 s44, s36, s44
	s_addc_u32 s45, s37, s45
	global_store_b32 v3, v2, s[44:45]
	s_and_saveexec_b32 s5, s48
	s_cbranch_execz .LBB21_84
; %bb.83:                               ;   in Loop: Header=BB21_15 Depth=1
	v_mad_u64_u32 v[7:8], null, s4, s30, v[5:6]
	ds_load_b32 v2, v17 offset:3072
	v_mad_u64_u32 v[8:9], null, v7, s30, v[6:7]
	v_mov_b32_e32 v9, v3
	s_delay_alu instid0(VALU_DEP_1) | instskip(NEXT) | instid1(VALU_DEP_1)
	v_lshlrev_b64 v[7:8], 2, v[8:9]
	v_add_co_u32 v7, vcc_lo, s38, v7
	s_delay_alu instid0(VALU_DEP_2)
	v_add_co_ci_u32_e32 v8, vcc_lo, s39, v8, vcc_lo
	s_waitcnt lgkmcnt(0)
	global_store_b32 v[7:8], v2, off
.LBB21_84:                              ;   in Loop: Header=BB21_15 Depth=1
	s_or_b32 exec_lo, exec_lo, s5
	s_add_i32 s40, s40, 1
	ds_load_u8 v2, v3 offset:8196
	s_waitcnt lgkmcnt(0)
	v_cmp_eq_u32_e32 vcc_lo, 0, v2
	s_cbranch_vccnz .LBB21_70
.LBB21_85:                              ;   in Loop: Header=BB21_15 Depth=1
	s_add_i32 s4, s40, s14
	s_add_i32 s15, s42, 4
	s_ashr_i32 s5, s4, 31
	v_mov_b32_e32 v2, s15
	s_lshl_b64 s[44:45], s[4:5], 2
	s_delay_alu instid0(SALU_CYCLE_1)
	s_add_u32 s44, s36, s44
	s_addc_u32 s45, s37, s45
	global_store_b32 v3, v2, s[44:45]
	s_and_saveexec_b32 s5, s48
	s_cbranch_execz .LBB21_87
; %bb.86:                               ;   in Loop: Header=BB21_15 Depth=1
	v_mad_u64_u32 v[7:8], null, s4, s30, v[5:6]
	ds_load_b32 v2, v16 offset:4096
	v_mad_u64_u32 v[8:9], null, v7, s30, v[6:7]
	v_mov_b32_e32 v9, v3
	s_delay_alu instid0(VALU_DEP_1) | instskip(NEXT) | instid1(VALU_DEP_1)
	v_lshlrev_b64 v[7:8], 2, v[8:9]
	v_add_co_u32 v7, vcc_lo, s38, v7
	s_delay_alu instid0(VALU_DEP_2)
	v_add_co_ci_u32_e32 v8, vcc_lo, s39, v8, vcc_lo
	s_waitcnt lgkmcnt(0)
	global_store_b32 v[7:8], v2, off
.LBB21_87:                              ;   in Loop: Header=BB21_15 Depth=1
	s_or_b32 exec_lo, exec_lo, s5
	s_add_i32 s40, s40, 1
	ds_load_u8 v2, v3 offset:8197
	s_waitcnt lgkmcnt(0)
	v_cmp_eq_u32_e32 vcc_lo, 0, v2
	s_cbranch_vccnz .LBB21_71
.LBB21_88:                              ;   in Loop: Header=BB21_15 Depth=1
	s_add_i32 s4, s40, s14
	s_add_i32 s15, s42, 5
	s_ashr_i32 s5, s4, 31
	v_mov_b32_e32 v2, s15
	s_lshl_b64 s[44:45], s[4:5], 2
	s_delay_alu instid0(SALU_CYCLE_1)
	s_add_u32 s44, s36, s44
	s_addc_u32 s45, s37, s45
	global_store_b32 v3, v2, s[44:45]
	s_and_saveexec_b32 s5, s48
	s_cbranch_execz .LBB21_90
; %bb.89:                               ;   in Loop: Header=BB21_15 Depth=1
	v_mad_u64_u32 v[7:8], null, s4, s30, v[5:6]
	ds_load_b32 v2, v17 offset:5120
	v_mad_u64_u32 v[8:9], null, v7, s30, v[6:7]
	v_mov_b32_e32 v9, v3
	s_delay_alu instid0(VALU_DEP_1) | instskip(NEXT) | instid1(VALU_DEP_1)
	v_lshlrev_b64 v[7:8], 2, v[8:9]
	v_add_co_u32 v7, vcc_lo, s38, v7
	s_delay_alu instid0(VALU_DEP_2)
	v_add_co_ci_u32_e32 v8, vcc_lo, s39, v8, vcc_lo
	s_waitcnt lgkmcnt(0)
	global_store_b32 v[7:8], v2, off
.LBB21_90:                              ;   in Loop: Header=BB21_15 Depth=1
	s_or_b32 exec_lo, exec_lo, s5
	s_add_i32 s40, s40, 1
	ds_load_u8 v2, v3 offset:8198
	s_waitcnt lgkmcnt(0)
	v_cmp_eq_u32_e32 vcc_lo, 0, v2
	s_cbranch_vccnz .LBB21_72
.LBB21_91:                              ;   in Loop: Header=BB21_15 Depth=1
	s_add_i32 s4, s40, s14
	s_add_i32 s15, s42, 6
	s_ashr_i32 s5, s4, 31
	v_mov_b32_e32 v2, s15
	s_lshl_b64 s[44:45], s[4:5], 2
	s_delay_alu instid0(SALU_CYCLE_1)
	s_add_u32 s44, s36, s44
	s_addc_u32 s45, s37, s45
	global_store_b32 v3, v2, s[44:45]
	s_and_saveexec_b32 s5, s48
	s_cbranch_execz .LBB21_93
; %bb.92:                               ;   in Loop: Header=BB21_15 Depth=1
	v_mad_u64_u32 v[7:8], null, s4, s30, v[5:6]
	ds_load_b32 v2, v17 offset:6144
	v_mad_u64_u32 v[8:9], null, v7, s30, v[6:7]
	v_mov_b32_e32 v9, v3
	s_delay_alu instid0(VALU_DEP_1) | instskip(NEXT) | instid1(VALU_DEP_1)
	v_lshlrev_b64 v[7:8], 2, v[8:9]
	v_add_co_u32 v7, vcc_lo, s38, v7
	s_delay_alu instid0(VALU_DEP_2)
	v_add_co_ci_u32_e32 v8, vcc_lo, s39, v8, vcc_lo
	s_waitcnt lgkmcnt(0)
	global_store_b32 v[7:8], v2, off
.LBB21_93:                              ;   in Loop: Header=BB21_15 Depth=1
	s_or_b32 exec_lo, exec_lo, s5
	s_add_i32 s40, s40, 1
	ds_load_u8 v2, v3 offset:8199
	s_waitcnt lgkmcnt(0)
	v_cmp_eq_u32_e32 vcc_lo, 0, v2
	s_cbranch_vccnz .LBB21_14
.LBB21_94:                              ;   in Loop: Header=BB21_15 Depth=1
	s_add_i32 s4, s40, s14
	s_add_i32 s15, s42, 7
	s_ashr_i32 s5, s4, 31
	v_mov_b32_e32 v2, s15
	s_lshl_b64 s[42:43], s[4:5], 2
	s_delay_alu instid0(SALU_CYCLE_1)
	s_add_u32 s42, s36, s42
	s_addc_u32 s43, s37, s43
	global_store_b32 v3, v2, s[42:43]
	s_and_saveexec_b32 s5, s48
	s_cbranch_execz .LBB21_13
; %bb.95:                               ;   in Loop: Header=BB21_15 Depth=1
	v_mad_u64_u32 v[7:8], null, s4, s30, v[5:6]
	ds_load_b32 v2, v17 offset:7168
	v_mad_u64_u32 v[8:9], null, v7, s30, v[6:7]
	v_mov_b32_e32 v9, v3
	s_delay_alu instid0(VALU_DEP_1) | instskip(NEXT) | instid1(VALU_DEP_1)
	v_lshlrev_b64 v[7:8], 2, v[8:9]
	v_add_co_u32 v7, vcc_lo, s38, v7
	s_delay_alu instid0(VALU_DEP_2)
	v_add_co_ci_u32_e32 v8, vcc_lo, s39, v8, vcc_lo
	s_waitcnt lgkmcnt(0)
	global_store_b32 v[7:8], v2, off
	s_branch .LBB21_13
.LBB21_96:
	s_endpgm
	.section	.rodata,"a",@progbits
	.p2align	6, 0x0
	.amdhsa_kernel _ZN9rocsparseL31bsrgemm_block_per_row_multipassILj256ELj8ELj16EiifEEv20rocsparse_direction_T3_S2_PKS2_S4_NS_24const_host_device_scalarIT4_EEPKT2_S4_PKS6_SA_S4_SC_S7_SA_S4_SC_SA_PS2_PS6_PS8_21rocsparse_index_base_SG_SG_SG_bbb
		.amdhsa_group_segment_fixed_size 8200
		.amdhsa_private_segment_fixed_size 0
		.amdhsa_kernarg_size 172
		.amdhsa_user_sgpr_count 15
		.amdhsa_user_sgpr_dispatch_ptr 0
		.amdhsa_user_sgpr_queue_ptr 0
		.amdhsa_user_sgpr_kernarg_segment_ptr 1
		.amdhsa_user_sgpr_dispatch_id 0
		.amdhsa_user_sgpr_private_segment_size 0
		.amdhsa_wavefront_size32 1
		.amdhsa_uses_dynamic_stack 0
		.amdhsa_enable_private_segment 0
		.amdhsa_system_sgpr_workgroup_id_x 1
		.amdhsa_system_sgpr_workgroup_id_y 0
		.amdhsa_system_sgpr_workgroup_id_z 0
		.amdhsa_system_sgpr_workgroup_info 0
		.amdhsa_system_vgpr_workitem_id 0
		.amdhsa_next_free_vgpr 28
		.amdhsa_next_free_sgpr 61
		.amdhsa_reserve_vcc 1
		.amdhsa_float_round_mode_32 0
		.amdhsa_float_round_mode_16_64 0
		.amdhsa_float_denorm_mode_32 3
		.amdhsa_float_denorm_mode_16_64 3
		.amdhsa_dx10_clamp 1
		.amdhsa_ieee_mode 1
		.amdhsa_fp16_overflow 0
		.amdhsa_workgroup_processor_mode 1
		.amdhsa_memory_ordered 1
		.amdhsa_forward_progress 0
		.amdhsa_shared_vgpr_count 0
		.amdhsa_exception_fp_ieee_invalid_op 0
		.amdhsa_exception_fp_denorm_src 0
		.amdhsa_exception_fp_ieee_div_zero 0
		.amdhsa_exception_fp_ieee_overflow 0
		.amdhsa_exception_fp_ieee_underflow 0
		.amdhsa_exception_fp_ieee_inexact 0
		.amdhsa_exception_int_div_zero 0
	.end_amdhsa_kernel
	.section	.text._ZN9rocsparseL31bsrgemm_block_per_row_multipassILj256ELj8ELj16EiifEEv20rocsparse_direction_T3_S2_PKS2_S4_NS_24const_host_device_scalarIT4_EEPKT2_S4_PKS6_SA_S4_SC_S7_SA_S4_SC_SA_PS2_PS6_PS8_21rocsparse_index_base_SG_SG_SG_bbb,"axG",@progbits,_ZN9rocsparseL31bsrgemm_block_per_row_multipassILj256ELj8ELj16EiifEEv20rocsparse_direction_T3_S2_PKS2_S4_NS_24const_host_device_scalarIT4_EEPKT2_S4_PKS6_SA_S4_SC_S7_SA_S4_SC_SA_PS2_PS6_PS8_21rocsparse_index_base_SG_SG_SG_bbb,comdat
.Lfunc_end21:
	.size	_ZN9rocsparseL31bsrgemm_block_per_row_multipassILj256ELj8ELj16EiifEEv20rocsparse_direction_T3_S2_PKS2_S4_NS_24const_host_device_scalarIT4_EEPKT2_S4_PKS6_SA_S4_SC_S7_SA_S4_SC_SA_PS2_PS6_PS8_21rocsparse_index_base_SG_SG_SG_bbb, .Lfunc_end21-_ZN9rocsparseL31bsrgemm_block_per_row_multipassILj256ELj8ELj16EiifEEv20rocsparse_direction_T3_S2_PKS2_S4_NS_24const_host_device_scalarIT4_EEPKT2_S4_PKS6_SA_S4_SC_S7_SA_S4_SC_SA_PS2_PS6_PS8_21rocsparse_index_base_SG_SG_SG_bbb
                                        ; -- End function
	.section	.AMDGPU.csdata,"",@progbits
; Kernel info:
; codeLenInByte = 3464
; NumSgprs: 63
; NumVgprs: 28
; ScratchSize: 0
; MemoryBound: 0
; FloatMode: 240
; IeeeMode: 1
; LDSByteSize: 8200 bytes/workgroup (compile time only)
; SGPRBlocks: 7
; VGPRBlocks: 3
; NumSGPRsForWavesPerEU: 63
; NumVGPRsForWavesPerEU: 28
; Occupancy: 16
; WaveLimiterHint : 1
; COMPUTE_PGM_RSRC2:SCRATCH_EN: 0
; COMPUTE_PGM_RSRC2:USER_SGPR: 15
; COMPUTE_PGM_RSRC2:TRAP_HANDLER: 0
; COMPUTE_PGM_RSRC2:TGID_X_EN: 1
; COMPUTE_PGM_RSRC2:TGID_Y_EN: 0
; COMPUTE_PGM_RSRC2:TGID_Z_EN: 0
; COMPUTE_PGM_RSRC2:TIDIG_COMP_CNT: 0
	.section	.text._ZN9rocsparseL31bsrgemm_block_per_row_multipassILj256ELj2ELj32EiifEEv20rocsparse_direction_T3_S2_PKS2_S4_NS_24const_host_device_scalarIT4_EEPKT2_S4_PKS6_SA_S4_SC_S7_SA_S4_SC_SA_PS2_PS6_PS8_21rocsparse_index_base_SG_SG_SG_bbb,"axG",@progbits,_ZN9rocsparseL31bsrgemm_block_per_row_multipassILj256ELj2ELj32EiifEEv20rocsparse_direction_T3_S2_PKS2_S4_NS_24const_host_device_scalarIT4_EEPKT2_S4_PKS6_SA_S4_SC_S7_SA_S4_SC_SA_PS2_PS6_PS8_21rocsparse_index_base_SG_SG_SG_bbb,comdat
	.globl	_ZN9rocsparseL31bsrgemm_block_per_row_multipassILj256ELj2ELj32EiifEEv20rocsparse_direction_T3_S2_PKS2_S4_NS_24const_host_device_scalarIT4_EEPKT2_S4_PKS6_SA_S4_SC_S7_SA_S4_SC_SA_PS2_PS6_PS8_21rocsparse_index_base_SG_SG_SG_bbb ; -- Begin function _ZN9rocsparseL31bsrgemm_block_per_row_multipassILj256ELj2ELj32EiifEEv20rocsparse_direction_T3_S2_PKS2_S4_NS_24const_host_device_scalarIT4_EEPKT2_S4_PKS6_SA_S4_SC_S7_SA_S4_SC_SA_PS2_PS6_PS8_21rocsparse_index_base_SG_SG_SG_bbb
	.p2align	8
	.type	_ZN9rocsparseL31bsrgemm_block_per_row_multipassILj256ELj2ELj32EiifEEv20rocsparse_direction_T3_S2_PKS2_S4_NS_24const_host_device_scalarIT4_EEPKT2_S4_PKS6_SA_S4_SC_S7_SA_S4_SC_SA_PS2_PS6_PS8_21rocsparse_index_base_SG_SG_SG_bbb,@function
_ZN9rocsparseL31bsrgemm_block_per_row_multipassILj256ELj2ELj32EiifEEv20rocsparse_direction_T3_S2_PKS2_S4_NS_24const_host_device_scalarIT4_EEPKT2_S4_PKS6_SA_S4_SC_S7_SA_S4_SC_SA_PS2_PS6_PS8_21rocsparse_index_base_SG_SG_SG_bbb: ; @_ZN9rocsparseL31bsrgemm_block_per_row_multipassILj256ELj2ELj32EiifEEv20rocsparse_direction_T3_S2_PKS2_S4_NS_24const_host_device_scalarIT4_EEPKT2_S4_PKS6_SA_S4_SC_S7_SA_S4_SC_SA_PS2_PS6_PS8_21rocsparse_index_base_SG_SG_SG_bbb
; %bb.0:
	s_clause 0x3
	s_load_b32 s3, s[0:1], 0xa8
	s_load_b128 s[24:27], s[0:1], 0x98
	s_load_b64 s[6:7], s[0:1], 0x20
	s_load_b64 s[4:5], s[0:1], 0x58
	s_mov_b32 s2, s15
	s_waitcnt lgkmcnt(0)
	s_bitcmp1_b32 s3, 0
	s_cselect_b32 s42, -1, 0
	s_bitcmp1_b32 s3, 16
	s_cselect_b32 s8, -1, 0
	s_xor_b32 s9, s42, -1
	s_delay_alu instid0(SALU_CYCLE_1) | instskip(NEXT) | instid1(SALU_CYCLE_1)
	s_or_b32 s9, s9, s8
	s_and_b32 vcc_lo, exec_lo, s9
	s_cbranch_vccnz .LBB22_2
; %bb.1:
	s_load_b32 s6, s[6:7], 0x0
	s_waitcnt lgkmcnt(0)
	v_mov_b32_e32 v10, s6
	s_branch .LBB22_3
.LBB22_2:
	v_cndmask_b32_e64 v10, 0, s6, s42
.LBB22_3:
	s_load_b64 s[6:7], s[0:1], 0x18
	s_bitcmp1_b32 s3, 8
	s_cselect_b32 s33, -1, 0
	s_delay_alu instid0(SALU_CYCLE_1) | instskip(NEXT) | instid1(SALU_CYCLE_1)
	s_xor_b32 s3, s33, -1
	s_or_b32 s3, s3, s8
	s_delay_alu instid0(SALU_CYCLE_1)
	s_and_b32 vcc_lo, exec_lo, s3
	s_cbranch_vccnz .LBB22_5
; %bb.4:
	s_load_b32 s3, s[4:5], 0x0
	s_waitcnt lgkmcnt(0)
	v_mov_b32_e32 v11, s3
	s_load_b64 s[4:5], s[0:1], 0x28
	s_cmp_eq_u64 s[6:7], 0
	s_cbranch_scc0 .LBB22_6
	s_branch .LBB22_7
.LBB22_5:
	v_cndmask_b32_e64 v11, 0, s4, s33
	s_load_b64 s[4:5], s[0:1], 0x28
	s_waitcnt lgkmcnt(0)
	s_cmp_eq_u64 s[6:7], 0
	s_cbranch_scc1 .LBB22_7
.LBB22_6:
	s_load_b64 s[8:9], s[0:1], 0x10
	s_waitcnt lgkmcnt(0)
	s_load_b32 s3, s[8:9], 0x0
	s_waitcnt lgkmcnt(0)
	s_add_i32 s2, s3, s2
	s_mov_b32 s3, 0
	s_delay_alu instid0(SALU_CYCLE_1) | instskip(NEXT) | instid1(SALU_CYCLE_1)
	s_lshl_b64 s[2:3], s[2:3], 2
	s_add_u32 s2, s6, s2
	s_addc_u32 s3, s7, s3
	s_load_b32 s2, s[2:3], 0x0
.LBB22_7:
	s_mov_b32 s46, 0
	s_and_not1_b32 vcc_lo, exec_lo, s42
	s_mov_b32 s47, 0
	s_cbranch_vccz .LBB22_10
; %bb.8:
	s_and_not1_b32 vcc_lo, exec_lo, s42
	s_cbranch_vccz .LBB22_11
.LBB22_9:
	s_load_b128 s[28:31], s[0:1], 0x0
	s_waitcnt lgkmcnt(0)
	s_cmp_lt_i32 s29, 1
	s_cbranch_scc0 .LBB22_12
	s_branch .LBB22_169
.LBB22_10:
	s_waitcnt lgkmcnt(0)
	s_ashr_i32 s3, s2, 31
	s_delay_alu instid0(SALU_CYCLE_1) | instskip(NEXT) | instid1(SALU_CYCLE_1)
	s_lshl_b64 s[6:7], s[2:3], 2
	s_add_u32 s6, s4, s6
	s_addc_u32 s7, s5, s7
	s_load_b32 s3, s[6:7], 0x0
	s_waitcnt lgkmcnt(0)
	s_sub_i32 s47, s3, s24
	s_and_not1_b32 vcc_lo, exec_lo, s42
	s_cbranch_vccnz .LBB22_9
.LBB22_11:
	s_waitcnt lgkmcnt(0)
	s_ashr_i32 s3, s2, 31
	s_delay_alu instid0(SALU_CYCLE_1) | instskip(NEXT) | instid1(SALU_CYCLE_1)
	s_lshl_b64 s[6:7], s[2:3], 2
	s_add_u32 s4, s4, s6
	s_addc_u32 s5, s5, s7
	s_load_b32 s3, s[4:5], 0x4
	s_waitcnt lgkmcnt(0)
	s_sub_i32 s46, s3, s24
	s_load_b128 s[28:31], s[0:1], 0x0
	s_waitcnt lgkmcnt(0)
	s_cmp_lt_i32 s29, 1
	s_cbranch_scc1 .LBB22_169
.LBB22_12:
	s_clause 0x4
	s_load_b256 s[8:15], s[0:1], 0x60
	s_load_b64 s[34:35], s[0:1], 0x90
	s_load_b128 s[36:39], s[0:1], 0x80
	s_load_b64 s[40:41], s[0:1], 0x50
	s_load_b256 s[16:23], s[0:1], 0x30
	s_ashr_i32 s3, s2, 31
	v_and_b32_e32 v12, 7, v0
	s_lshl_b64 s[44:45], s[2:3], 2
	v_lshrrev_b32_e32 v1, 3, v0
	v_or_b32_e32 v2, 0x400, v0
	s_mul_i32 s31, s30, s30
	v_or_b32_e32 v15, 8, v12
	v_or_b32_e32 v16, 16, v12
	v_lshlrev_b32_e32 v14, 5, v1
	v_mad_u64_u32 v[4:5], null, s47, s30, v[1:2]
	v_or_b32_e32 v17, 24, v12
	v_cmp_gt_i32_e32 vcc_lo, s30, v1
	s_delay_alu instid0(VALU_DEP_4)
	v_or_b32_e32 v3, v14, v15
	v_or_b32_e32 v5, v14, v16
	s_waitcnt lgkmcnt(0)
	s_add_u32 s2, s14, s44
	s_addc_u32 s3, s15, s45
	v_or_b32_e32 v6, v14, v17
	s_load_b32 s7, s[2:3], 0x0
	v_cmp_gt_u32_e64 s2, 0x700, v2
	v_or_b32_e32 v2, v14, v12
	v_cmp_gt_u32_e64 s3, s30, v12
	v_cmp_gt_u32_e64 s4, s30, v15
	;; [unrolled: 1-line block ×4, first 2 shown]
	v_lshlrev_b32_e32 v18, 2, v2
	v_dual_mov_b32 v24, 1 :: v_dual_lshlrev_b32 v19, 2, v3
	v_mad_u64_u32 v[2:3], null, s47, s31, v[1:2]
	v_mul_lo_u32 v22, s30, v4
	v_cmp_gt_u32_e64 s0, 2, v0
	v_dual_mov_b32 v4, 0 :: v_dual_lshlrev_b32 v13, 2, v0
	v_cmp_gt_u32_e64 s1, 0x200, v0
	v_lshlrev_b32_e32 v20, 2, v5
	v_lshlrev_b32_e32 v21, 2, v6
	s_mov_b32 s58, 2
	s_waitcnt lgkmcnt(0)
	s_sub_i32 s14, s7, s26
	s_cmp_lt_i32 s47, s46
	s_mov_b32 s57, 0
	s_cselect_b32 s7, -1, 0
	s_cmp_lg_u32 s28, 0
	s_cselect_b32 s28, -1, 0
	s_cmp_gt_i32 s30, 0
	s_cselect_b32 s48, -1, 0
	s_add_u32 s8, s8, s44
	s_addc_u32 s9, s9, s45
	s_and_b32 s49, vcc_lo, s3
	v_cmp_gt_u32_e64 s3, 0x100, v0
	v_cndmask_b32_e64 v23, 0, 1, s48
	s_and_b32 s50, vcc_lo, s4
	s_and_b32 s51, vcc_lo, s5
	;; [unrolled: 1-line block ×3, first 2 shown]
	s_and_b32 s53, s42, s7
	s_add_u32 s54, s20, 4
	s_addc_u32 s55, s21, 0
	s_sub_i32 s56, 1, s27
	s_branch .LBB22_16
.LBB22_13:                              ;   in Loop: Header=BB22_16 Depth=1
	ds_load_b32 v7, v21 offset:4096
	v_lshlrev_b64 v[5:6], 2, v[3:4]
	s_delay_alu instid0(VALU_DEP_1) | instskip(NEXT) | instid1(VALU_DEP_2)
	v_add_co_u32 v5, vcc_lo, s38, v5
	v_add_co_ci_u32_e32 v6, vcc_lo, s39, v6, vcc_lo
	s_waitcnt lgkmcnt(0)
	global_store_b32 v[5:6], v7, off
.LBB22_14:                              ;   in Loop: Header=BB22_16 Depth=1
	s_or_b32 exec_lo, exec_lo, s5
	s_add_i32 s4, s4, 1
.LBB22_15:                              ;   in Loop: Header=BB22_16 Depth=1
	s_min_i32 s57, s45, s29
	s_add_i32 s14, s4, s14
	s_add_i32 s58, s57, 2
	s_cmp_lt_i32 s45, s29
	s_waitcnt_vscnt null, 0x0
	s_barrier
	buffer_gl0_inv
	s_barrier
	buffer_gl0_inv
	s_cbranch_scc0 .LBB22_169
.LBB22_16:                              ; =>This Loop Header: Depth=1
                                        ;     Child Loop BB22_26 Depth 2
                                        ;       Child Loop BB22_31 Depth 3
                                        ;         Child Loop BB22_43 Depth 4
                                        ;         Child Loop BB22_48 Depth 4
	;; [unrolled: 1-line block ×8, first 2 shown]
                                        ;     Child Loop BB22_93 Depth 2
	s_and_saveexec_b32 s4, s0
	s_cbranch_execz .LBB22_18
; %bb.17:                               ;   in Loop: Header=BB22_16 Depth=1
	ds_store_b8 v0, v4 offset:8192
.LBB22_18:                              ;   in Loop: Header=BB22_16 Depth=1
	s_or_b32 exec_lo, exec_lo, s4
	ds_store_2addr_stride64_b32 v13, v4, v4 offset1:4
	ds_store_2addr_stride64_b32 v13, v4, v4 offset0:8 offset1:12
	ds_store_b32 v13, v4 offset:4096
	s_and_saveexec_b32 s4, s2
	s_delay_alu instid0(SALU_CYCLE_1)
	s_xor_b32 s4, exec_lo, s4
	s_cbranch_execz .LBB22_24
; %bb.19:                               ;   in Loop: Header=BB22_16 Depth=1
	ds_store_b32 v13, v4 offset:5120
	s_and_saveexec_b32 s5, s1
	s_delay_alu instid0(SALU_CYCLE_1)
	s_xor_b32 s5, exec_lo, s5
	s_cbranch_execz .LBB22_23
; %bb.20:                               ;   in Loop: Header=BB22_16 Depth=1
	;; [unrolled: 6-line block ×3, first 2 shown]
	ds_store_b32 v13, v4 offset:7168
.LBB22_22:                              ;   in Loop: Header=BB22_16 Depth=1
	s_or_b32 exec_lo, exec_lo, s6
.LBB22_23:                              ;   in Loop: Header=BB22_16 Depth=1
	s_delay_alu instid0(SALU_CYCLE_1)
	s_or_b32 exec_lo, exec_lo, s5
.LBB22_24:                              ;   in Loop: Header=BB22_16 Depth=1
	s_delay_alu instid0(SALU_CYCLE_1) | instskip(NEXT) | instid1(SALU_CYCLE_1)
	s_or_b32 exec_lo, exec_lo, s4
	s_and_not1_b32 vcc_lo, exec_lo, s53
	s_mov_b32 s45, s29
	s_waitcnt lgkmcnt(0)
	s_barrier
	buffer_gl0_inv
	s_cbranch_vccnz .LBB22_87
; %bb.25:                               ;   in Loop: Header=BB22_16 Depth=1
	v_mov_b32_e32 v5, v22
	v_mov_b32_e32 v25, v2
	s_cmp_lg_u32 s57, 0
	s_mov_b32 s59, s29
	s_cselect_b32 s15, -1, 0
	s_mov_b32 s6, s47
.LBB22_26:                              ;   Parent Loop BB22_16 Depth=1
                                        ; =>  This Loop Header: Depth=2
                                        ;       Child Loop BB22_31 Depth 3
                                        ;         Child Loop BB22_43 Depth 4
                                        ;         Child Loop BB22_48 Depth 4
	;; [unrolled: 1-line block ×8, first 2 shown]
	s_delay_alu instid0(SALU_CYCLE_1) | instskip(NEXT) | instid1(SALU_CYCLE_1)
	s_ashr_i32 s7, s6, 31
	s_lshl_b64 s[42:43], s[6:7], 2
	s_delay_alu instid0(SALU_CYCLE_1)
	s_add_u32 s4, s16, s42
	s_addc_u32 s5, s17, s43
	s_and_b32 vcc_lo, exec_lo, s15
	s_load_b32 s4, s[4:5], 0x0
	s_waitcnt lgkmcnt(0)
	s_sub_i32 s4, s4, s24
	s_cbranch_vccz .LBB22_86
; %bb.27:                               ;   in Loop: Header=BB22_26 Depth=2
	s_add_u32 s44, s34, s42
	s_addc_u32 s45, s35, s43
	s_ashr_i32 s5, s4, 31
	global_load_b32 v3, v4, s[44:45]
	s_waitcnt vmcnt(0)
	v_readfirstlane_b32 s44, v3
	s_cbranch_execnz .LBB22_29
.LBB22_28:                              ;   in Loop: Header=BB22_26 Depth=2
	s_ashr_i32 s5, s4, 31
	s_delay_alu instid0(SALU_CYCLE_1) | instskip(NEXT) | instid1(SALU_CYCLE_1)
	s_lshl_b64 s[44:45], s[4:5], 2
	s_add_u32 s44, s20, s44
	s_addc_u32 s45, s21, s45
	s_load_b32 s7, s[44:45], 0x0
	s_waitcnt lgkmcnt(0)
	s_sub_i32 s44, s7, s25
.LBB22_29:                              ;   in Loop: Header=BB22_26 Depth=2
	s_lshl_b64 s[4:5], s[4:5], 2
	s_delay_alu instid0(SALU_CYCLE_1) | instskip(SKIP_4) | instid1(SALU_CYCLE_1)
	s_add_u32 s4, s54, s4
	s_addc_u32 s5, s55, s5
	s_load_b32 s4, s[4:5], 0x0
	s_waitcnt lgkmcnt(0)
	s_sub_i32 s5, s4, s25
	s_cmp_ge_i32 s44, s5
	s_cbranch_scc1 .LBB22_83
; %bb.30:                               ;   in Loop: Header=BB22_26 Depth=2
	v_ashrrev_i32_e32 v6, 31, v5
	s_mul_i32 s4, s30, s44
	s_mul_i32 s7, s31, s44
	v_add_nc_u32_e32 v3, s4, v12
	v_add_nc_u32_e32 v8, s4, v15
	v_lshlrev_b64 v[6:7], 2, v[5:6]
	v_add_nc_u32_e32 v9, s4, v16
	v_add_nc_u32_e32 v30, s4, v17
	v_mul_lo_u32 v26, s30, v3
	v_mul_lo_u32 v28, s30, v8
	v_add_nc_u32_e32 v27, s7, v12
	v_mul_lo_u32 v29, s30, v9
	v_mul_lo_u32 v30, s30, v30
	v_add_co_u32 v6, vcc_lo, s18, v6
	v_add_co_ci_u32_e32 v7, vcc_lo, s19, v7, vcc_lo
	v_add_nc_u32_e32 v31, s7, v15
	v_add_nc_u32_e32 v32, s7, v16
	;; [unrolled: 1-line block ×3, first 2 shown]
	s_mov_b32 s7, s44
.LBB22_31:                              ;   Parent Loop BB22_16 Depth=1
                                        ;     Parent Loop BB22_26 Depth=2
                                        ; =>    This Loop Header: Depth=3
                                        ;         Child Loop BB22_43 Depth 4
                                        ;         Child Loop BB22_48 Depth 4
	;; [unrolled: 1-line block ×8, first 2 shown]
	s_ashr_i32 s45, s44, 31
	s_mov_b32 s62, -1
	s_lshl_b64 s[60:61], s[44:45], 2
                                        ; implicit-def: $sgpr45
	s_delay_alu instid0(SALU_CYCLE_1) | instskip(SKIP_4) | instid1(SALU_CYCLE_1)
	s_add_u32 s60, s22, s60
	s_addc_u32 s61, s23, s61
	s_load_b32 s4, s[60:61], 0x0
                                        ; implicit-def: $sgpr60
	s_waitcnt lgkmcnt(0)
	s_sub_i32 s61, s4, s25
	s_cmp_lt_i32 s61, s57
	s_cselect_b32 s4, -1, 0
	s_cmp_ge_i32 s61, s58
	s_cselect_b32 s63, -1, 0
	s_delay_alu instid0(SALU_CYCLE_1) | instskip(NEXT) | instid1(SALU_CYCLE_1)
	s_or_b32 s4, s4, s63
	s_and_b32 vcc_lo, exec_lo, s4
                                        ; implicit-def: $sgpr4
	s_cbranch_vccz .LBB22_35
; %bb.32:                               ;   in Loop: Header=BB22_31 Depth=3
	s_mov_b32 s60, -1
	s_and_not1_b32 vcc_lo, exec_lo, s63
	s_mov_b32 s4, s7
	s_mov_b32 s45, s59
	s_cbranch_vccnz .LBB22_34
; %bb.33:                               ;   in Loop: Header=BB22_31 Depth=3
	s_min_i32 s45, s61, s59
	s_mov_b32 s60, 0
	s_mov_b32 s4, s44
.LBB22_34:                              ;   in Loop: Header=BB22_31 Depth=3
	s_mov_b32 s62, 0
.LBB22_35:                              ;   in Loop: Header=BB22_31 Depth=3
	s_delay_alu instid0(SALU_CYCLE_1)
	s_and_not1_b32 vcc_lo, exec_lo, s62
	s_cbranch_vccnz .LBB22_81
; %bb.36:                               ;   in Loop: Header=BB22_31 Depth=3
	s_sub_i32 s4, s61, s57
	s_delay_alu instid0(SALU_CYCLE_1)
	v_mov_b32_e32 v3, s4
	v_lshl_or_b32 v34, s4, 10, v14
	ds_store_b8 v3, v24 offset:8192
	s_and_saveexec_b32 s4, s49
	s_cbranch_execnz .LBB22_40
; %bb.37:                               ;   in Loop: Header=BB22_31 Depth=3
	s_or_b32 exec_lo, exec_lo, s4
	s_and_saveexec_b32 s45, s50
	s_cbranch_execnz .LBB22_50
.LBB22_38:                              ;   in Loop: Header=BB22_31 Depth=3
	s_or_b32 exec_lo, exec_lo, s45
	s_and_saveexec_b32 s4, s51
	s_cbranch_execnz .LBB22_60
.LBB22_39:                              ;   in Loop: Header=BB22_31 Depth=3
	s_or_b32 exec_lo, exec_lo, s4
	s_and_saveexec_b32 s45, s52
	s_cbranch_execnz .LBB22_70
	s_branch .LBB22_80
.LBB22_40:                              ;   in Loop: Header=BB22_31 Depth=3
	s_and_not1_b32 vcc_lo, exec_lo, s28
	s_cbranch_vccnz .LBB22_45
; %bb.41:                               ;   in Loop: Header=BB22_31 Depth=3
	v_mov_b32_e32 v35, 0
	s_and_not1_b32 vcc_lo, exec_lo, s48
	s_cbranch_vccnz .LBB22_44
; %bb.42:                               ;   in Loop: Header=BB22_31 Depth=3
	v_mov_b32_e32 v8, v25
	s_mov_b32 s45, 0
	.p2align	6
.LBB22_43:                              ;   Parent Loop BB22_16 Depth=1
                                        ;     Parent Loop BB22_26 Depth=2
                                        ;       Parent Loop BB22_31 Depth=3
                                        ; =>      This Inner Loop Header: Depth=4
	s_delay_alu instid0(VALU_DEP_1) | instskip(SKIP_2) | instid1(SALU_CYCLE_1)
	v_ashrrev_i32_e32 v9, 31, v8
	v_add_nc_u32_e32 v3, s45, v26
	s_add_i32 s45, s45, 1
	s_cmp_lg_u32 s30, s45
	s_delay_alu instid0(VALU_DEP_2) | instskip(NEXT) | instid1(VALU_DEP_2)
	v_lshlrev_b64 v[36:37], 2, v[8:9]
	v_lshlrev_b64 v[38:39], 2, v[3:4]
	s_delay_alu instid0(VALU_DEP_2) | instskip(NEXT) | instid1(VALU_DEP_3)
	v_add_co_u32 v36, vcc_lo, s18, v36
	v_add_co_ci_u32_e32 v37, vcc_lo, s19, v37, vcc_lo
	s_delay_alu instid0(VALU_DEP_3) | instskip(NEXT) | instid1(VALU_DEP_4)
	v_add_co_u32 v38, vcc_lo, s40, v38
	v_add_co_ci_u32_e32 v39, vcc_lo, s41, v39, vcc_lo
	global_load_b32 v3, v[36:37], off
	global_load_b32 v9, v[38:39], off
	s_waitcnt vmcnt(0)
	v_dual_fmac_f32 v35, v3, v9 :: v_dual_add_nc_u32 v8, s30, v8
	s_cbranch_scc1 .LBB22_43
.LBB22_44:                              ;   in Loop: Header=BB22_31 Depth=3
	s_cbranch_execz .LBB22_46
	s_branch .LBB22_49
.LBB22_45:                              ;   in Loop: Header=BB22_31 Depth=3
                                        ; implicit-def: $vgpr35
.LBB22_46:                              ;   in Loop: Header=BB22_31 Depth=3
	v_mov_b32_e32 v35, 0
	s_and_not1_b32 vcc_lo, exec_lo, s48
	s_cbranch_vccnz .LBB22_49
; %bb.47:                               ;   in Loop: Header=BB22_31 Depth=3
	v_dual_mov_b32 v9, v7 :: v_dual_mov_b32 v8, v6
	v_mov_b32_e32 v3, v27
	s_mov_b32 s45, s30
	.p2align	6
.LBB22_48:                              ;   Parent Loop BB22_16 Depth=1
                                        ;     Parent Loop BB22_26 Depth=2
                                        ;       Parent Loop BB22_31 Depth=3
                                        ; =>      This Inner Loop Header: Depth=4
	s_delay_alu instid0(VALU_DEP_1) | instskip(SKIP_2) | instid1(SALU_CYCLE_1)
	v_lshlrev_b64 v[36:37], 2, v[3:4]
	v_add_nc_u32_e32 v3, s30, v3
	s_add_i32 s45, s45, -1
	s_cmp_eq_u32 s45, 0
	s_delay_alu instid0(VALU_DEP_2) | instskip(NEXT) | instid1(VALU_DEP_3)
	v_add_co_u32 v36, vcc_lo, s40, v36
	v_add_co_ci_u32_e32 v37, vcc_lo, s41, v37, vcc_lo
	global_load_b32 v38, v[8:9], off
	global_load_b32 v36, v[36:37], off
	v_add_co_u32 v8, vcc_lo, v8, 4
	v_add_co_ci_u32_e32 v9, vcc_lo, 0, v9, vcc_lo
	s_waitcnt vmcnt(0)
	v_fmac_f32_e32 v35, v38, v36
	s_cbranch_scc0 .LBB22_48
.LBB22_49:                              ;   in Loop: Header=BB22_31 Depth=3
	v_or_b32_e32 v3, v34, v12
	s_delay_alu instid0(VALU_DEP_1)
	v_lshlrev_b32_e32 v3, 2, v3
	ds_load_b32 v8, v3
	s_waitcnt lgkmcnt(0)
	v_fmac_f32_e32 v8, v10, v35
	ds_store_b32 v3, v8
	s_or_b32 exec_lo, exec_lo, s4
	s_and_saveexec_b32 s45, s50
	s_cbranch_execz .LBB22_38
.LBB22_50:                              ;   in Loop: Header=BB22_31 Depth=3
	v_cmp_ne_u32_e64 s4, 1, v23
	s_and_not1_b32 vcc_lo, exec_lo, s28
	s_cbranch_vccnz .LBB22_55
; %bb.51:                               ;   in Loop: Header=BB22_31 Depth=3
	v_mov_b32_e32 v35, 0
	s_delay_alu instid0(VALU_DEP_2)
	s_and_b32 vcc_lo, exec_lo, s4
	s_cbranch_vccnz .LBB22_54
; %bb.52:                               ;   in Loop: Header=BB22_31 Depth=3
	v_mov_b32_e32 v8, v25
	s_mov_b32 s4, 0
	.p2align	6
.LBB22_53:                              ;   Parent Loop BB22_16 Depth=1
                                        ;     Parent Loop BB22_26 Depth=2
                                        ;       Parent Loop BB22_31 Depth=3
                                        ; =>      This Inner Loop Header: Depth=4
	s_delay_alu instid0(VALU_DEP_1) | instskip(SKIP_2) | instid1(SALU_CYCLE_1)
	v_ashrrev_i32_e32 v9, 31, v8
	v_add_nc_u32_e32 v3, s4, v28
	s_add_i32 s4, s4, 1
	s_cmp_eq_u32 s30, s4
	s_delay_alu instid0(VALU_DEP_2) | instskip(NEXT) | instid1(VALU_DEP_2)
	v_lshlrev_b64 v[36:37], 2, v[8:9]
	v_lshlrev_b64 v[38:39], 2, v[3:4]
	s_delay_alu instid0(VALU_DEP_2) | instskip(NEXT) | instid1(VALU_DEP_3)
	v_add_co_u32 v36, vcc_lo, s18, v36
	v_add_co_ci_u32_e32 v37, vcc_lo, s19, v37, vcc_lo
	s_delay_alu instid0(VALU_DEP_3) | instskip(NEXT) | instid1(VALU_DEP_4)
	v_add_co_u32 v38, vcc_lo, s40, v38
	v_add_co_ci_u32_e32 v39, vcc_lo, s41, v39, vcc_lo
	global_load_b32 v3, v[36:37], off
	global_load_b32 v9, v[38:39], off
	s_waitcnt vmcnt(0)
	v_dual_fmac_f32 v35, v3, v9 :: v_dual_add_nc_u32 v8, s30, v8
	s_cbranch_scc0 .LBB22_53
.LBB22_54:                              ;   in Loop: Header=BB22_31 Depth=3
	s_cbranch_execz .LBB22_56
	s_branch .LBB22_59
.LBB22_55:                              ;   in Loop: Header=BB22_31 Depth=3
                                        ; implicit-def: $vgpr35
.LBB22_56:                              ;   in Loop: Header=BB22_31 Depth=3
	v_mov_b32_e32 v35, 0
	s_and_not1_b32 vcc_lo, exec_lo, s48
	s_cbranch_vccnz .LBB22_59
; %bb.57:                               ;   in Loop: Header=BB22_31 Depth=3
	v_dual_mov_b32 v9, v7 :: v_dual_mov_b32 v8, v6
	v_mov_b32_e32 v3, v31
	s_mov_b32 s4, s30
	.p2align	6
.LBB22_58:                              ;   Parent Loop BB22_16 Depth=1
                                        ;     Parent Loop BB22_26 Depth=2
                                        ;       Parent Loop BB22_31 Depth=3
                                        ; =>      This Inner Loop Header: Depth=4
	s_delay_alu instid0(VALU_DEP_1) | instskip(SKIP_2) | instid1(SALU_CYCLE_1)
	v_lshlrev_b64 v[36:37], 2, v[3:4]
	v_add_nc_u32_e32 v3, s30, v3
	s_add_i32 s4, s4, -1
	s_cmp_eq_u32 s4, 0
	s_delay_alu instid0(VALU_DEP_2) | instskip(NEXT) | instid1(VALU_DEP_3)
	v_add_co_u32 v36, vcc_lo, s40, v36
	v_add_co_ci_u32_e32 v37, vcc_lo, s41, v37, vcc_lo
	global_load_b32 v38, v[8:9], off
	global_load_b32 v36, v[36:37], off
	v_add_co_u32 v8, vcc_lo, v8, 4
	v_add_co_ci_u32_e32 v9, vcc_lo, 0, v9, vcc_lo
	s_waitcnt vmcnt(0)
	v_fmac_f32_e32 v35, v38, v36
	s_cbranch_scc0 .LBB22_58
.LBB22_59:                              ;   in Loop: Header=BB22_31 Depth=3
	v_add_lshl_u32 v3, v34, v12, 2
	ds_load_b32 v8, v3 offset:32
	s_waitcnt lgkmcnt(0)
	v_fmac_f32_e32 v8, v10, v35
	ds_store_b32 v3, v8 offset:32
	s_or_b32 exec_lo, exec_lo, s45
	s_and_saveexec_b32 s4, s51
	s_cbranch_execz .LBB22_39
.LBB22_60:                              ;   in Loop: Header=BB22_31 Depth=3
	s_and_not1_b32 vcc_lo, exec_lo, s28
	s_cbranch_vccnz .LBB22_65
; %bb.61:                               ;   in Loop: Header=BB22_31 Depth=3
	v_mov_b32_e32 v35, 0
	s_and_not1_b32 vcc_lo, exec_lo, s48
	s_cbranch_vccnz .LBB22_64
; %bb.62:                               ;   in Loop: Header=BB22_31 Depth=3
	v_mov_b32_e32 v8, v25
	s_mov_b32 s45, 0
	.p2align	6
.LBB22_63:                              ;   Parent Loop BB22_16 Depth=1
                                        ;     Parent Loop BB22_26 Depth=2
                                        ;       Parent Loop BB22_31 Depth=3
                                        ; =>      This Inner Loop Header: Depth=4
	s_delay_alu instid0(VALU_DEP_1) | instskip(SKIP_2) | instid1(SALU_CYCLE_1)
	v_ashrrev_i32_e32 v9, 31, v8
	v_add_nc_u32_e32 v3, s45, v29
	s_add_i32 s45, s45, 1
	s_cmp_eq_u32 s30, s45
	s_delay_alu instid0(VALU_DEP_2) | instskip(NEXT) | instid1(VALU_DEP_2)
	v_lshlrev_b64 v[36:37], 2, v[8:9]
	v_lshlrev_b64 v[38:39], 2, v[3:4]
	s_delay_alu instid0(VALU_DEP_2) | instskip(NEXT) | instid1(VALU_DEP_3)
	v_add_co_u32 v36, vcc_lo, s18, v36
	v_add_co_ci_u32_e32 v37, vcc_lo, s19, v37, vcc_lo
	s_delay_alu instid0(VALU_DEP_3) | instskip(NEXT) | instid1(VALU_DEP_4)
	v_add_co_u32 v38, vcc_lo, s40, v38
	v_add_co_ci_u32_e32 v39, vcc_lo, s41, v39, vcc_lo
	global_load_b32 v3, v[36:37], off
	global_load_b32 v9, v[38:39], off
	s_waitcnt vmcnt(0)
	v_dual_fmac_f32 v35, v3, v9 :: v_dual_add_nc_u32 v8, s30, v8
	s_cbranch_scc0 .LBB22_63
.LBB22_64:                              ;   in Loop: Header=BB22_31 Depth=3
	s_cbranch_execz .LBB22_66
	s_branch .LBB22_69
.LBB22_65:                              ;   in Loop: Header=BB22_31 Depth=3
                                        ; implicit-def: $vgpr35
.LBB22_66:                              ;   in Loop: Header=BB22_31 Depth=3
	v_mov_b32_e32 v35, 0
	s_and_not1_b32 vcc_lo, exec_lo, s48
	s_cbranch_vccnz .LBB22_69
; %bb.67:                               ;   in Loop: Header=BB22_31 Depth=3
	v_dual_mov_b32 v9, v7 :: v_dual_mov_b32 v8, v6
	v_mov_b32_e32 v3, v32
	s_mov_b32 s45, s30
	.p2align	6
.LBB22_68:                              ;   Parent Loop BB22_16 Depth=1
                                        ;     Parent Loop BB22_26 Depth=2
                                        ;       Parent Loop BB22_31 Depth=3
                                        ; =>      This Inner Loop Header: Depth=4
	s_delay_alu instid0(VALU_DEP_1) | instskip(SKIP_2) | instid1(SALU_CYCLE_1)
	v_lshlrev_b64 v[36:37], 2, v[3:4]
	v_add_nc_u32_e32 v3, s30, v3
	s_add_i32 s45, s45, -1
	s_cmp_eq_u32 s45, 0
	s_delay_alu instid0(VALU_DEP_2) | instskip(NEXT) | instid1(VALU_DEP_3)
	v_add_co_u32 v36, vcc_lo, s40, v36
	v_add_co_ci_u32_e32 v37, vcc_lo, s41, v37, vcc_lo
	global_load_b32 v38, v[8:9], off
	global_load_b32 v36, v[36:37], off
	v_add_co_u32 v8, vcc_lo, v8, 4
	v_add_co_ci_u32_e32 v9, vcc_lo, 0, v9, vcc_lo
	s_waitcnt vmcnt(0)
	v_fmac_f32_e32 v35, v38, v36
	s_cbranch_scc0 .LBB22_68
.LBB22_69:                              ;   in Loop: Header=BB22_31 Depth=3
	v_add_lshl_u32 v3, v34, v12, 2
	ds_load_b32 v8, v3 offset:64
	s_waitcnt lgkmcnt(0)
	v_fmac_f32_e32 v8, v10, v35
	ds_store_b32 v3, v8 offset:64
	s_or_b32 exec_lo, exec_lo, s4
	s_and_saveexec_b32 s45, s52
	s_cbranch_execz .LBB22_80
.LBB22_70:                              ;   in Loop: Header=BB22_31 Depth=3
	v_cmp_ne_u32_e64 s4, 1, v23
	s_and_not1_b32 vcc_lo, exec_lo, s28
	s_cbranch_vccnz .LBB22_75
; %bb.71:                               ;   in Loop: Header=BB22_31 Depth=3
	v_mov_b32_e32 v35, 0
	s_delay_alu instid0(VALU_DEP_2)
	s_and_b32 vcc_lo, exec_lo, s4
	s_cbranch_vccnz .LBB22_74
; %bb.72:                               ;   in Loop: Header=BB22_31 Depth=3
	v_mov_b32_e32 v8, v25
	s_mov_b32 s4, 0
	.p2align	6
.LBB22_73:                              ;   Parent Loop BB22_16 Depth=1
                                        ;     Parent Loop BB22_26 Depth=2
                                        ;       Parent Loop BB22_31 Depth=3
                                        ; =>      This Inner Loop Header: Depth=4
	s_delay_alu instid0(VALU_DEP_1) | instskip(SKIP_2) | instid1(SALU_CYCLE_1)
	v_ashrrev_i32_e32 v9, 31, v8
	v_add_nc_u32_e32 v3, s4, v30
	s_add_i32 s4, s4, 1
	s_cmp_eq_u32 s30, s4
	s_delay_alu instid0(VALU_DEP_2) | instskip(NEXT) | instid1(VALU_DEP_2)
	v_lshlrev_b64 v[36:37], 2, v[8:9]
	v_lshlrev_b64 v[38:39], 2, v[3:4]
	s_delay_alu instid0(VALU_DEP_2) | instskip(NEXT) | instid1(VALU_DEP_3)
	v_add_co_u32 v36, vcc_lo, s18, v36
	v_add_co_ci_u32_e32 v37, vcc_lo, s19, v37, vcc_lo
	s_delay_alu instid0(VALU_DEP_3) | instskip(NEXT) | instid1(VALU_DEP_4)
	v_add_co_u32 v38, vcc_lo, s40, v38
	v_add_co_ci_u32_e32 v39, vcc_lo, s41, v39, vcc_lo
	global_load_b32 v3, v[36:37], off
	global_load_b32 v9, v[38:39], off
	s_waitcnt vmcnt(0)
	v_dual_fmac_f32 v35, v3, v9 :: v_dual_add_nc_u32 v8, s30, v8
	s_cbranch_scc0 .LBB22_73
.LBB22_74:                              ;   in Loop: Header=BB22_31 Depth=3
	s_cbranch_execz .LBB22_76
	s_branch .LBB22_79
.LBB22_75:                              ;   in Loop: Header=BB22_31 Depth=3
                                        ; implicit-def: $vgpr35
.LBB22_76:                              ;   in Loop: Header=BB22_31 Depth=3
	v_mov_b32_e32 v35, 0
	s_and_not1_b32 vcc_lo, exec_lo, s48
	s_cbranch_vccnz .LBB22_79
; %bb.77:                               ;   in Loop: Header=BB22_31 Depth=3
	v_dual_mov_b32 v9, v7 :: v_dual_mov_b32 v8, v6
	v_mov_b32_e32 v3, v33
	s_mov_b32 s4, s30
	.p2align	6
.LBB22_78:                              ;   Parent Loop BB22_16 Depth=1
                                        ;     Parent Loop BB22_26 Depth=2
                                        ;       Parent Loop BB22_31 Depth=3
                                        ; =>      This Inner Loop Header: Depth=4
	s_delay_alu instid0(VALU_DEP_1) | instskip(SKIP_2) | instid1(SALU_CYCLE_1)
	v_lshlrev_b64 v[36:37], 2, v[3:4]
	v_add_nc_u32_e32 v3, s30, v3
	s_add_i32 s4, s4, -1
	s_cmp_eq_u32 s4, 0
	s_delay_alu instid0(VALU_DEP_2) | instskip(NEXT) | instid1(VALU_DEP_3)
	v_add_co_u32 v36, vcc_lo, s40, v36
	v_add_co_ci_u32_e32 v37, vcc_lo, s41, v37, vcc_lo
	global_load_b32 v38, v[8:9], off
	global_load_b32 v36, v[36:37], off
	v_add_co_u32 v8, vcc_lo, v8, 4
	v_add_co_ci_u32_e32 v9, vcc_lo, 0, v9, vcc_lo
	s_waitcnt vmcnt(0)
	v_fmac_f32_e32 v35, v38, v36
	s_cbranch_scc0 .LBB22_78
.LBB22_79:                              ;   in Loop: Header=BB22_31 Depth=3
	v_add_lshl_u32 v3, v34, v12, 2
	ds_load_b32 v8, v3 offset:96
	s_waitcnt lgkmcnt(0)
	v_fmac_f32_e32 v8, v10, v35
	ds_store_b32 v3, v8 offset:96
.LBB22_80:                              ;   in Loop: Header=BB22_31 Depth=3
	s_or_b32 exec_lo, exec_lo, s45
	s_mov_b32 s60, -1
	s_mov_b32 s4, s7
	s_mov_b32 s45, s59
	s_waitcnt lgkmcnt(0)
	s_waitcnt_vscnt null, 0x0
	s_barrier
	buffer_gl0_inv
.LBB22_81:                              ;   in Loop: Header=BB22_31 Depth=3
	s_add_i32 s44, s44, 1
	v_add_nc_u32_e32 v26, s31, v26
	s_cmp_lt_i32 s44, s5
	v_add_nc_u32_e32 v27, s31, v27
	s_cselect_b32 s7, -1, 0
	v_add_nc_u32_e32 v28, s31, v28
	v_add_nc_u32_e32 v31, s31, v31
	;; [unrolled: 1-line block ×6, first 2 shown]
	s_and_b32 s7, s60, s7
	s_delay_alu instid0(SALU_CYCLE_1)
	s_and_b32 vcc_lo, exec_lo, s7
	s_cbranch_vccz .LBB22_84
; %bb.82:                               ;   in Loop: Header=BB22_31 Depth=3
	s_mov_b32 s7, s4
	s_mov_b32 s59, s45
	s_branch .LBB22_31
.LBB22_83:                              ;   in Loop: Header=BB22_26 Depth=2
	s_mov_b32 s4, s44
	s_mov_b32 s45, s59
.LBB22_84:                              ;   in Loop: Header=BB22_26 Depth=2
	s_add_u32 s42, s34, s42
	v_mov_b32_e32 v3, s4
	v_add_nc_u32_e32 v25, s31, v25
	v_add_nc_u32_e32 v5, s31, v5
	s_addc_u32 s43, s35, s43
	s_add_i32 s6, s6, 1
	global_store_b32 v4, v3, s[42:43]
	s_cmp_lt_i32 s6, s46
	s_cbranch_scc0 .LBB22_87
; %bb.85:                               ;   in Loop: Header=BB22_26 Depth=2
	s_mov_b32 s59, s45
	s_branch .LBB22_26
.LBB22_86:                              ;   in Loop: Header=BB22_26 Depth=2
                                        ; implicit-def: $sgpr44
	s_branch .LBB22_28
.LBB22_87:                              ;   in Loop: Header=BB22_16 Depth=1
	s_and_not1_b32 vcc_lo, exec_lo, s33
	s_cbranch_vccnz .LBB22_119
; %bb.88:                               ;   in Loop: Header=BB22_16 Depth=1
	s_load_b64 s[6:7], s[8:9], 0x0
	s_waitcnt lgkmcnt(0)
	s_cmp_ge_i32 s6, s7
	s_cbranch_scc1 .LBB22_119
; %bb.89:                               ;   in Loop: Header=BB22_16 Depth=1
	s_sub_i32 s4, s6, s27
	s_sub_i32 s15, s7, s27
	s_mul_i32 s5, s30, s4
	v_mov_b32_e32 v9, v1
	v_add_nc_u32_e32 v3, s5, v12
	v_add_nc_u32_e32 v6, s5, v15
	;; [unrolled: 1-line block ×4, first 2 shown]
	s_ashr_i32 s5, s4, 31
	v_mul_lo_u32 v5, s30, v3
	v_mul_lo_u32 v6, s30, v6
	;; [unrolled: 1-line block ×4, first 2 shown]
	s_lshl_b64 s[42:43], s[4:5], 2
	s_add_i32 s5, s56, s6
	s_add_u32 s6, s10, s42
	s_addc_u32 s7, s11, s43
	s_branch .LBB22_93
.LBB22_90:                              ;   in Loop: Header=BB22_93 Depth=2
	s_delay_alu instid0(VALU_DEP_1) | instskip(SKIP_1) | instid1(VALU_DEP_2)
	v_lshlrev_b64 v[26:27], 2, v[3:4]
	v_add_lshl_u32 v25, v25, v12, 2
	v_add_co_u32 v26, vcc_lo, s12, v26
	s_delay_alu instid0(VALU_DEP_3)
	v_add_co_ci_u32_e32 v27, vcc_lo, s13, v27, vcc_lo
	global_load_b32 v3, v[26:27], off
	ds_load_b32 v26, v25 offset:96
	s_waitcnt vmcnt(0) lgkmcnt(0)
	v_fmac_f32_e32 v26, v11, v3
	ds_store_b32 v25, v26 offset:96
.LBB22_91:                              ;   in Loop: Header=BB22_93 Depth=2
	s_or_b32 exec_lo, exec_lo, s42
	s_mov_b32 s43, -1
	s_mov_b32 s42, s45
	s_waitcnt lgkmcnt(0)
	s_waitcnt_vscnt null, 0x0
	s_barrier
	buffer_gl0_inv
.LBB22_92:                              ;   in Loop: Header=BB22_93 Depth=2
	s_add_i32 s4, s4, 1
	s_cmp_lt_i32 s5, s15
	v_add_nc_u32_e32 v9, s31, v9
	s_cselect_b32 s44, -1, 0
	s_add_i32 s5, s5, 1
	s_and_b32 s43, s43, s44
	s_add_u32 s6, s6, 4
	s_addc_u32 s7, s7, 0
	s_mov_b32 s45, s42
	s_and_b32 vcc_lo, exec_lo, s43
	s_cbranch_vccz .LBB22_119
.LBB22_93:                              ;   Parent Loop BB22_16 Depth=1
                                        ; =>  This Inner Loop Header: Depth=2
	s_load_b32 s42, s[6:7], 0x0
	s_waitcnt lgkmcnt(0)
	s_sub_i32 s44, s42, s27
	s_delay_alu instid0(SALU_CYCLE_1)
	s_cmp_lt_i32 s44, s57
	s_cselect_b32 s42, -1, 0
	s_cmp_lt_i32 s44, s58
	s_cselect_b32 s43, -1, 0
	s_cmp_ge_i32 s44, s58
	s_cselect_b32 s59, -1, 0
	s_delay_alu instid0(SALU_CYCLE_1)
	s_or_b32 s42, s42, s59
	s_mov_b32 s59, -1
	s_and_b32 vcc_lo, exec_lo, s42
                                        ; implicit-def: $sgpr42
	s_cbranch_vccz .LBB22_95
; %bb.94:                               ;   in Loop: Header=BB22_93 Depth=2
	s_min_i32 s42, s44, s45
	s_and_b32 s59, s43, exec_lo
	s_cselect_b32 s42, s45, s42
	s_mov_b32 s59, 0
.LBB22_95:                              ;   in Loop: Header=BB22_93 Depth=2
	s_delay_alu instid0(SALU_CYCLE_1)
	s_and_not1_b32 vcc_lo, exec_lo, s59
	s_cbranch_vccnz .LBB22_92
; %bb.96:                               ;   in Loop: Header=BB22_93 Depth=2
	v_mad_u64_u32 v[25:26], null, s4, s30, v[1:2]
	s_sub_i32 s42, s44, s57
	s_delay_alu instid0(SALU_CYCLE_1) | instskip(NEXT) | instid1(VALU_DEP_2)
	v_mov_b32_e32 v3, s42
	v_mul_lo_u32 v26, v25, s30
	v_lshl_or_b32 v25, s42, 10, v14
	ds_store_b8 v3, v24 offset:8192
	s_and_saveexec_b32 s42, s49
	s_cbranch_execnz .LBB22_100
; %bb.97:                               ;   in Loop: Header=BB22_93 Depth=2
	s_or_b32 exec_lo, exec_lo, s42
	s_and_saveexec_b32 s42, s50
	s_cbranch_execnz .LBB22_104
.LBB22_98:                              ;   in Loop: Header=BB22_93 Depth=2
	s_or_b32 exec_lo, exec_lo, s42
	s_and_saveexec_b32 s42, s51
	s_cbranch_execnz .LBB22_108
.LBB22_99:                              ;   in Loop: Header=BB22_93 Depth=2
	s_or_b32 exec_lo, exec_lo, s42
	s_and_saveexec_b32 s42, s52
	s_cbranch_execz .LBB22_91
	s_branch .LBB22_112
.LBB22_100:                             ;   in Loop: Header=BB22_93 Depth=2
	s_and_b32 vcc_lo, exec_lo, s28
	s_cbranch_vccz .LBB22_114
; %bb.101:                              ;   in Loop: Header=BB22_93 Depth=2
	v_add_nc_u32_e32 v3, v5, v9
	s_cbranch_execnz .LBB22_103
.LBB22_102:                             ;   in Loop: Header=BB22_93 Depth=2
	v_add_nc_u32_e32 v3, v26, v12
.LBB22_103:                             ;   in Loop: Header=BB22_93 Depth=2
	s_delay_alu instid0(VALU_DEP_1) | instskip(NEXT) | instid1(VALU_DEP_1)
	v_lshlrev_b64 v[27:28], 2, v[3:4]
	v_add_co_u32 v27, vcc_lo, s12, v27
	s_delay_alu instid0(VALU_DEP_2) | instskip(SKIP_2) | instid1(VALU_DEP_1)
	v_add_co_ci_u32_e32 v28, vcc_lo, s13, v28, vcc_lo
	global_load_b32 v3, v[27:28], off
	v_or_b32_e32 v27, v25, v12
	v_lshlrev_b32_e32 v27, 2, v27
	ds_load_b32 v28, v27
	s_waitcnt vmcnt(0) lgkmcnt(0)
	v_fmac_f32_e32 v28, v11, v3
	ds_store_b32 v27, v28
	s_or_b32 exec_lo, exec_lo, s42
	s_and_saveexec_b32 s42, s50
	s_cbranch_execz .LBB22_98
.LBB22_104:                             ;   in Loop: Header=BB22_93 Depth=2
	s_and_not1_b32 vcc_lo, exec_lo, s28
	s_cbranch_vccnz .LBB22_115
; %bb.105:                              ;   in Loop: Header=BB22_93 Depth=2
	v_add_nc_u32_e32 v3, v6, v9
	s_cbranch_execnz .LBB22_107
.LBB22_106:                             ;   in Loop: Header=BB22_93 Depth=2
	v_add_nc_u32_e32 v3, v26, v15
.LBB22_107:                             ;   in Loop: Header=BB22_93 Depth=2
	s_delay_alu instid0(VALU_DEP_1) | instskip(NEXT) | instid1(VALU_DEP_1)
	v_lshlrev_b64 v[27:28], 2, v[3:4]
	v_add_co_u32 v27, vcc_lo, s12, v27
	s_delay_alu instid0(VALU_DEP_2)
	v_add_co_ci_u32_e32 v28, vcc_lo, s13, v28, vcc_lo
	global_load_b32 v3, v[27:28], off
	v_add_lshl_u32 v27, v25, v12, 2
	ds_load_b32 v28, v27 offset:32
	s_waitcnt vmcnt(0) lgkmcnt(0)
	v_fmac_f32_e32 v28, v11, v3
	ds_store_b32 v27, v28 offset:32
	s_or_b32 exec_lo, exec_lo, s42
	s_and_saveexec_b32 s42, s51
	s_cbranch_execz .LBB22_99
.LBB22_108:                             ;   in Loop: Header=BB22_93 Depth=2
	s_and_not1_b32 vcc_lo, exec_lo, s28
	s_cbranch_vccnz .LBB22_116
; %bb.109:                              ;   in Loop: Header=BB22_93 Depth=2
	v_add_nc_u32_e32 v3, v7, v9
	s_cbranch_execnz .LBB22_111
.LBB22_110:                             ;   in Loop: Header=BB22_93 Depth=2
	v_add_nc_u32_e32 v3, v26, v16
.LBB22_111:                             ;   in Loop: Header=BB22_93 Depth=2
	s_delay_alu instid0(VALU_DEP_1) | instskip(NEXT) | instid1(VALU_DEP_1)
	v_lshlrev_b64 v[27:28], 2, v[3:4]
	v_add_co_u32 v27, vcc_lo, s12, v27
	s_delay_alu instid0(VALU_DEP_2)
	v_add_co_ci_u32_e32 v28, vcc_lo, s13, v28, vcc_lo
	global_load_b32 v3, v[27:28], off
	v_add_lshl_u32 v27, v25, v12, 2
	ds_load_b32 v28, v27 offset:64
	s_waitcnt vmcnt(0) lgkmcnt(0)
	v_fmac_f32_e32 v28, v11, v3
	ds_store_b32 v27, v28 offset:64
	s_or_b32 exec_lo, exec_lo, s42
	s_and_saveexec_b32 s42, s52
	s_cbranch_execz .LBB22_91
.LBB22_112:                             ;   in Loop: Header=BB22_93 Depth=2
	s_and_not1_b32 vcc_lo, exec_lo, s28
	s_cbranch_vccnz .LBB22_117
; %bb.113:                              ;   in Loop: Header=BB22_93 Depth=2
	v_add_nc_u32_e32 v3, v8, v9
	s_cbranch_execnz .LBB22_90
	s_branch .LBB22_118
.LBB22_114:                             ;   in Loop: Header=BB22_93 Depth=2
	s_branch .LBB22_102
.LBB22_115:                             ;   in Loop: Header=BB22_93 Depth=2
	s_branch .LBB22_106
.LBB22_116:                             ;   in Loop: Header=BB22_93 Depth=2
	s_branch .LBB22_110
.LBB22_117:                             ;   in Loop: Header=BB22_93 Depth=2
.LBB22_118:                             ;   in Loop: Header=BB22_93 Depth=2
	v_add_nc_u32_e32 v3, v26, v17
	s_branch .LBB22_90
.LBB22_119:                             ;   in Loop: Header=BB22_16 Depth=1
	s_waitcnt_vscnt null, 0x0
	s_barrier
	buffer_gl0_inv
	ds_load_u8 v3, v4 offset:8192
	s_add_i32 s5, s57, s26
	s_mov_b32 s4, 0
	s_waitcnt lgkmcnt(0)
	v_cmp_eq_u32_e32 vcc_lo, 0, v3
	s_cbranch_vccnz .LBB22_141
; %bb.120:                              ;   in Loop: Header=BB22_16 Depth=1
	s_mul_i32 s4, s14, s30
	s_ashr_i32 s15, s14, 31
	v_add_nc_u32_e32 v3, s4, v1
	s_lshl_b64 s[6:7], s[14:15], 2
	s_delay_alu instid0(SALU_CYCLE_1) | instskip(SKIP_1) | instid1(VALU_DEP_1)
	s_add_u32 s6, s36, s6
	s_addc_u32 s7, s37, s7
	v_mul_lo_u32 v5, v3, s30
	v_mov_b32_e32 v3, s5
	global_store_b32 v4, v3, s[6:7]
	s_and_saveexec_b32 s6, s49
	s_cbranch_execnz .LBB22_124
; %bb.121:                              ;   in Loop: Header=BB22_16 Depth=1
	s_or_b32 exec_lo, exec_lo, s6
	s_and_saveexec_b32 s6, s50
	s_cbranch_execnz .LBB22_128
.LBB22_122:                             ;   in Loop: Header=BB22_16 Depth=1
	s_or_b32 exec_lo, exec_lo, s6
	s_and_saveexec_b32 s6, s51
	s_cbranch_execnz .LBB22_132
.LBB22_123:                             ;   in Loop: Header=BB22_16 Depth=1
	s_or_b32 exec_lo, exec_lo, s6
	s_and_saveexec_b32 s6, s52
	s_cbranch_execnz .LBB22_136
	s_branch .LBB22_140
.LBB22_124:                             ;   in Loop: Header=BB22_16 Depth=1
	s_and_b32 vcc_lo, exec_lo, s28
	s_cbranch_vccz .LBB22_160
; %bb.125:                              ;   in Loop: Header=BB22_16 Depth=1
	v_add_nc_u32_e32 v3, s4, v12
	s_delay_alu instid0(VALU_DEP_1) | instskip(NEXT) | instid1(VALU_DEP_1)
	v_mad_u64_u32 v[6:7], null, v3, s30, v[1:2]
	v_mov_b32_e32 v3, v6
	s_cbranch_execnz .LBB22_127
.LBB22_126:                             ;   in Loop: Header=BB22_16 Depth=1
	v_add_nc_u32_e32 v3, v5, v12
.LBB22_127:                             ;   in Loop: Header=BB22_16 Depth=1
	ds_load_b32 v8, v18
	v_lshlrev_b64 v[6:7], 2, v[3:4]
	s_delay_alu instid0(VALU_DEP_1) | instskip(NEXT) | instid1(VALU_DEP_2)
	v_add_co_u32 v6, vcc_lo, s38, v6
	v_add_co_ci_u32_e32 v7, vcc_lo, s39, v7, vcc_lo
	s_waitcnt lgkmcnt(0)
	global_store_b32 v[6:7], v8, off
	s_or_b32 exec_lo, exec_lo, s6
	s_and_saveexec_b32 s6, s50
	s_cbranch_execz .LBB22_122
.LBB22_128:                             ;   in Loop: Header=BB22_16 Depth=1
	s_and_not1_b32 vcc_lo, exec_lo, s28
	s_cbranch_vccnz .LBB22_161
; %bb.129:                              ;   in Loop: Header=BB22_16 Depth=1
	v_add_nc_u32_e32 v3, s4, v15
	s_delay_alu instid0(VALU_DEP_1) | instskip(NEXT) | instid1(VALU_DEP_1)
	v_mad_u64_u32 v[6:7], null, v3, s30, v[1:2]
	v_mov_b32_e32 v3, v6
	s_cbranch_execnz .LBB22_131
.LBB22_130:                             ;   in Loop: Header=BB22_16 Depth=1
	v_add_nc_u32_e32 v3, v5, v15
.LBB22_131:                             ;   in Loop: Header=BB22_16 Depth=1
	ds_load_b32 v8, v18 offset:32
	v_lshlrev_b64 v[6:7], 2, v[3:4]
	s_delay_alu instid0(VALU_DEP_1) | instskip(NEXT) | instid1(VALU_DEP_2)
	v_add_co_u32 v6, vcc_lo, s38, v6
	v_add_co_ci_u32_e32 v7, vcc_lo, s39, v7, vcc_lo
	s_waitcnt lgkmcnt(0)
	global_store_b32 v[6:7], v8, off
	s_or_b32 exec_lo, exec_lo, s6
	s_and_saveexec_b32 s6, s51
	s_cbranch_execz .LBB22_123
.LBB22_132:                             ;   in Loop: Header=BB22_16 Depth=1
	s_and_not1_b32 vcc_lo, exec_lo, s28
	s_cbranch_vccnz .LBB22_162
; %bb.133:                              ;   in Loop: Header=BB22_16 Depth=1
	v_add_nc_u32_e32 v3, s4, v16
	s_delay_alu instid0(VALU_DEP_1) | instskip(NEXT) | instid1(VALU_DEP_1)
	v_mad_u64_u32 v[6:7], null, v3, s30, v[1:2]
	v_mov_b32_e32 v3, v6
	s_cbranch_execnz .LBB22_135
.LBB22_134:                             ;   in Loop: Header=BB22_16 Depth=1
	v_add_nc_u32_e32 v3, v5, v16
.LBB22_135:                             ;   in Loop: Header=BB22_16 Depth=1
	ds_load_b32 v8, v18 offset:64
	v_lshlrev_b64 v[6:7], 2, v[3:4]
	s_delay_alu instid0(VALU_DEP_1) | instskip(NEXT) | instid1(VALU_DEP_2)
	v_add_co_u32 v6, vcc_lo, s38, v6
	v_add_co_ci_u32_e32 v7, vcc_lo, s39, v7, vcc_lo
	s_waitcnt lgkmcnt(0)
	global_store_b32 v[6:7], v8, off
	s_or_b32 exec_lo, exec_lo, s6
	s_and_saveexec_b32 s6, s52
	s_cbranch_execz .LBB22_140
.LBB22_136:                             ;   in Loop: Header=BB22_16 Depth=1
	s_and_not1_b32 vcc_lo, exec_lo, s28
	s_cbranch_vccnz .LBB22_163
; %bb.137:                              ;   in Loop: Header=BB22_16 Depth=1
	v_add_nc_u32_e32 v3, s4, v17
	s_delay_alu instid0(VALU_DEP_1) | instskip(NEXT) | instid1(VALU_DEP_1)
	v_mad_u64_u32 v[6:7], null, v3, s30, v[1:2]
	v_mov_b32_e32 v3, v6
	s_cbranch_execnz .LBB22_139
.LBB22_138:                             ;   in Loop: Header=BB22_16 Depth=1
	v_add_nc_u32_e32 v3, v5, v17
.LBB22_139:                             ;   in Loop: Header=BB22_16 Depth=1
	ds_load_b32 v7, v18 offset:96
	v_lshlrev_b64 v[5:6], 2, v[3:4]
	s_delay_alu instid0(VALU_DEP_1) | instskip(NEXT) | instid1(VALU_DEP_2)
	v_add_co_u32 v5, vcc_lo, s38, v5
	v_add_co_ci_u32_e32 v6, vcc_lo, s39, v6, vcc_lo
	s_waitcnt lgkmcnt(0)
	global_store_b32 v[5:6], v7, off
.LBB22_140:                             ;   in Loop: Header=BB22_16 Depth=1
	s_or_b32 exec_lo, exec_lo, s6
	s_mov_b32 s4, 1
.LBB22_141:                             ;   in Loop: Header=BB22_16 Depth=1
	ds_load_u8 v3, v4 offset:8193
	s_waitcnt lgkmcnt(0)
	v_cmp_eq_u32_e32 vcc_lo, 0, v3
	s_cbranch_vccnz .LBB22_15
; %bb.142:                              ;   in Loop: Header=BB22_16 Depth=1
	s_add_i32 s42, s4, s14
	s_add_i32 s5, s5, 1
	s_mul_i32 s6, s42, s30
	s_ashr_i32 s43, s42, 31
	v_add_nc_u32_e32 v3, s6, v1
	s_lshl_b64 s[42:43], s[42:43], 2
	s_delay_alu instid0(SALU_CYCLE_1) | instskip(SKIP_1) | instid1(VALU_DEP_1)
	s_add_u32 s42, s36, s42
	s_addc_u32 s43, s37, s43
	v_mul_lo_u32 v5, v3, s30
	v_mov_b32_e32 v3, s5
	global_store_b32 v4, v3, s[42:43]
	s_and_saveexec_b32 s5, s49
	s_cbranch_execnz .LBB22_146
; %bb.143:                              ;   in Loop: Header=BB22_16 Depth=1
	s_or_b32 exec_lo, exec_lo, s5
	s_and_saveexec_b32 s5, s50
	s_cbranch_execnz .LBB22_150
.LBB22_144:                             ;   in Loop: Header=BB22_16 Depth=1
	s_or_b32 exec_lo, exec_lo, s5
	s_and_saveexec_b32 s5, s51
	s_cbranch_execnz .LBB22_154
.LBB22_145:                             ;   in Loop: Header=BB22_16 Depth=1
	s_or_b32 exec_lo, exec_lo, s5
	s_and_saveexec_b32 s5, s52
	s_cbranch_execz .LBB22_14
	s_branch .LBB22_158
.LBB22_146:                             ;   in Loop: Header=BB22_16 Depth=1
	s_and_not1_b32 vcc_lo, exec_lo, s28
	s_cbranch_vccnz .LBB22_164
; %bb.147:                              ;   in Loop: Header=BB22_16 Depth=1
	v_add_nc_u32_e32 v3, s6, v12
	s_delay_alu instid0(VALU_DEP_1) | instskip(NEXT) | instid1(VALU_DEP_1)
	v_mad_u64_u32 v[6:7], null, v3, s30, v[1:2]
	v_mov_b32_e32 v3, v6
	s_cbranch_execnz .LBB22_149
.LBB22_148:                             ;   in Loop: Header=BB22_16 Depth=1
	v_add_nc_u32_e32 v3, v5, v12
.LBB22_149:                             ;   in Loop: Header=BB22_16 Depth=1
	ds_load_b32 v8, v18 offset:4096
	v_lshlrev_b64 v[6:7], 2, v[3:4]
	s_delay_alu instid0(VALU_DEP_1) | instskip(NEXT) | instid1(VALU_DEP_2)
	v_add_co_u32 v6, vcc_lo, s38, v6
	v_add_co_ci_u32_e32 v7, vcc_lo, s39, v7, vcc_lo
	s_waitcnt lgkmcnt(0)
	global_store_b32 v[6:7], v8, off
	s_or_b32 exec_lo, exec_lo, s5
	s_and_saveexec_b32 s5, s50
	s_cbranch_execz .LBB22_144
.LBB22_150:                             ;   in Loop: Header=BB22_16 Depth=1
	s_and_not1_b32 vcc_lo, exec_lo, s28
	s_cbranch_vccnz .LBB22_165
; %bb.151:                              ;   in Loop: Header=BB22_16 Depth=1
	v_add_nc_u32_e32 v3, s6, v15
	s_delay_alu instid0(VALU_DEP_1) | instskip(NEXT) | instid1(VALU_DEP_1)
	v_mad_u64_u32 v[6:7], null, v3, s30, v[1:2]
	v_mov_b32_e32 v3, v6
	s_cbranch_execnz .LBB22_153
.LBB22_152:                             ;   in Loop: Header=BB22_16 Depth=1
	v_add_nc_u32_e32 v3, v5, v15
.LBB22_153:                             ;   in Loop: Header=BB22_16 Depth=1
	ds_load_b32 v8, v19 offset:4096
	v_lshlrev_b64 v[6:7], 2, v[3:4]
	s_delay_alu instid0(VALU_DEP_1) | instskip(NEXT) | instid1(VALU_DEP_2)
	v_add_co_u32 v6, vcc_lo, s38, v6
	v_add_co_ci_u32_e32 v7, vcc_lo, s39, v7, vcc_lo
	s_waitcnt lgkmcnt(0)
	global_store_b32 v[6:7], v8, off
	s_or_b32 exec_lo, exec_lo, s5
	s_and_saveexec_b32 s5, s51
	s_cbranch_execz .LBB22_145
.LBB22_154:                             ;   in Loop: Header=BB22_16 Depth=1
	s_and_not1_b32 vcc_lo, exec_lo, s28
	s_cbranch_vccnz .LBB22_166
; %bb.155:                              ;   in Loop: Header=BB22_16 Depth=1
	v_add_nc_u32_e32 v3, s6, v16
	s_delay_alu instid0(VALU_DEP_1) | instskip(NEXT) | instid1(VALU_DEP_1)
	v_mad_u64_u32 v[6:7], null, v3, s30, v[1:2]
	v_mov_b32_e32 v3, v6
	s_cbranch_execnz .LBB22_157
.LBB22_156:                             ;   in Loop: Header=BB22_16 Depth=1
	v_add_nc_u32_e32 v3, v5, v16
.LBB22_157:                             ;   in Loop: Header=BB22_16 Depth=1
	ds_load_b32 v8, v20 offset:4096
	v_lshlrev_b64 v[6:7], 2, v[3:4]
	s_delay_alu instid0(VALU_DEP_1) | instskip(NEXT) | instid1(VALU_DEP_2)
	v_add_co_u32 v6, vcc_lo, s38, v6
	v_add_co_ci_u32_e32 v7, vcc_lo, s39, v7, vcc_lo
	s_waitcnt lgkmcnt(0)
	global_store_b32 v[6:7], v8, off
	s_or_b32 exec_lo, exec_lo, s5
	s_and_saveexec_b32 s5, s52
	s_cbranch_execz .LBB22_14
.LBB22_158:                             ;   in Loop: Header=BB22_16 Depth=1
	s_and_not1_b32 vcc_lo, exec_lo, s28
	s_cbranch_vccnz .LBB22_167
; %bb.159:                              ;   in Loop: Header=BB22_16 Depth=1
	v_add_nc_u32_e32 v3, s6, v17
	s_delay_alu instid0(VALU_DEP_1) | instskip(NEXT) | instid1(VALU_DEP_1)
	v_mad_u64_u32 v[6:7], null, v3, s30, v[1:2]
	v_mov_b32_e32 v3, v6
	s_cbranch_execnz .LBB22_13
	s_branch .LBB22_168
.LBB22_160:                             ;   in Loop: Header=BB22_16 Depth=1
	s_branch .LBB22_126
.LBB22_161:                             ;   in Loop: Header=BB22_16 Depth=1
	s_branch .LBB22_130
.LBB22_162:                             ;   in Loop: Header=BB22_16 Depth=1
	s_branch .LBB22_134
.LBB22_163:                             ;   in Loop: Header=BB22_16 Depth=1
	s_branch .LBB22_138
.LBB22_164:                             ;   in Loop: Header=BB22_16 Depth=1
	s_branch .LBB22_148
.LBB22_165:                             ;   in Loop: Header=BB22_16 Depth=1
	s_branch .LBB22_152
.LBB22_166:                             ;   in Loop: Header=BB22_16 Depth=1
	s_branch .LBB22_156
.LBB22_167:                             ;   in Loop: Header=BB22_16 Depth=1
.LBB22_168:                             ;   in Loop: Header=BB22_16 Depth=1
	v_add_nc_u32_e32 v3, v5, v17
	s_branch .LBB22_13
.LBB22_169:
	s_endpgm
	.section	.rodata,"a",@progbits
	.p2align	6, 0x0
	.amdhsa_kernel _ZN9rocsparseL31bsrgemm_block_per_row_multipassILj256ELj2ELj32EiifEEv20rocsparse_direction_T3_S2_PKS2_S4_NS_24const_host_device_scalarIT4_EEPKT2_S4_PKS6_SA_S4_SC_S7_SA_S4_SC_SA_PS2_PS6_PS8_21rocsparse_index_base_SG_SG_SG_bbb
		.amdhsa_group_segment_fixed_size 8196
		.amdhsa_private_segment_fixed_size 0
		.amdhsa_kernarg_size 172
		.amdhsa_user_sgpr_count 15
		.amdhsa_user_sgpr_dispatch_ptr 0
		.amdhsa_user_sgpr_queue_ptr 0
		.amdhsa_user_sgpr_kernarg_segment_ptr 1
		.amdhsa_user_sgpr_dispatch_id 0
		.amdhsa_user_sgpr_private_segment_size 0
		.amdhsa_wavefront_size32 1
		.amdhsa_uses_dynamic_stack 0
		.amdhsa_enable_private_segment 0
		.amdhsa_system_sgpr_workgroup_id_x 1
		.amdhsa_system_sgpr_workgroup_id_y 0
		.amdhsa_system_sgpr_workgroup_id_z 0
		.amdhsa_system_sgpr_workgroup_info 0
		.amdhsa_system_vgpr_workitem_id 0
		.amdhsa_next_free_vgpr 40
		.amdhsa_next_free_sgpr 64
		.amdhsa_reserve_vcc 1
		.amdhsa_float_round_mode_32 0
		.amdhsa_float_round_mode_16_64 0
		.amdhsa_float_denorm_mode_32 3
		.amdhsa_float_denorm_mode_16_64 3
		.amdhsa_dx10_clamp 1
		.amdhsa_ieee_mode 1
		.amdhsa_fp16_overflow 0
		.amdhsa_workgroup_processor_mode 1
		.amdhsa_memory_ordered 1
		.amdhsa_forward_progress 0
		.amdhsa_shared_vgpr_count 0
		.amdhsa_exception_fp_ieee_invalid_op 0
		.amdhsa_exception_fp_denorm_src 0
		.amdhsa_exception_fp_ieee_div_zero 0
		.amdhsa_exception_fp_ieee_overflow 0
		.amdhsa_exception_fp_ieee_underflow 0
		.amdhsa_exception_fp_ieee_inexact 0
		.amdhsa_exception_int_div_zero 0
	.end_amdhsa_kernel
	.section	.text._ZN9rocsparseL31bsrgemm_block_per_row_multipassILj256ELj2ELj32EiifEEv20rocsparse_direction_T3_S2_PKS2_S4_NS_24const_host_device_scalarIT4_EEPKT2_S4_PKS6_SA_S4_SC_S7_SA_S4_SC_SA_PS2_PS6_PS8_21rocsparse_index_base_SG_SG_SG_bbb,"axG",@progbits,_ZN9rocsparseL31bsrgemm_block_per_row_multipassILj256ELj2ELj32EiifEEv20rocsparse_direction_T3_S2_PKS2_S4_NS_24const_host_device_scalarIT4_EEPKT2_S4_PKS6_SA_S4_SC_S7_SA_S4_SC_SA_PS2_PS6_PS8_21rocsparse_index_base_SG_SG_SG_bbb,comdat
.Lfunc_end22:
	.size	_ZN9rocsparseL31bsrgemm_block_per_row_multipassILj256ELj2ELj32EiifEEv20rocsparse_direction_T3_S2_PKS2_S4_NS_24const_host_device_scalarIT4_EEPKT2_S4_PKS6_SA_S4_SC_S7_SA_S4_SC_SA_PS2_PS6_PS8_21rocsparse_index_base_SG_SG_SG_bbb, .Lfunc_end22-_ZN9rocsparseL31bsrgemm_block_per_row_multipassILj256ELj2ELj32EiifEEv20rocsparse_direction_T3_S2_PKS2_S4_NS_24const_host_device_scalarIT4_EEPKT2_S4_PKS6_SA_S4_SC_S7_SA_S4_SC_SA_PS2_PS6_PS8_21rocsparse_index_base_SG_SG_SG_bbb
                                        ; -- End function
	.section	.AMDGPU.csdata,"",@progbits
; Kernel info:
; codeLenInByte = 4632
; NumSgprs: 66
; NumVgprs: 40
; ScratchSize: 0
; MemoryBound: 0
; FloatMode: 240
; IeeeMode: 1
; LDSByteSize: 8196 bytes/workgroup (compile time only)
; SGPRBlocks: 8
; VGPRBlocks: 4
; NumSGPRsForWavesPerEU: 66
; NumVGPRsForWavesPerEU: 40
; Occupancy: 16
; WaveLimiterHint : 1
; COMPUTE_PGM_RSRC2:SCRATCH_EN: 0
; COMPUTE_PGM_RSRC2:USER_SGPR: 15
; COMPUTE_PGM_RSRC2:TRAP_HANDLER: 0
; COMPUTE_PGM_RSRC2:TGID_X_EN: 1
; COMPUTE_PGM_RSRC2:TGID_Y_EN: 0
; COMPUTE_PGM_RSRC2:TGID_Z_EN: 0
; COMPUTE_PGM_RSRC2:TIDIG_COMP_CNT: 0
	.section	.text._ZN9rocsparseL26bsrgemm_group_reduce_part2ILj256ELj8ELj2EdiiEEvT4_PKT3_PS1_Pi,"axG",@progbits,_ZN9rocsparseL26bsrgemm_group_reduce_part2ILj256ELj8ELj2EdiiEEvT4_PKT3_PS1_Pi,comdat
	.globl	_ZN9rocsparseL26bsrgemm_group_reduce_part2ILj256ELj8ELj2EdiiEEvT4_PKT3_PS1_Pi ; -- Begin function _ZN9rocsparseL26bsrgemm_group_reduce_part2ILj256ELj8ELj2EdiiEEvT4_PKT3_PS1_Pi
	.p2align	8
	.type	_ZN9rocsparseL26bsrgemm_group_reduce_part2ILj256ELj8ELj2EdiiEEvT4_PKT3_PS1_Pi,@function
_ZN9rocsparseL26bsrgemm_group_reduce_part2ILj256ELj8ELj2EdiiEEvT4_PKT3_PS1_Pi: ; @_ZN9rocsparseL26bsrgemm_group_reduce_part2ILj256ELj8ELj2EdiiEEvT4_PKT3_PS1_Pi
; %bb.0:
	s_clause 0x1
	s_load_b32 s10, s[0:1], 0x0
	s_load_b64 s[2:3], s[0:1], 0x10
	s_mov_b32 s4, 0
	v_lshl_or_b32 v1, s15, 8, v0
	s_mov_b32 s7, s4
	s_mov_b32 s5, s4
	;; [unrolled: 1-line block ×3, first 2 shown]
	v_dual_mov_b32 v8, s7 :: v_dual_mov_b32 v5, s4
	v_dual_mov_b32 v7, s6 :: v_dual_lshlrev_b32 v4, 5, v0
	v_mov_b32_e32 v6, s5
	s_mov_b32 s5, exec_lo
	ds_store_b128 v4, v[5:8]
	ds_store_b128 v4, v[5:8] offset:16
	s_waitcnt lgkmcnt(0)
	buffer_gl0_inv
	v_cmpx_gt_i32_e64 s10, v1
	s_cbranch_execz .LBB23_31
; %bb.1:
	s_clause 0x2
	s_load_b32 s11, s[0:1], 0x20
	s_load_b64 s[6:7], s[0:1], 0x8
	s_load_b64 s[8:9], s[0:1], 0x18
	v_dual_mov_b32 v5, 7 :: v_dual_mov_b32 v6, 6
	v_dual_mov_b32 v7, 5 :: v_dual_mov_b32 v8, 4
	;; [unrolled: 1-line block ×4, first 2 shown]
	s_waitcnt lgkmcnt(0)
	s_lshl_b32 s1, s11, 8
	s_branch .LBB23_3
.LBB23_2:                               ;   in Loop: Header=BB23_3 Depth=1
	s_or_b32 exec_lo, exec_lo, s0
	v_add_nc_u32_e32 v1, s1, v1
	s_delay_alu instid0(VALU_DEP_1) | instskip(SKIP_1) | instid1(SALU_CYCLE_1)
	v_cmp_le_i32_e32 vcc_lo, s10, v1
	s_or_b32 s4, vcc_lo, s4
	s_and_not1_b32 exec_lo, exec_lo, s4
	s_cbranch_execz .LBB23_31
.LBB23_3:                               ; =>This Inner Loop Header: Depth=1
	v_ashrrev_i32_e32 v2, 31, v1
	s_mov_b32 s0, exec_lo
	s_delay_alu instid0(VALU_DEP_1) | instskip(NEXT) | instid1(VALU_DEP_1)
	v_lshlrev_b64 v[2:3], 2, v[1:2]
	v_add_co_u32 v13, vcc_lo, s6, v2
	s_delay_alu instid0(VALU_DEP_2) | instskip(SKIP_3) | instid1(VALU_DEP_1)
	v_add_co_ci_u32_e32 v14, vcc_lo, s7, v3, vcc_lo
	global_load_b64 v[13:14], v[13:14], off
	s_waitcnt vmcnt(0)
	v_sub_nc_u32_e32 v13, v14, v13
	v_cmpx_lt_i32_e32 8, v13
	s_xor_b32 s11, exec_lo, s0
	s_cbranch_execz .LBB23_29
; %bb.4:                                ;   in Loop: Header=BB23_3 Depth=1
	s_mov_b32 s0, exec_lo
	v_cmpx_lt_u32_e32 16, v13
	s_xor_b32 s12, exec_lo, s0
	s_cbranch_execz .LBB23_26
; %bb.5:                                ;   in Loop: Header=BB23_3 Depth=1
	s_mov_b32 s0, exec_lo
	v_cmpx_lt_u32_e32 32, v13
	;; [unrolled: 5-line block ×5, first 2 shown]
	s_xor_b32 s17, exec_lo, s0
	s_cbranch_execz .LBB23_14
; %bb.9:                                ;   in Loop: Header=BB23_3 Depth=1
	v_add_co_u32 v2, s0, s8, v2
	s_delay_alu instid0(VALU_DEP_1)
	v_add_co_ci_u32_e64 v3, s0, s9, v3, s0
	s_mov_b32 s0, exec_lo
	v_cmpx_lt_u32_e32 0x200, v13
	s_xor_b32 s0, exec_lo, s0
	s_cbranch_execz .LBB23_11
; %bb.10:                               ;   in Loop: Header=BB23_3 Depth=1
	ds_load_b32 v13, v4 offset:28
	global_store_b32 v[2:3], v5, off
                                        ; implicit-def: $vgpr2_vgpr3
	s_waitcnt lgkmcnt(0)
	v_add_nc_u32_e32 v13, 1, v13
	ds_store_b32 v4, v13 offset:28
.LBB23_11:                              ;   in Loop: Header=BB23_3 Depth=1
	s_and_not1_saveexec_b32 s0, s0
	s_cbranch_execz .LBB23_13
; %bb.12:                               ;   in Loop: Header=BB23_3 Depth=1
	ds_load_b32 v13, v4 offset:24
	global_store_b32 v[2:3], v6, off
	s_waitcnt lgkmcnt(0)
	v_add_nc_u32_e32 v13, 1, v13
	ds_store_b32 v4, v13 offset:24
.LBB23_13:                              ;   in Loop: Header=BB23_3 Depth=1
	s_or_b32 exec_lo, exec_lo, s0
                                        ; implicit-def: $vgpr2_vgpr3
.LBB23_14:                              ;   in Loop: Header=BB23_3 Depth=1
	s_and_not1_saveexec_b32 s0, s17
	s_cbranch_execz .LBB23_16
; %bb.15:                               ;   in Loop: Header=BB23_3 Depth=1
	ds_load_b32 v13, v4 offset:20
	v_add_co_u32 v2, vcc_lo, s8, v2
	v_add_co_ci_u32_e32 v3, vcc_lo, s9, v3, vcc_lo
	global_store_b32 v[2:3], v7, off
	s_waitcnt lgkmcnt(0)
	v_add_nc_u32_e32 v13, 1, v13
	ds_store_b32 v4, v13 offset:20
.LBB23_16:                              ;   in Loop: Header=BB23_3 Depth=1
	s_or_b32 exec_lo, exec_lo, s0
                                        ; implicit-def: $vgpr2_vgpr3
.LBB23_17:                              ;   in Loop: Header=BB23_3 Depth=1
	s_and_not1_saveexec_b32 s0, s16
	s_cbranch_execz .LBB23_19
; %bb.18:                               ;   in Loop: Header=BB23_3 Depth=1
	ds_load_b32 v13, v4 offset:16
	v_add_co_u32 v2, vcc_lo, s8, v2
	v_add_co_ci_u32_e32 v3, vcc_lo, s9, v3, vcc_lo
	global_store_b32 v[2:3], v8, off
	s_waitcnt lgkmcnt(0)
	v_add_nc_u32_e32 v13, 1, v13
	ds_store_b32 v4, v13 offset:16
.LBB23_19:                              ;   in Loop: Header=BB23_3 Depth=1
	s_or_b32 exec_lo, exec_lo, s0
                                        ; implicit-def: $vgpr2_vgpr3
.LBB23_20:                              ;   in Loop: Header=BB23_3 Depth=1
	s_and_not1_saveexec_b32 s0, s14
	s_cbranch_execz .LBB23_22
; %bb.21:                               ;   in Loop: Header=BB23_3 Depth=1
	ds_load_b32 v13, v4 offset:12
	v_add_co_u32 v2, vcc_lo, s8, v2
	v_add_co_ci_u32_e32 v3, vcc_lo, s9, v3, vcc_lo
	global_store_b32 v[2:3], v9, off
	s_waitcnt lgkmcnt(0)
	v_add_nc_u32_e32 v13, 1, v13
	ds_store_b32 v4, v13 offset:12
.LBB23_22:                              ;   in Loop: Header=BB23_3 Depth=1
	s_or_b32 exec_lo, exec_lo, s0
                                        ; implicit-def: $vgpr2_vgpr3
.LBB23_23:                              ;   in Loop: Header=BB23_3 Depth=1
	s_and_not1_saveexec_b32 s0, s13
	s_cbranch_execz .LBB23_25
; %bb.24:                               ;   in Loop: Header=BB23_3 Depth=1
	ds_load_b32 v13, v4 offset:8
	v_add_co_u32 v2, vcc_lo, s8, v2
	v_add_co_ci_u32_e32 v3, vcc_lo, s9, v3, vcc_lo
	global_store_b32 v[2:3], v10, off
	s_waitcnt lgkmcnt(0)
	v_add_nc_u32_e32 v13, 1, v13
	ds_store_b32 v4, v13 offset:8
.LBB23_25:                              ;   in Loop: Header=BB23_3 Depth=1
	s_or_b32 exec_lo, exec_lo, s0
                                        ; implicit-def: $vgpr2_vgpr3
.LBB23_26:                              ;   in Loop: Header=BB23_3 Depth=1
	s_and_not1_saveexec_b32 s0, s12
	s_cbranch_execz .LBB23_28
; %bb.27:                               ;   in Loop: Header=BB23_3 Depth=1
	ds_load_b32 v13, v4 offset:4
	v_add_co_u32 v2, vcc_lo, s8, v2
	v_add_co_ci_u32_e32 v3, vcc_lo, s9, v3, vcc_lo
	global_store_b32 v[2:3], v11, off
	s_waitcnt lgkmcnt(0)
	v_add_nc_u32_e32 v13, 1, v13
	ds_store_b32 v4, v13 offset:4
.LBB23_28:                              ;   in Loop: Header=BB23_3 Depth=1
	s_or_b32 exec_lo, exec_lo, s0
                                        ; implicit-def: $vgpr2_vgpr3
.LBB23_29:                              ;   in Loop: Header=BB23_3 Depth=1
	s_and_not1_saveexec_b32 s0, s11
	s_cbranch_execz .LBB23_2
; %bb.30:                               ;   in Loop: Header=BB23_3 Depth=1
	ds_load_b32 v13, v4
	v_add_co_u32 v2, vcc_lo, s8, v2
	v_add_co_ci_u32_e32 v3, vcc_lo, s9, v3, vcc_lo
	global_store_b32 v[2:3], v12, off
	s_waitcnt lgkmcnt(0)
	v_add_nc_u32_e32 v13, 1, v13
	ds_store_b32 v4, v13
	s_branch .LBB23_2
.LBB23_31:
	s_or_b32 exec_lo, exec_lo, s5
	s_delay_alu instid0(SALU_CYCLE_1)
	s_mov_b32 s0, exec_lo
	s_waitcnt lgkmcnt(0)
	s_waitcnt_vscnt null, 0x0
	s_barrier
	buffer_gl0_inv
	s_barrier
	buffer_gl0_inv
	;; [unrolled: 2-line block ×3, first 2 shown]
	v_cmpx_gt_u32_e32 0x80, v0
	s_cbranch_execz .LBB23_33
; %bb.32:
	ds_load_b128 v[5:8], v4 offset:4096
	ds_load_b128 v[9:12], v4
	ds_load_b128 v[13:16], v4 offset:16
	ds_load_b128 v[17:20], v4 offset:4112
	s_waitcnt lgkmcnt(2)
	v_add_nc_u32_e32 v5, v9, v5
	v_add_nc_u32_e32 v6, v10, v6
	v_add_nc_u32_e32 v7, v11, v7
	v_add_nc_u32_e32 v8, v12, v8
	s_waitcnt lgkmcnt(0)
	v_add_nc_u32_e32 v9, v13, v17
	v_add_nc_u32_e32 v10, v14, v18
	v_add_nc_u32_e32 v11, v15, v19
	v_add_nc_u32_e32 v12, v16, v20
	ds_store_b128 v4, v[5:8]
	ds_store_b128 v4, v[9:12] offset:16
.LBB23_33:
	s_or_b32 exec_lo, exec_lo, s0
	s_delay_alu instid0(SALU_CYCLE_1)
	s_mov_b32 s0, exec_lo
	s_waitcnt lgkmcnt(0)
	s_barrier
	buffer_gl0_inv
	v_cmpx_gt_u32_e32 64, v0
	s_cbranch_execz .LBB23_35
; %bb.34:
	ds_load_b128 v[5:8], v4 offset:2048
	ds_load_b128 v[9:12], v4
	ds_load_b128 v[13:16], v4 offset:16
	ds_load_b128 v[17:20], v4 offset:2064
	s_waitcnt lgkmcnt(2)
	v_add_nc_u32_e32 v5, v9, v5
	v_add_nc_u32_e32 v6, v10, v6
	v_add_nc_u32_e32 v7, v11, v7
	v_add_nc_u32_e32 v8, v12, v8
	s_waitcnt lgkmcnt(0)
	v_add_nc_u32_e32 v9, v13, v17
	v_add_nc_u32_e32 v10, v14, v18
	v_add_nc_u32_e32 v11, v15, v19
	v_add_nc_u32_e32 v12, v16, v20
	ds_store_b128 v4, v[5:8]
	ds_store_b128 v4, v[9:12] offset:16
.LBB23_35:
	s_or_b32 exec_lo, exec_lo, s0
	s_delay_alu instid0(SALU_CYCLE_1)
	s_mov_b32 s0, exec_lo
	s_waitcnt lgkmcnt(0)
	s_barrier
	buffer_gl0_inv
	;; [unrolled: 26-line block ×3, first 2 shown]
	v_cmpx_gt_u32_e32 16, v0
	s_cbranch_execz .LBB23_39
; %bb.38:
	ds_load_b128 v[5:8], v4 offset:512
	ds_load_b128 v[9:12], v4
	ds_load_b128 v[13:16], v4 offset:16
	ds_load_b128 v[17:20], v4 offset:528
	s_waitcnt lgkmcnt(2)
	v_add_nc_u32_e32 v5, v9, v5
	v_add_nc_u32_e32 v6, v10, v6
	;; [unrolled: 1-line block ×4, first 2 shown]
	s_waitcnt lgkmcnt(0)
	v_add_nc_u32_e32 v9, v13, v17
	v_add_nc_u32_e32 v10, v14, v18
	;; [unrolled: 1-line block ×4, first 2 shown]
	ds_store_b128 v4, v[5:8]
	ds_store_b128 v4, v[9:12] offset:16
.LBB23_39:
	s_or_b32 exec_lo, exec_lo, s0
	v_cmp_gt_u32_e32 vcc_lo, 8, v0
	s_waitcnt lgkmcnt(0)
	s_barrier
	buffer_gl0_inv
	s_and_saveexec_b32 s0, vcc_lo
	s_cbranch_execz .LBB23_41
; %bb.40:
	ds_load_b128 v[5:8], v4 offset:256
	ds_load_b128 v[9:12], v4
	ds_load_b128 v[13:16], v4 offset:16
	ds_load_b128 v[17:20], v4 offset:272
	s_waitcnt lgkmcnt(2)
	v_add_nc_u32_e32 v5, v9, v5
	v_add_nc_u32_e32 v6, v10, v6
	;; [unrolled: 1-line block ×4, first 2 shown]
	s_waitcnt lgkmcnt(0)
	v_add_nc_u32_e32 v9, v13, v17
	v_add_nc_u32_e32 v10, v14, v18
	;; [unrolled: 1-line block ×4, first 2 shown]
	ds_store_b128 v4, v[5:8]
	ds_store_b128 v4, v[9:12] offset:16
.LBB23_41:
	s_or_b32 exec_lo, exec_lo, s0
	s_delay_alu instid0(SALU_CYCLE_1)
	s_mov_b32 s1, exec_lo
	s_waitcnt lgkmcnt(0)
	s_barrier
	buffer_gl0_inv
	v_cmpx_gt_u32_e32 4, v0
	s_cbranch_execz .LBB23_43
; %bb.42:
	ds_load_b128 v[5:8], v4 offset:128
	ds_load_b128 v[9:12], v4
	ds_load_b128 v[13:16], v4 offset:16
	ds_load_b128 v[17:20], v4 offset:144
	s_waitcnt lgkmcnt(2)
	v_add_nc_u32_e32 v5, v9, v5
	v_add_nc_u32_e32 v6, v10, v6
	;; [unrolled: 1-line block ×4, first 2 shown]
	s_waitcnt lgkmcnt(0)
	v_add_nc_u32_e32 v9, v13, v17
	v_add_nc_u32_e32 v10, v14, v18
	;; [unrolled: 1-line block ×4, first 2 shown]
	ds_store_b128 v4, v[5:8]
	ds_store_b128 v4, v[9:12] offset:16
.LBB23_43:
	s_or_b32 exec_lo, exec_lo, s1
	s_delay_alu instid0(SALU_CYCLE_1)
	s_mov_b32 s1, exec_lo
	s_waitcnt lgkmcnt(0)
	s_barrier
	buffer_gl0_inv
	v_cmpx_gt_u32_e32 2, v0
	s_cbranch_execz .LBB23_45
; %bb.44:
	ds_load_b128 v[5:8], v4 offset:64
	ds_load_b128 v[9:12], v4
	ds_load_b128 v[13:16], v4 offset:16
	ds_load_b128 v[17:20], v4 offset:80
	s_waitcnt lgkmcnt(2)
	v_add_nc_u32_e32 v5, v9, v5
	v_add_nc_u32_e32 v6, v10, v6
	;; [unrolled: 1-line block ×4, first 2 shown]
	s_waitcnt lgkmcnt(0)
	v_add_nc_u32_e32 v9, v13, v17
	v_add_nc_u32_e32 v10, v14, v18
	;; [unrolled: 1-line block ×4, first 2 shown]
	ds_store_b128 v4, v[5:8]
	ds_store_b128 v4, v[9:12] offset:16
.LBB23_45:
	s_or_b32 exec_lo, exec_lo, s1
	s_delay_alu instid0(SALU_CYCLE_1)
	s_mov_b32 s1, exec_lo
	s_waitcnt lgkmcnt(0)
	s_barrier
	buffer_gl0_inv
	v_cmpx_eq_u32_e32 0, v0
	s_cbranch_execz .LBB23_47
; %bb.46:
	v_mov_b32_e32 v17, 0
	ds_load_b128 v[1:4], v17 offset:32
	ds_load_b128 v[5:8], v17
	ds_load_b128 v[9:12], v17 offset:16
	ds_load_b128 v[13:16], v17 offset:48
	s_waitcnt lgkmcnt(2)
	v_add_nc_u32_e32 v2, v6, v2
	v_add_nc_u32_e32 v1, v5, v1
	;; [unrolled: 1-line block ×4, first 2 shown]
	s_waitcnt lgkmcnt(0)
	v_add_nc_u32_e32 v5, v9, v13
	v_add_nc_u32_e32 v6, v10, v14
	v_add_nc_u32_e32 v7, v11, v15
	v_add_nc_u32_e32 v8, v12, v16
	ds_store_b128 v17, v[1:4]
	ds_store_b128 v17, v[5:8] offset:16
.LBB23_47:
	s_or_b32 exec_lo, exec_lo, s1
	s_waitcnt lgkmcnt(0)
	s_barrier
	buffer_gl0_inv
	s_and_saveexec_b32 s0, vcc_lo
	s_cbranch_execz .LBB23_49
; %bb.48:
	v_lshlrev_b32_e32 v1, 2, v0
	v_lshl_or_b32 v0, s15, 3, v0
	ds_load_b32 v2, v1
	v_mov_b32_e32 v1, 0
	s_delay_alu instid0(VALU_DEP_1) | instskip(NEXT) | instid1(VALU_DEP_1)
	v_lshlrev_b64 v[0:1], 2, v[0:1]
	v_add_co_u32 v0, vcc_lo, s2, v0
	s_delay_alu instid0(VALU_DEP_2)
	v_add_co_ci_u32_e32 v1, vcc_lo, s3, v1, vcc_lo
	s_waitcnt lgkmcnt(0)
	global_store_b32 v[0:1], v2, off
.LBB23_49:
	s_nop 0
	s_sendmsg sendmsg(MSG_DEALLOC_VGPRS)
	s_endpgm
	.section	.rodata,"a",@progbits
	.p2align	6, 0x0
	.amdhsa_kernel _ZN9rocsparseL26bsrgemm_group_reduce_part2ILj256ELj8ELj2EdiiEEvT4_PKT3_PS1_Pi
		.amdhsa_group_segment_fixed_size 8192
		.amdhsa_private_segment_fixed_size 0
		.amdhsa_kernarg_size 288
		.amdhsa_user_sgpr_count 15
		.amdhsa_user_sgpr_dispatch_ptr 0
		.amdhsa_user_sgpr_queue_ptr 0
		.amdhsa_user_sgpr_kernarg_segment_ptr 1
		.amdhsa_user_sgpr_dispatch_id 0
		.amdhsa_user_sgpr_private_segment_size 0
		.amdhsa_wavefront_size32 1
		.amdhsa_uses_dynamic_stack 0
		.amdhsa_enable_private_segment 0
		.amdhsa_system_sgpr_workgroup_id_x 1
		.amdhsa_system_sgpr_workgroup_id_y 0
		.amdhsa_system_sgpr_workgroup_id_z 0
		.amdhsa_system_sgpr_workgroup_info 0
		.amdhsa_system_vgpr_workitem_id 0
		.amdhsa_next_free_vgpr 21
		.amdhsa_next_free_sgpr 18
		.amdhsa_reserve_vcc 1
		.amdhsa_float_round_mode_32 0
		.amdhsa_float_round_mode_16_64 0
		.amdhsa_float_denorm_mode_32 3
		.amdhsa_float_denorm_mode_16_64 3
		.amdhsa_dx10_clamp 1
		.amdhsa_ieee_mode 1
		.amdhsa_fp16_overflow 0
		.amdhsa_workgroup_processor_mode 1
		.amdhsa_memory_ordered 1
		.amdhsa_forward_progress 0
		.amdhsa_shared_vgpr_count 0
		.amdhsa_exception_fp_ieee_invalid_op 0
		.amdhsa_exception_fp_denorm_src 0
		.amdhsa_exception_fp_ieee_div_zero 0
		.amdhsa_exception_fp_ieee_overflow 0
		.amdhsa_exception_fp_ieee_underflow 0
		.amdhsa_exception_fp_ieee_inexact 0
		.amdhsa_exception_int_div_zero 0
	.end_amdhsa_kernel
	.section	.text._ZN9rocsparseL26bsrgemm_group_reduce_part2ILj256ELj8ELj2EdiiEEvT4_PKT3_PS1_Pi,"axG",@progbits,_ZN9rocsparseL26bsrgemm_group_reduce_part2ILj256ELj8ELj2EdiiEEvT4_PKT3_PS1_Pi,comdat
.Lfunc_end23:
	.size	_ZN9rocsparseL26bsrgemm_group_reduce_part2ILj256ELj8ELj2EdiiEEvT4_PKT3_PS1_Pi, .Lfunc_end23-_ZN9rocsparseL26bsrgemm_group_reduce_part2ILj256ELj8ELj2EdiiEEvT4_PKT3_PS1_Pi
                                        ; -- End function
	.section	.AMDGPU.csdata,"",@progbits
; Kernel info:
; codeLenInByte = 1940
; NumSgprs: 20
; NumVgprs: 21
; ScratchSize: 0
; MemoryBound: 0
; FloatMode: 240
; IeeeMode: 1
; LDSByteSize: 8192 bytes/workgroup (compile time only)
; SGPRBlocks: 2
; VGPRBlocks: 2
; NumSGPRsForWavesPerEU: 20
; NumVGPRsForWavesPerEU: 21
; Occupancy: 16
; WaveLimiterHint : 0
; COMPUTE_PGM_RSRC2:SCRATCH_EN: 0
; COMPUTE_PGM_RSRC2:USER_SGPR: 15
; COMPUTE_PGM_RSRC2:TRAP_HANDLER: 0
; COMPUTE_PGM_RSRC2:TGID_X_EN: 1
; COMPUTE_PGM_RSRC2:TGID_Y_EN: 0
; COMPUTE_PGM_RSRC2:TGID_Z_EN: 0
; COMPUTE_PGM_RSRC2:TIDIG_COMP_CNT: 0
	.section	.text._ZN9rocsparseL26bsrgemm_group_reduce_part2ILj256ELj8ELj8EdiiEEvT4_PKT3_PS1_Pi,"axG",@progbits,_ZN9rocsparseL26bsrgemm_group_reduce_part2ILj256ELj8ELj8EdiiEEvT4_PKT3_PS1_Pi,comdat
	.globl	_ZN9rocsparseL26bsrgemm_group_reduce_part2ILj256ELj8ELj8EdiiEEvT4_PKT3_PS1_Pi ; -- Begin function _ZN9rocsparseL26bsrgemm_group_reduce_part2ILj256ELj8ELj8EdiiEEvT4_PKT3_PS1_Pi
	.p2align	8
	.type	_ZN9rocsparseL26bsrgemm_group_reduce_part2ILj256ELj8ELj8EdiiEEvT4_PKT3_PS1_Pi,@function
_ZN9rocsparseL26bsrgemm_group_reduce_part2ILj256ELj8ELj8EdiiEEvT4_PKT3_PS1_Pi: ; @_ZN9rocsparseL26bsrgemm_group_reduce_part2ILj256ELj8ELj8EdiiEEvT4_PKT3_PS1_Pi
; %bb.0:
	s_clause 0x1
	s_load_b32 s10, s[0:1], 0x0
	s_load_b64 s[2:3], s[0:1], 0x10
	s_mov_b32 s4, 0
	v_lshl_or_b32 v1, s15, 8, v0
	s_mov_b32 s7, s4
	s_mov_b32 s5, s4
	;; [unrolled: 1-line block ×3, first 2 shown]
	v_dual_mov_b32 v8, s7 :: v_dual_mov_b32 v5, s4
	v_dual_mov_b32 v7, s6 :: v_dual_lshlrev_b32 v4, 5, v0
	v_mov_b32_e32 v6, s5
	s_mov_b32 s5, exec_lo
	ds_store_b128 v4, v[5:8]
	ds_store_b128 v4, v[5:8] offset:16
	s_waitcnt lgkmcnt(0)
	buffer_gl0_inv
	v_cmpx_gt_i32_e64 s10, v1
	s_cbranch_execz .LBB24_31
; %bb.1:
	s_clause 0x2
	s_load_b32 s11, s[0:1], 0x20
	s_load_b64 s[6:7], s[0:1], 0x8
	s_load_b64 s[8:9], s[0:1], 0x18
	v_dual_mov_b32 v5, 7 :: v_dual_mov_b32 v6, 6
	v_dual_mov_b32 v7, 5 :: v_dual_mov_b32 v8, 4
	v_dual_mov_b32 v9, 3 :: v_dual_mov_b32 v10, 2
	v_dual_mov_b32 v11, 1 :: v_dual_mov_b32 v12, 0
	s_waitcnt lgkmcnt(0)
	s_lshl_b32 s1, s11, 8
	s_branch .LBB24_3
.LBB24_2:                               ;   in Loop: Header=BB24_3 Depth=1
	s_or_b32 exec_lo, exec_lo, s0
	v_add_nc_u32_e32 v1, s1, v1
	s_delay_alu instid0(VALU_DEP_1) | instskip(SKIP_1) | instid1(SALU_CYCLE_1)
	v_cmp_le_i32_e32 vcc_lo, s10, v1
	s_or_b32 s4, vcc_lo, s4
	s_and_not1_b32 exec_lo, exec_lo, s4
	s_cbranch_execz .LBB24_31
.LBB24_3:                               ; =>This Inner Loop Header: Depth=1
	v_ashrrev_i32_e32 v2, 31, v1
	s_mov_b32 s0, exec_lo
	s_delay_alu instid0(VALU_DEP_1) | instskip(NEXT) | instid1(VALU_DEP_1)
	v_lshlrev_b64 v[2:3], 2, v[1:2]
	v_add_co_u32 v13, vcc_lo, s6, v2
	s_delay_alu instid0(VALU_DEP_2) | instskip(SKIP_3) | instid1(VALU_DEP_1)
	v_add_co_ci_u32_e32 v14, vcc_lo, s7, v3, vcc_lo
	global_load_b64 v[13:14], v[13:14], off
	s_waitcnt vmcnt(0)
	v_sub_nc_u32_e32 v13, v14, v13
	v_cmpx_lt_i32_e32 8, v13
	s_xor_b32 s11, exec_lo, s0
	s_cbranch_execz .LBB24_29
; %bb.4:                                ;   in Loop: Header=BB24_3 Depth=1
	s_mov_b32 s0, exec_lo
	v_cmpx_lt_u32_e32 16, v13
	s_xor_b32 s12, exec_lo, s0
	s_cbranch_execz .LBB24_26
; %bb.5:                                ;   in Loop: Header=BB24_3 Depth=1
	s_mov_b32 s0, exec_lo
	v_cmpx_lt_u32_e32 32, v13
	;; [unrolled: 5-line block ×5, first 2 shown]
	s_xor_b32 s17, exec_lo, s0
	s_cbranch_execz .LBB24_14
; %bb.9:                                ;   in Loop: Header=BB24_3 Depth=1
	v_add_co_u32 v2, s0, s8, v2
	s_delay_alu instid0(VALU_DEP_1)
	v_add_co_ci_u32_e64 v3, s0, s9, v3, s0
	s_mov_b32 s0, exec_lo
	v_cmpx_lt_u32_e32 0x200, v13
	s_xor_b32 s0, exec_lo, s0
	s_cbranch_execz .LBB24_11
; %bb.10:                               ;   in Loop: Header=BB24_3 Depth=1
	ds_load_b32 v13, v4 offset:28
	global_store_b32 v[2:3], v5, off
                                        ; implicit-def: $vgpr2_vgpr3
	s_waitcnt lgkmcnt(0)
	v_add_nc_u32_e32 v13, 1, v13
	ds_store_b32 v4, v13 offset:28
.LBB24_11:                              ;   in Loop: Header=BB24_3 Depth=1
	s_and_not1_saveexec_b32 s0, s0
	s_cbranch_execz .LBB24_13
; %bb.12:                               ;   in Loop: Header=BB24_3 Depth=1
	ds_load_b32 v13, v4 offset:24
	global_store_b32 v[2:3], v6, off
	s_waitcnt lgkmcnt(0)
	v_add_nc_u32_e32 v13, 1, v13
	ds_store_b32 v4, v13 offset:24
.LBB24_13:                              ;   in Loop: Header=BB24_3 Depth=1
	s_or_b32 exec_lo, exec_lo, s0
                                        ; implicit-def: $vgpr2_vgpr3
.LBB24_14:                              ;   in Loop: Header=BB24_3 Depth=1
	s_and_not1_saveexec_b32 s0, s17
	s_cbranch_execz .LBB24_16
; %bb.15:                               ;   in Loop: Header=BB24_3 Depth=1
	ds_load_b32 v13, v4 offset:20
	v_add_co_u32 v2, vcc_lo, s8, v2
	v_add_co_ci_u32_e32 v3, vcc_lo, s9, v3, vcc_lo
	global_store_b32 v[2:3], v7, off
	s_waitcnt lgkmcnt(0)
	v_add_nc_u32_e32 v13, 1, v13
	ds_store_b32 v4, v13 offset:20
.LBB24_16:                              ;   in Loop: Header=BB24_3 Depth=1
	s_or_b32 exec_lo, exec_lo, s0
                                        ; implicit-def: $vgpr2_vgpr3
.LBB24_17:                              ;   in Loop: Header=BB24_3 Depth=1
	s_and_not1_saveexec_b32 s0, s16
	s_cbranch_execz .LBB24_19
; %bb.18:                               ;   in Loop: Header=BB24_3 Depth=1
	ds_load_b32 v13, v4 offset:16
	v_add_co_u32 v2, vcc_lo, s8, v2
	v_add_co_ci_u32_e32 v3, vcc_lo, s9, v3, vcc_lo
	global_store_b32 v[2:3], v8, off
	s_waitcnt lgkmcnt(0)
	v_add_nc_u32_e32 v13, 1, v13
	ds_store_b32 v4, v13 offset:16
.LBB24_19:                              ;   in Loop: Header=BB24_3 Depth=1
	s_or_b32 exec_lo, exec_lo, s0
                                        ; implicit-def: $vgpr2_vgpr3
.LBB24_20:                              ;   in Loop: Header=BB24_3 Depth=1
	s_and_not1_saveexec_b32 s0, s14
	s_cbranch_execz .LBB24_22
; %bb.21:                               ;   in Loop: Header=BB24_3 Depth=1
	ds_load_b32 v13, v4 offset:12
	v_add_co_u32 v2, vcc_lo, s8, v2
	v_add_co_ci_u32_e32 v3, vcc_lo, s9, v3, vcc_lo
	global_store_b32 v[2:3], v9, off
	s_waitcnt lgkmcnt(0)
	v_add_nc_u32_e32 v13, 1, v13
	ds_store_b32 v4, v13 offset:12
.LBB24_22:                              ;   in Loop: Header=BB24_3 Depth=1
	s_or_b32 exec_lo, exec_lo, s0
                                        ; implicit-def: $vgpr2_vgpr3
.LBB24_23:                              ;   in Loop: Header=BB24_3 Depth=1
	s_and_not1_saveexec_b32 s0, s13
	s_cbranch_execz .LBB24_25
; %bb.24:                               ;   in Loop: Header=BB24_3 Depth=1
	ds_load_b32 v13, v4 offset:8
	v_add_co_u32 v2, vcc_lo, s8, v2
	v_add_co_ci_u32_e32 v3, vcc_lo, s9, v3, vcc_lo
	global_store_b32 v[2:3], v10, off
	s_waitcnt lgkmcnt(0)
	v_add_nc_u32_e32 v13, 1, v13
	ds_store_b32 v4, v13 offset:8
.LBB24_25:                              ;   in Loop: Header=BB24_3 Depth=1
	s_or_b32 exec_lo, exec_lo, s0
                                        ; implicit-def: $vgpr2_vgpr3
.LBB24_26:                              ;   in Loop: Header=BB24_3 Depth=1
	s_and_not1_saveexec_b32 s0, s12
	s_cbranch_execz .LBB24_28
; %bb.27:                               ;   in Loop: Header=BB24_3 Depth=1
	ds_load_b32 v13, v4 offset:4
	v_add_co_u32 v2, vcc_lo, s8, v2
	v_add_co_ci_u32_e32 v3, vcc_lo, s9, v3, vcc_lo
	global_store_b32 v[2:3], v11, off
	s_waitcnt lgkmcnt(0)
	v_add_nc_u32_e32 v13, 1, v13
	ds_store_b32 v4, v13 offset:4
.LBB24_28:                              ;   in Loop: Header=BB24_3 Depth=1
	s_or_b32 exec_lo, exec_lo, s0
                                        ; implicit-def: $vgpr2_vgpr3
.LBB24_29:                              ;   in Loop: Header=BB24_3 Depth=1
	s_and_not1_saveexec_b32 s0, s11
	s_cbranch_execz .LBB24_2
; %bb.30:                               ;   in Loop: Header=BB24_3 Depth=1
	ds_load_b32 v13, v4
	v_add_co_u32 v2, vcc_lo, s8, v2
	v_add_co_ci_u32_e32 v3, vcc_lo, s9, v3, vcc_lo
	global_store_b32 v[2:3], v12, off
	s_waitcnt lgkmcnt(0)
	v_add_nc_u32_e32 v13, 1, v13
	ds_store_b32 v4, v13
	s_branch .LBB24_2
.LBB24_31:
	s_or_b32 exec_lo, exec_lo, s5
	s_delay_alu instid0(SALU_CYCLE_1)
	s_mov_b32 s0, exec_lo
	s_waitcnt lgkmcnt(0)
	s_waitcnt_vscnt null, 0x0
	s_barrier
	buffer_gl0_inv
	s_barrier
	buffer_gl0_inv
	;; [unrolled: 2-line block ×3, first 2 shown]
	v_cmpx_gt_u32_e32 0x80, v0
	s_cbranch_execz .LBB24_33
; %bb.32:
	ds_load_b128 v[5:8], v4 offset:4096
	ds_load_b128 v[9:12], v4
	ds_load_b128 v[13:16], v4 offset:16
	ds_load_b128 v[17:20], v4 offset:4112
	s_waitcnt lgkmcnt(2)
	v_add_nc_u32_e32 v5, v9, v5
	v_add_nc_u32_e32 v6, v10, v6
	v_add_nc_u32_e32 v7, v11, v7
	v_add_nc_u32_e32 v8, v12, v8
	s_waitcnt lgkmcnt(0)
	v_add_nc_u32_e32 v9, v13, v17
	v_add_nc_u32_e32 v10, v14, v18
	v_add_nc_u32_e32 v11, v15, v19
	v_add_nc_u32_e32 v12, v16, v20
	ds_store_b128 v4, v[5:8]
	ds_store_b128 v4, v[9:12] offset:16
.LBB24_33:
	s_or_b32 exec_lo, exec_lo, s0
	s_delay_alu instid0(SALU_CYCLE_1)
	s_mov_b32 s0, exec_lo
	s_waitcnt lgkmcnt(0)
	s_barrier
	buffer_gl0_inv
	v_cmpx_gt_u32_e32 64, v0
	s_cbranch_execz .LBB24_35
; %bb.34:
	ds_load_b128 v[5:8], v4 offset:2048
	ds_load_b128 v[9:12], v4
	ds_load_b128 v[13:16], v4 offset:16
	ds_load_b128 v[17:20], v4 offset:2064
	s_waitcnt lgkmcnt(2)
	v_add_nc_u32_e32 v5, v9, v5
	v_add_nc_u32_e32 v6, v10, v6
	v_add_nc_u32_e32 v7, v11, v7
	v_add_nc_u32_e32 v8, v12, v8
	s_waitcnt lgkmcnt(0)
	v_add_nc_u32_e32 v9, v13, v17
	v_add_nc_u32_e32 v10, v14, v18
	v_add_nc_u32_e32 v11, v15, v19
	v_add_nc_u32_e32 v12, v16, v20
	ds_store_b128 v4, v[5:8]
	ds_store_b128 v4, v[9:12] offset:16
.LBB24_35:
	s_or_b32 exec_lo, exec_lo, s0
	s_delay_alu instid0(SALU_CYCLE_1)
	s_mov_b32 s0, exec_lo
	s_waitcnt lgkmcnt(0)
	s_barrier
	buffer_gl0_inv
	;; [unrolled: 26-line block ×3, first 2 shown]
	v_cmpx_gt_u32_e32 16, v0
	s_cbranch_execz .LBB24_39
; %bb.38:
	ds_load_b128 v[5:8], v4 offset:512
	ds_load_b128 v[9:12], v4
	ds_load_b128 v[13:16], v4 offset:16
	ds_load_b128 v[17:20], v4 offset:528
	s_waitcnt lgkmcnt(2)
	v_add_nc_u32_e32 v5, v9, v5
	v_add_nc_u32_e32 v6, v10, v6
	;; [unrolled: 1-line block ×4, first 2 shown]
	s_waitcnt lgkmcnt(0)
	v_add_nc_u32_e32 v9, v13, v17
	v_add_nc_u32_e32 v10, v14, v18
	;; [unrolled: 1-line block ×4, first 2 shown]
	ds_store_b128 v4, v[5:8]
	ds_store_b128 v4, v[9:12] offset:16
.LBB24_39:
	s_or_b32 exec_lo, exec_lo, s0
	v_cmp_gt_u32_e32 vcc_lo, 8, v0
	s_waitcnt lgkmcnt(0)
	s_barrier
	buffer_gl0_inv
	s_and_saveexec_b32 s0, vcc_lo
	s_cbranch_execz .LBB24_41
; %bb.40:
	ds_load_b128 v[5:8], v4 offset:256
	ds_load_b128 v[9:12], v4
	ds_load_b128 v[13:16], v4 offset:16
	ds_load_b128 v[17:20], v4 offset:272
	s_waitcnt lgkmcnt(2)
	v_add_nc_u32_e32 v5, v9, v5
	v_add_nc_u32_e32 v6, v10, v6
	;; [unrolled: 1-line block ×4, first 2 shown]
	s_waitcnt lgkmcnt(0)
	v_add_nc_u32_e32 v9, v13, v17
	v_add_nc_u32_e32 v10, v14, v18
	v_add_nc_u32_e32 v11, v15, v19
	v_add_nc_u32_e32 v12, v16, v20
	ds_store_b128 v4, v[5:8]
	ds_store_b128 v4, v[9:12] offset:16
.LBB24_41:
	s_or_b32 exec_lo, exec_lo, s0
	s_delay_alu instid0(SALU_CYCLE_1)
	s_mov_b32 s1, exec_lo
	s_waitcnt lgkmcnt(0)
	s_barrier
	buffer_gl0_inv
	v_cmpx_gt_u32_e32 4, v0
	s_cbranch_execz .LBB24_43
; %bb.42:
	ds_load_b128 v[5:8], v4 offset:128
	ds_load_b128 v[9:12], v4
	ds_load_b128 v[13:16], v4 offset:16
	ds_load_b128 v[17:20], v4 offset:144
	s_waitcnt lgkmcnt(2)
	v_add_nc_u32_e32 v5, v9, v5
	v_add_nc_u32_e32 v6, v10, v6
	;; [unrolled: 1-line block ×4, first 2 shown]
	s_waitcnt lgkmcnt(0)
	v_add_nc_u32_e32 v9, v13, v17
	v_add_nc_u32_e32 v10, v14, v18
	;; [unrolled: 1-line block ×4, first 2 shown]
	ds_store_b128 v4, v[5:8]
	ds_store_b128 v4, v[9:12] offset:16
.LBB24_43:
	s_or_b32 exec_lo, exec_lo, s1
	s_delay_alu instid0(SALU_CYCLE_1)
	s_mov_b32 s1, exec_lo
	s_waitcnt lgkmcnt(0)
	s_barrier
	buffer_gl0_inv
	v_cmpx_gt_u32_e32 2, v0
	s_cbranch_execz .LBB24_45
; %bb.44:
	ds_load_b128 v[5:8], v4 offset:64
	ds_load_b128 v[9:12], v4
	ds_load_b128 v[13:16], v4 offset:16
	ds_load_b128 v[17:20], v4 offset:80
	s_waitcnt lgkmcnt(2)
	v_add_nc_u32_e32 v5, v9, v5
	v_add_nc_u32_e32 v6, v10, v6
	;; [unrolled: 1-line block ×4, first 2 shown]
	s_waitcnt lgkmcnt(0)
	v_add_nc_u32_e32 v9, v13, v17
	v_add_nc_u32_e32 v10, v14, v18
	;; [unrolled: 1-line block ×4, first 2 shown]
	ds_store_b128 v4, v[5:8]
	ds_store_b128 v4, v[9:12] offset:16
.LBB24_45:
	s_or_b32 exec_lo, exec_lo, s1
	s_delay_alu instid0(SALU_CYCLE_1)
	s_mov_b32 s1, exec_lo
	s_waitcnt lgkmcnt(0)
	s_barrier
	buffer_gl0_inv
	v_cmpx_eq_u32_e32 0, v0
	s_cbranch_execz .LBB24_47
; %bb.46:
	v_mov_b32_e32 v17, 0
	ds_load_b128 v[1:4], v17 offset:32
	ds_load_b128 v[5:8], v17
	ds_load_b128 v[9:12], v17 offset:16
	ds_load_b128 v[13:16], v17 offset:48
	s_waitcnt lgkmcnt(2)
	v_add_nc_u32_e32 v2, v6, v2
	v_add_nc_u32_e32 v1, v5, v1
	;; [unrolled: 1-line block ×4, first 2 shown]
	s_waitcnt lgkmcnt(0)
	v_add_nc_u32_e32 v5, v9, v13
	v_add_nc_u32_e32 v6, v10, v14
	;; [unrolled: 1-line block ×4, first 2 shown]
	ds_store_b128 v17, v[1:4]
	ds_store_b128 v17, v[5:8] offset:16
.LBB24_47:
	s_or_b32 exec_lo, exec_lo, s1
	s_waitcnt lgkmcnt(0)
	s_barrier
	buffer_gl0_inv
	s_and_saveexec_b32 s0, vcc_lo
	s_cbranch_execz .LBB24_49
; %bb.48:
	v_lshlrev_b32_e32 v1, 2, v0
	v_lshl_or_b32 v0, s15, 3, v0
	ds_load_b32 v2, v1
	v_mov_b32_e32 v1, 0
	s_delay_alu instid0(VALU_DEP_1) | instskip(NEXT) | instid1(VALU_DEP_1)
	v_lshlrev_b64 v[0:1], 2, v[0:1]
	v_add_co_u32 v0, vcc_lo, s2, v0
	s_delay_alu instid0(VALU_DEP_2)
	v_add_co_ci_u32_e32 v1, vcc_lo, s3, v1, vcc_lo
	s_waitcnt lgkmcnt(0)
	global_store_b32 v[0:1], v2, off
.LBB24_49:
	s_nop 0
	s_sendmsg sendmsg(MSG_DEALLOC_VGPRS)
	s_endpgm
	.section	.rodata,"a",@progbits
	.p2align	6, 0x0
	.amdhsa_kernel _ZN9rocsparseL26bsrgemm_group_reduce_part2ILj256ELj8ELj8EdiiEEvT4_PKT3_PS1_Pi
		.amdhsa_group_segment_fixed_size 8192
		.amdhsa_private_segment_fixed_size 0
		.amdhsa_kernarg_size 288
		.amdhsa_user_sgpr_count 15
		.amdhsa_user_sgpr_dispatch_ptr 0
		.amdhsa_user_sgpr_queue_ptr 0
		.amdhsa_user_sgpr_kernarg_segment_ptr 1
		.amdhsa_user_sgpr_dispatch_id 0
		.amdhsa_user_sgpr_private_segment_size 0
		.amdhsa_wavefront_size32 1
		.amdhsa_uses_dynamic_stack 0
		.amdhsa_enable_private_segment 0
		.amdhsa_system_sgpr_workgroup_id_x 1
		.amdhsa_system_sgpr_workgroup_id_y 0
		.amdhsa_system_sgpr_workgroup_id_z 0
		.amdhsa_system_sgpr_workgroup_info 0
		.amdhsa_system_vgpr_workitem_id 0
		.amdhsa_next_free_vgpr 21
		.amdhsa_next_free_sgpr 18
		.amdhsa_reserve_vcc 1
		.amdhsa_float_round_mode_32 0
		.amdhsa_float_round_mode_16_64 0
		.amdhsa_float_denorm_mode_32 3
		.amdhsa_float_denorm_mode_16_64 3
		.amdhsa_dx10_clamp 1
		.amdhsa_ieee_mode 1
		.amdhsa_fp16_overflow 0
		.amdhsa_workgroup_processor_mode 1
		.amdhsa_memory_ordered 1
		.amdhsa_forward_progress 0
		.amdhsa_shared_vgpr_count 0
		.amdhsa_exception_fp_ieee_invalid_op 0
		.amdhsa_exception_fp_denorm_src 0
		.amdhsa_exception_fp_ieee_div_zero 0
		.amdhsa_exception_fp_ieee_overflow 0
		.amdhsa_exception_fp_ieee_underflow 0
		.amdhsa_exception_fp_ieee_inexact 0
		.amdhsa_exception_int_div_zero 0
	.end_amdhsa_kernel
	.section	.text._ZN9rocsparseL26bsrgemm_group_reduce_part2ILj256ELj8ELj8EdiiEEvT4_PKT3_PS1_Pi,"axG",@progbits,_ZN9rocsparseL26bsrgemm_group_reduce_part2ILj256ELj8ELj8EdiiEEvT4_PKT3_PS1_Pi,comdat
.Lfunc_end24:
	.size	_ZN9rocsparseL26bsrgemm_group_reduce_part2ILj256ELj8ELj8EdiiEEvT4_PKT3_PS1_Pi, .Lfunc_end24-_ZN9rocsparseL26bsrgemm_group_reduce_part2ILj256ELj8ELj8EdiiEEvT4_PKT3_PS1_Pi
                                        ; -- End function
	.section	.AMDGPU.csdata,"",@progbits
; Kernel info:
; codeLenInByte = 1940
; NumSgprs: 20
; NumVgprs: 21
; ScratchSize: 0
; MemoryBound: 0
; FloatMode: 240
; IeeeMode: 1
; LDSByteSize: 8192 bytes/workgroup (compile time only)
; SGPRBlocks: 2
; VGPRBlocks: 2
; NumSGPRsForWavesPerEU: 20
; NumVGPRsForWavesPerEU: 21
; Occupancy: 16
; WaveLimiterHint : 0
; COMPUTE_PGM_RSRC2:SCRATCH_EN: 0
; COMPUTE_PGM_RSRC2:USER_SGPR: 15
; COMPUTE_PGM_RSRC2:TRAP_HANDLER: 0
; COMPUTE_PGM_RSRC2:TGID_X_EN: 1
; COMPUTE_PGM_RSRC2:TGID_Y_EN: 0
; COMPUTE_PGM_RSRC2:TGID_Z_EN: 0
; COMPUTE_PGM_RSRC2:TIDIG_COMP_CNT: 0
	.section	.text._ZN9rocsparseL27bsrgemm_fill_wf_per_row_2x2ILj256ELj16ELj8ELj137EiidEEv20rocsparse_direction_T4_S2_PKS2_S4_NS_24const_host_device_scalarIT5_EEPKT3_S4_PKS6_SA_S4_SC_S7_SA_S4_SC_SA_PS2_PS6_21rocsparse_index_base_SF_SF_SF_bbb,"axG",@progbits,_ZN9rocsparseL27bsrgemm_fill_wf_per_row_2x2ILj256ELj16ELj8ELj137EiidEEv20rocsparse_direction_T4_S2_PKS2_S4_NS_24const_host_device_scalarIT5_EEPKT3_S4_PKS6_SA_S4_SC_S7_SA_S4_SC_SA_PS2_PS6_21rocsparse_index_base_SF_SF_SF_bbb,comdat
	.globl	_ZN9rocsparseL27bsrgemm_fill_wf_per_row_2x2ILj256ELj16ELj8ELj137EiidEEv20rocsparse_direction_T4_S2_PKS2_S4_NS_24const_host_device_scalarIT5_EEPKT3_S4_PKS6_SA_S4_SC_S7_SA_S4_SC_SA_PS2_PS6_21rocsparse_index_base_SF_SF_SF_bbb ; -- Begin function _ZN9rocsparseL27bsrgemm_fill_wf_per_row_2x2ILj256ELj16ELj8ELj137EiidEEv20rocsparse_direction_T4_S2_PKS2_S4_NS_24const_host_device_scalarIT5_EEPKT3_S4_PKS6_SA_S4_SC_S7_SA_S4_SC_SA_PS2_PS6_21rocsparse_index_base_SF_SF_SF_bbb
	.p2align	8
	.type	_ZN9rocsparseL27bsrgemm_fill_wf_per_row_2x2ILj256ELj16ELj8ELj137EiidEEv20rocsparse_direction_T4_S2_PKS2_S4_NS_24const_host_device_scalarIT5_EEPKT3_S4_PKS6_SA_S4_SC_S7_SA_S4_SC_SA_PS2_PS6_21rocsparse_index_base_SF_SF_SF_bbb,@function
_ZN9rocsparseL27bsrgemm_fill_wf_per_row_2x2ILj256ELj16ELj8ELj137EiidEEv20rocsparse_direction_T4_S2_PKS2_S4_NS_24const_host_device_scalarIT5_EEPKT3_S4_PKS6_SA_S4_SC_S7_SA_S4_SC_SA_PS2_PS6_21rocsparse_index_base_SF_SF_SF_bbb: ; @_ZN9rocsparseL27bsrgemm_fill_wf_per_row_2x2ILj256ELj16ELj8ELj137EiidEEv20rocsparse_direction_T4_S2_PKS2_S4_NS_24const_host_device_scalarIT5_EEPKT3_S4_PKS6_SA_S4_SC_S7_SA_S4_SC_SA_PS2_PS6_21rocsparse_index_base_SF_SF_SF_bbb
; %bb.0:
	s_clause 0x2
	s_load_b32 s6, s[0:1], 0xa0
	s_load_b64 s[4:5], s[0:1], 0x20
	s_load_b64 s[2:3], s[0:1], 0x58
	s_waitcnt lgkmcnt(0)
	s_and_b32 s8, 1, s6
	s_bitcmp1_b32 s6, 16
	s_cselect_b32 s7, -1, 0
	s_cmp_eq_u32 s8, 1
	s_cselect_b32 s13, -1, 0
	s_delay_alu instid0(SALU_CYCLE_1)
	s_and_b32 s8, s13, exec_lo
	s_cselect_b32 s9, s5, 0
	s_cselect_b32 s8, s4, 0
	s_xor_b32 s10, s13, -1
	v_dual_mov_b32 v5, s8 :: v_dual_mov_b32 v6, s9
	s_or_b32 s10, s10, s7
	s_delay_alu instid0(SALU_CYCLE_1)
	s_and_b32 vcc_lo, exec_lo, s10
	s_cbranch_vccnz .LBB25_2
; %bb.1:
	v_dual_mov_b32 v1, s4 :: v_dual_mov_b32 v2, s5
	flat_load_b64 v[5:6], v[1:2]
.LBB25_2:
	s_load_b128 s[36:39], s[0:1], 0x90
	s_bitcmp1_b32 s6, 8
	s_cselect_b32 s12, -1, 0
	s_delay_alu instid0(SALU_CYCLE_1)
	s_and_b32 s4, s12, exec_lo
	s_cselect_b32 s5, s3, 0
	s_cselect_b32 s4, s2, 0
	s_xor_b32 s6, s12, -1
	v_dual_mov_b32 v1, s4 :: v_dual_mov_b32 v2, s5
	s_or_b32 s6, s6, s7
	s_delay_alu instid0(SALU_CYCLE_1)
	s_and_b32 vcc_lo, exec_lo, s6
	s_cbranch_vccnz .LBB25_4
; %bb.3:
	v_dual_mov_b32 v1, s2 :: v_dual_mov_b32 v2, s3
	flat_load_b64 v[1:2], v[1:2]
.LBB25_4:
	s_clause 0x4
	s_load_b128 s[40:43], s[0:1], 0x80
	s_load_b256 s[16:23], s[0:1], 0x60
	s_load_b128 s[44:47], s[0:1], 0x48
	s_load_b256 s[4:11], s[0:1], 0x0
	s_load_b256 s[24:31], s[0:1], 0x28
	v_lshrrev_b32_e32 v7, 4, v0
	v_and_b32_e32 v0, 15, v0
	s_delay_alu instid0(VALU_DEP_2) | instskip(NEXT) | instid1(VALU_DEP_2)
	v_lshl_or_b32 v29, v7, 5, 0x1000
	v_cmp_gt_u32_e64 s0, 8, v0
	s_delay_alu instid0(VALU_DEP_1)
	s_and_saveexec_b32 s1, s0
	s_cbranch_execz .LBB25_6
; %bb.5:
	s_delay_alu instid0(VALU_DEP_2)
	v_lshl_add_u32 v3, v0, 2, v29
	s_waitcnt lgkmcnt(0)
	v_mov_b32_e32 v4, s6
	ds_store_b32 v3, v4
.LBB25_6:
	s_or_b32 exec_lo, exec_lo, s1
	v_dual_mov_b32 v3, 0 :: v_dual_lshlrev_b32 v4, 3, v0
	v_or_b32_e32 v8, -16, v0
	s_mov_b32 s1, 0
	s_delay_alu instid0(VALU_DEP_2) | instskip(NEXT) | instid1(VALU_DEP_3)
	v_lshl_or_b32 v9, v7, 8, v4
	v_mov_b32_e32 v4, v3
.LBB25_7:                               ; =>This Inner Loop Header: Depth=1
	s_delay_alu instid0(VALU_DEP_3) | instskip(NEXT) | instid1(VALU_DEP_1)
	v_add_co_u32 v8, s2, v8, 16
	s_xor_b32 s2, s2, -1
	ds_store_b64 v9, v[3:4]
	v_add_nc_u32_e32 v9, 0x80, v9
	s_and_b32 s2, exec_lo, s2
	s_delay_alu instid0(SALU_CYCLE_1) | instskip(NEXT) | instid1(SALU_CYCLE_1)
	s_or_b32 s1, s2, s1
	s_and_not1_b32 exec_lo, exec_lo, s1
	s_cbranch_execnz .LBB25_7
; %bb.8:
	s_or_b32 exec_lo, exec_lo, s1
	v_lshl_or_b32 v3, s15, 4, v7
	s_waitcnt vmcnt(0) lgkmcnt(0)
	s_barrier
	buffer_gl0_inv
	s_mov_b32 s1, exec_lo
	v_cmpx_gt_i32_e64 s5, v3
	s_cbranch_execz .LBB25_14
; %bb.9:
	s_cmp_eq_u64 s[10:11], 0
	s_cbranch_scc1 .LBB25_11
; %bb.10:
	s_load_b32 s1, s[8:9], 0x0
	s_waitcnt lgkmcnt(0)
	v_add_nc_u32_e32 v3, s1, v3
	s_delay_alu instid0(VALU_DEP_1) | instskip(NEXT) | instid1(VALU_DEP_1)
	v_ashrrev_i32_e32 v4, 31, v3
	v_lshlrev_b64 v[3:4], 2, v[3:4]
	s_delay_alu instid0(VALU_DEP_1) | instskip(NEXT) | instid1(VALU_DEP_2)
	v_add_co_u32 v3, vcc_lo, s10, v3
	v_add_co_ci_u32_e32 v4, vcc_lo, s11, v4, vcc_lo
	global_load_b32 v3, v[3:4], off
.LBB25_11:
	v_lshlrev_b32_e32 v30, 8, v7
	s_waitcnt vmcnt(0)
	v_ashrrev_i32_e32 v4, 31, v3
	s_and_not1_b32 vcc_lo, exec_lo, s13
	s_cbranch_vccz .LBB25_15
; %bb.12:
	s_and_not1_b32 vcc_lo, exec_lo, s12
	buffer_gl0_inv
	s_cbranch_vccz .LBB25_86
.LBB25_13:
	buffer_gl0_inv
	s_and_b32 exec_lo, exec_lo, s0
	s_cbranch_execnz .LBB25_154
.LBB25_14:
	s_endpgm
.LBB25_15:
	s_delay_alu instid0(VALU_DEP_1) | instskip(SKIP_2) | instid1(VALU_DEP_2)
	v_lshlrev_b64 v[7:8], 2, v[3:4]
	v_subrev_nc_u32_e32 v9, s36, v0
	s_mov_b32 s1, exec_lo
	v_add_co_u32 v7, vcc_lo, s24, v7
	s_delay_alu instid0(VALU_DEP_3) | instskip(SKIP_4) | instid1(VALU_DEP_1)
	v_add_co_ci_u32_e32 v8, vcc_lo, s25, v8, vcc_lo
	global_load_b64 v[7:8], v[7:8], off
	s_waitcnt vmcnt(0)
	v_subrev_nc_u32_e32 v31, s36, v8
	v_add_nc_u32_e32 v7, v7, v9
	v_cmpx_lt_i32_e64 v7, v31
	s_cbranch_execz .LBB25_85
; %bb.16:
	v_add_nc_u32_e32 v32, 8, v30
	v_add_nc_u32_e32 v33, 16, v30
	;; [unrolled: 1-line block ×3, first 2 shown]
	s_cmp_eq_u32 s4, 0
	s_mov_b32 s2, 0
	s_cselect_b32 s3, 1, 2
	s_cselect_b32 s5, 2, 1
	s_branch .LBB25_18
.LBB25_17:                              ;   in Loop: Header=BB25_18 Depth=1
	s_or_b32 exec_lo, exec_lo, s7
	v_add_nc_u32_e32 v7, 16, v7
	s_delay_alu instid0(VALU_DEP_1) | instskip(SKIP_1) | instid1(SALU_CYCLE_1)
	v_cmp_ge_i32_e32 vcc_lo, v7, v31
	s_or_b32 s2, vcc_lo, s2
	s_and_not1_b32 exec_lo, exec_lo, s2
	s_cbranch_execz .LBB25_85
.LBB25_18:                              ; =>This Loop Header: Depth=1
                                        ;     Child Loop BB25_21 Depth 2
                                        ;       Child Loop BB25_23 Depth 3
                                        ;         Child Loop BB25_29 Depth 4
                                        ;         Child Loop BB25_35 Depth 4
                                        ;       Child Loop BB25_39 Depth 3
                                        ;         Child Loop BB25_45 Depth 4
                                        ;         Child Loop BB25_51 Depth 4
	;; [unrolled: 3-line block ×4, first 2 shown]
	v_ashrrev_i32_e32 v8, 31, v7
	s_mov_b32 s7, exec_lo
	s_delay_alu instid0(VALU_DEP_1) | instskip(NEXT) | instid1(VALU_DEP_1)
	v_lshlrev_b64 v[8:9], 2, v[7:8]
	v_add_co_u32 v8, vcc_lo, s26, v8
	s_delay_alu instid0(VALU_DEP_2) | instskip(SKIP_3) | instid1(VALU_DEP_1)
	v_add_co_ci_u32_e32 v9, vcc_lo, s27, v9, vcc_lo
	global_load_b32 v8, v[8:9], off
	s_waitcnt vmcnt(0)
	v_subrev_nc_u32_e32 v8, s36, v8
	v_ashrrev_i32_e32 v9, 31, v8
	s_delay_alu instid0(VALU_DEP_1) | instskip(NEXT) | instid1(VALU_DEP_1)
	v_lshlrev_b64 v[8:9], 2, v[8:9]
	v_add_co_u32 v8, vcc_lo, s30, v8
	s_delay_alu instid0(VALU_DEP_2)
	v_add_co_ci_u32_e32 v9, vcc_lo, s31, v9, vcc_lo
	global_load_b64 v[16:17], v[8:9], off
	s_waitcnt vmcnt(0)
	v_cmpx_lt_i32_e64 v16, v17
	s_cbranch_execz .LBB25_17
; %bb.19:                               ;   in Loop: Header=BB25_18 Depth=1
	v_lshlrev_b32_e32 v8, 2, v7
	v_subrev_nc_u32_e32 v35, s37, v17
	v_subrev_nc_u32_e32 v16, s37, v16
	s_mov_b32 s8, 0
	s_delay_alu instid0(VALU_DEP_3) | instskip(SKIP_2) | instid1(VALU_DEP_3)
	v_or_b32_e32 v10, s5, v8
	v_ashrrev_i32_e32 v9, 31, v8
	v_or_b32_e32 v12, s3, v8
	v_ashrrev_i32_e32 v11, 31, v10
	s_delay_alu instid0(VALU_DEP_3) | instskip(NEXT) | instid1(VALU_DEP_3)
	v_lshlrev_b64 v[8:9], 3, v[8:9]
	v_ashrrev_i32_e32 v13, 31, v12
	s_delay_alu instid0(VALU_DEP_3) | instskip(NEXT) | instid1(VALU_DEP_2)
	v_lshlrev_b64 v[10:11], 3, v[10:11]
	v_lshlrev_b64 v[12:13], 3, v[12:13]
	s_delay_alu instid0(VALU_DEP_4) | instskip(SKIP_1) | instid1(VALU_DEP_4)
	v_add_co_u32 v8, vcc_lo, s28, v8
	v_add_co_ci_u32_e32 v9, vcc_lo, s29, v9, vcc_lo
	v_add_co_u32 v10, vcc_lo, s28, v10
	v_add_co_ci_u32_e32 v11, vcc_lo, s29, v11, vcc_lo
	;; [unrolled: 2-line block ×3, first 2 shown]
	s_clause 0x3
	global_load_b64 v[14:15], v[8:9], off offset:24
	global_load_b64 v[10:11], v[10:11], off
	global_load_b64 v[18:19], v[12:13], off
	;; [unrolled: 1-line block ×3, first 2 shown]
	s_waitcnt vmcnt(3)
	v_mul_f64 v[8:9], v[5:6], v[14:15]
	s_waitcnt vmcnt(2)
	v_mul_f64 v[10:11], v[5:6], v[10:11]
	;; [unrolled: 2-line block ×4, first 2 shown]
	s_branch .LBB25_21
.LBB25_20:                              ;   in Loop: Header=BB25_21 Depth=2
	s_or_b32 exec_lo, exec_lo, s9
	v_add_nc_u32_e32 v16, 1, v16
	s_delay_alu instid0(VALU_DEP_1) | instskip(SKIP_1) | instid1(SALU_CYCLE_1)
	v_cmp_ge_i32_e32 vcc_lo, v16, v35
	s_or_b32 s8, vcc_lo, s8
	s_and_not1_b32 exec_lo, exec_lo, s8
	s_cbranch_execz .LBB25_17
.LBB25_21:                              ;   Parent Loop BB25_18 Depth=1
                                        ; =>  This Loop Header: Depth=2
                                        ;       Child Loop BB25_23 Depth 3
                                        ;         Child Loop BB25_29 Depth 4
                                        ;         Child Loop BB25_35 Depth 4
                                        ;       Child Loop BB25_39 Depth 3
                                        ;         Child Loop BB25_45 Depth 4
                                        ;         Child Loop BB25_51 Depth 4
                                        ;       Child Loop BB25_55 Depth 3
                                        ;         Child Loop BB25_61 Depth 4
                                        ;         Child Loop BB25_67 Depth 4
                                        ;       Child Loop BB25_71 Depth 3
                                        ;         Child Loop BB25_77 Depth 4
                                        ;         Child Loop BB25_83 Depth 4
	v_lshlrev_b32_e32 v18, 2, v16
	v_ashrrev_i32_e32 v17, 31, v16
	s_mov_b32 s9, 0
	s_delay_alu instid0(VALU_DEP_2) | instskip(NEXT) | instid1(VALU_DEP_2)
	v_or_b32_e32 v19, s5, v18
	v_lshlrev_b64 v[25:26], 2, v[16:17]
	v_or_b32_e32 v17, s3, v18
	s_delay_alu instid0(VALU_DEP_3) | instskip(NEXT) | instid1(VALU_DEP_1)
	v_ashrrev_i32_e32 v20, 31, v19
	v_lshlrev_b64 v[19:20], 3, v[19:20]
	s_delay_alu instid0(VALU_DEP_1) | instskip(NEXT) | instid1(VALU_DEP_2)
	v_add_co_u32 v19, vcc_lo, s46, v19
	v_add_co_ci_u32_e32 v20, vcc_lo, s47, v20, vcc_lo
	global_load_b64 v[21:22], v[19:20], off
	v_ashrrev_i32_e32 v19, 31, v18
	s_delay_alu instid0(VALU_DEP_1) | instskip(SKIP_1) | instid1(VALU_DEP_1)
	v_lshlrev_b64 v[19:20], 3, v[18:19]
	v_ashrrev_i32_e32 v18, 31, v17
	v_lshlrev_b64 v[17:18], 3, v[17:18]
	s_delay_alu instid0(VALU_DEP_3) | instskip(NEXT) | instid1(VALU_DEP_4)
	v_add_co_u32 v19, vcc_lo, s46, v19
	v_add_co_ci_u32_e32 v20, vcc_lo, s47, v20, vcc_lo
	v_add_co_u32 v25, vcc_lo, s44, v25
	v_add_co_ci_u32_e32 v26, vcc_lo, s45, v26, vcc_lo
	global_load_b64 v[23:24], v[19:20], off
	v_add_co_u32 v17, vcc_lo, s46, v17
	global_load_b32 v27, v[25:26], off
	v_add_co_ci_u32_e32 v18, vcc_lo, s47, v18, vcc_lo
	s_clause 0x1
	global_load_b64 v[17:18], v[17:18], off
	global_load_b64 v[19:20], v[19:20], off offset:24
	s_waitcnt vmcnt(4)
	v_mul_f64 v[25:26], v[14:15], v[21:22]
	s_waitcnt vmcnt(2)
	v_subrev_nc_u32_e32 v36, s37, v27
	s_delay_alu instid0(VALU_DEP_1) | instskip(NEXT) | instid1(VALU_DEP_1)
	v_and_b32_e32 v37, 7, v36
	v_mov_b32_e32 v38, v37
	s_delay_alu instid0(VALU_DEP_4)
	v_fma_f64 v[25:26], v[12:13], v[23:24], v[25:26]
	s_branch .LBB25_23
.LBB25_22:                              ;   in Loop: Header=BB25_23 Depth=3
	s_or_b32 exec_lo, exec_lo, s10
	s_xor_b32 s10, s11, -1
	s_delay_alu instid0(SALU_CYCLE_1) | instskip(NEXT) | instid1(SALU_CYCLE_1)
	s_and_b32 s10, exec_lo, s10
	s_or_b32 s9, s10, s9
	s_delay_alu instid0(SALU_CYCLE_1)
	s_and_not1_b32 exec_lo, exec_lo, s9
	s_cbranch_execz .LBB25_37
.LBB25_23:                              ;   Parent Loop BB25_18 Depth=1
                                        ;     Parent Loop BB25_21 Depth=2
                                        ; =>    This Loop Header: Depth=3
                                        ;         Child Loop BB25_29 Depth 4
                                        ;         Child Loop BB25_35 Depth 4
	s_delay_alu instid0(VALU_DEP_2)
	v_lshl_add_u32 v27, v38, 2, v29
	s_mov_b32 s10, exec_lo
                                        ; implicit-def: $sgpr11
	ds_load_b32 v28, v27
	s_waitcnt lgkmcnt(0)
	v_cmpx_ne_u32_e64 v28, v36
	s_xor_b32 s10, exec_lo, s10
	s_cbranch_execz .LBB25_33
; %bb.24:                               ;   in Loop: Header=BB25_23 Depth=3
	s_mov_b32 s13, exec_lo
                                        ; implicit-def: $sgpr11
	v_cmpx_ne_u32_e64 s6, v28
	s_xor_b32 s13, exec_lo, s13
; %bb.25:                               ;   in Loop: Header=BB25_23 Depth=3
	v_add_nc_u32_e32 v27, 1, v38
	s_mov_b32 s11, -1
	s_delay_alu instid0(VALU_DEP_1)
	v_and_b32_e32 v38, 7, v27
                                        ; implicit-def: $vgpr27
; %bb.26:                               ;   in Loop: Header=BB25_23 Depth=3
	s_and_not1_saveexec_b32 s13, s13
	s_cbranch_execz .LBB25_32
; %bb.27:                               ;   in Loop: Header=BB25_23 Depth=3
	v_mov_b32_e32 v28, s6
	s_mov_b32 s15, -1
	s_mov_b32 s14, exec_lo
	ds_cmpstore_rtn_b32 v27, v27, v36, v28
	s_waitcnt lgkmcnt(0)
	v_cmpx_eq_u32_e64 s6, v27
	s_cbranch_execz .LBB25_31
; %bb.28:                               ;   in Loop: Header=BB25_23 Depth=3
	v_lshlrev_b32_e32 v27, 5, v38
	s_mov_b32 s15, 0
	s_delay_alu instid0(VALU_DEP_1)
	v_add_nc_u32_e32 v39, v30, v27
	ds_load_b64 v[27:28], v39
.LBB25_29:                              ;   Parent Loop BB25_18 Depth=1
                                        ;     Parent Loop BB25_21 Depth=2
                                        ;       Parent Loop BB25_23 Depth=3
                                        ; =>      This Inner Loop Header: Depth=4
	s_waitcnt lgkmcnt(0)
	v_add_f64 v[40:41], v[27:28], v[25:26]
	ds_cmpstore_rtn_b64 v[40:41], v39, v[40:41], v[27:28]
	s_waitcnt lgkmcnt(0)
	v_cmp_eq_u64_e32 vcc_lo, v[40:41], v[27:28]
	v_dual_mov_b32 v27, v40 :: v_dual_mov_b32 v28, v41
	s_or_b32 s15, vcc_lo, s15
	s_delay_alu instid0(SALU_CYCLE_1)
	s_and_not1_b32 exec_lo, exec_lo, s15
	s_cbranch_execnz .LBB25_29
; %bb.30:                               ;   in Loop: Header=BB25_23 Depth=3
	s_or_b32 exec_lo, exec_lo, s15
	s_delay_alu instid0(SALU_CYCLE_1)
	s_xor_b32 s15, exec_lo, -1
.LBB25_31:                              ;   in Loop: Header=BB25_23 Depth=3
	s_or_b32 exec_lo, exec_lo, s14
	s_delay_alu instid0(SALU_CYCLE_1) | instskip(SKIP_1) | instid1(SALU_CYCLE_1)
	s_and_not1_b32 s11, s11, exec_lo
	s_and_b32 s14, s15, exec_lo
	s_or_b32 s11, s11, s14
.LBB25_32:                              ;   in Loop: Header=BB25_23 Depth=3
	s_or_b32 exec_lo, exec_lo, s13
	s_delay_alu instid0(SALU_CYCLE_1)
	s_and_b32 s11, s11, exec_lo
.LBB25_33:                              ;   in Loop: Header=BB25_23 Depth=3
	s_and_not1_saveexec_b32 s10, s10
	s_cbranch_execz .LBB25_22
; %bb.34:                               ;   in Loop: Header=BB25_23 Depth=3
	v_lshlrev_b32_e32 v27, 5, v38
	s_mov_b32 s13, 0
	s_delay_alu instid0(VALU_DEP_1)
	v_add_nc_u32_e32 v39, v30, v27
	ds_load_b64 v[27:28], v39
.LBB25_35:                              ;   Parent Loop BB25_18 Depth=1
                                        ;     Parent Loop BB25_21 Depth=2
                                        ;       Parent Loop BB25_23 Depth=3
                                        ; =>      This Inner Loop Header: Depth=4
	s_waitcnt lgkmcnt(0)
	v_add_f64 v[40:41], v[27:28], v[25:26]
	ds_cmpstore_rtn_b64 v[40:41], v39, v[40:41], v[27:28]
	s_waitcnt lgkmcnt(0)
	v_cmp_eq_u64_e32 vcc_lo, v[40:41], v[27:28]
	v_dual_mov_b32 v27, v40 :: v_dual_mov_b32 v28, v41
	s_or_b32 s13, vcc_lo, s13
	s_delay_alu instid0(SALU_CYCLE_1)
	s_and_not1_b32 exec_lo, exec_lo, s13
	s_cbranch_execnz .LBB25_35
; %bb.36:                               ;   in Loop: Header=BB25_23 Depth=3
	s_or_b32 exec_lo, exec_lo, s13
	s_delay_alu instid0(SALU_CYCLE_1)
	s_and_not1_b32 s11, s11, exec_lo
	s_branch .LBB25_22
.LBB25_37:                              ;   in Loop: Header=BB25_21 Depth=2
	s_or_b32 exec_lo, exec_lo, s9
	s_waitcnt vmcnt(0)
	v_mul_f64 v[25:26], v[14:15], v[19:20]
	v_mov_b32_e32 v38, v37
	s_mov_b32 s9, 0
	s_delay_alu instid0(VALU_DEP_2)
	v_fma_f64 v[25:26], v[12:13], v[17:18], v[25:26]
	s_branch .LBB25_39
.LBB25_38:                              ;   in Loop: Header=BB25_39 Depth=3
	s_or_b32 exec_lo, exec_lo, s10
	s_xor_b32 s10, s11, -1
	s_delay_alu instid0(SALU_CYCLE_1) | instskip(NEXT) | instid1(SALU_CYCLE_1)
	s_and_b32 s10, exec_lo, s10
	s_or_b32 s9, s10, s9
	s_delay_alu instid0(SALU_CYCLE_1)
	s_and_not1_b32 exec_lo, exec_lo, s9
	s_cbranch_execz .LBB25_53
.LBB25_39:                              ;   Parent Loop BB25_18 Depth=1
                                        ;     Parent Loop BB25_21 Depth=2
                                        ; =>    This Loop Header: Depth=3
                                        ;         Child Loop BB25_45 Depth 4
                                        ;         Child Loop BB25_51 Depth 4
	s_delay_alu instid0(VALU_DEP_2)
	v_lshl_add_u32 v27, v38, 2, v29
	s_mov_b32 s10, exec_lo
                                        ; implicit-def: $sgpr11
	ds_load_b32 v28, v27
	s_waitcnt lgkmcnt(0)
	v_cmpx_ne_u32_e64 v28, v36
	s_xor_b32 s10, exec_lo, s10
	s_cbranch_execz .LBB25_49
; %bb.40:                               ;   in Loop: Header=BB25_39 Depth=3
	s_mov_b32 s13, exec_lo
                                        ; implicit-def: $sgpr11
	v_cmpx_ne_u32_e64 s6, v28
	s_xor_b32 s13, exec_lo, s13
; %bb.41:                               ;   in Loop: Header=BB25_39 Depth=3
	v_add_nc_u32_e32 v27, 1, v38
	s_mov_b32 s11, -1
	s_delay_alu instid0(VALU_DEP_1)
	v_and_b32_e32 v38, 7, v27
                                        ; implicit-def: $vgpr27
; %bb.42:                               ;   in Loop: Header=BB25_39 Depth=3
	s_and_not1_saveexec_b32 s13, s13
	s_cbranch_execz .LBB25_48
; %bb.43:                               ;   in Loop: Header=BB25_39 Depth=3
	v_mov_b32_e32 v28, s6
	s_mov_b32 s15, -1
	s_mov_b32 s14, exec_lo
	ds_cmpstore_rtn_b32 v27, v27, v36, v28
	s_waitcnt lgkmcnt(0)
	v_cmpx_eq_u32_e64 s6, v27
	s_cbranch_execz .LBB25_47
; %bb.44:                               ;   in Loop: Header=BB25_39 Depth=3
	v_lshl_add_u32 v39, v38, 5, v32
	s_mov_b32 s15, 0
	ds_load_b64 v[27:28], v39
.LBB25_45:                              ;   Parent Loop BB25_18 Depth=1
                                        ;     Parent Loop BB25_21 Depth=2
                                        ;       Parent Loop BB25_39 Depth=3
                                        ; =>      This Inner Loop Header: Depth=4
	s_waitcnt lgkmcnt(0)
	v_add_f64 v[40:41], v[27:28], v[25:26]
	ds_cmpstore_rtn_b64 v[40:41], v39, v[40:41], v[27:28]
	s_waitcnt lgkmcnt(0)
	v_cmp_eq_u64_e32 vcc_lo, v[40:41], v[27:28]
	v_dual_mov_b32 v27, v40 :: v_dual_mov_b32 v28, v41
	s_or_b32 s15, vcc_lo, s15
	s_delay_alu instid0(SALU_CYCLE_1)
	s_and_not1_b32 exec_lo, exec_lo, s15
	s_cbranch_execnz .LBB25_45
; %bb.46:                               ;   in Loop: Header=BB25_39 Depth=3
	s_or_b32 exec_lo, exec_lo, s15
	s_delay_alu instid0(SALU_CYCLE_1)
	s_xor_b32 s15, exec_lo, -1
.LBB25_47:                              ;   in Loop: Header=BB25_39 Depth=3
	s_or_b32 exec_lo, exec_lo, s14
	s_delay_alu instid0(SALU_CYCLE_1) | instskip(SKIP_1) | instid1(SALU_CYCLE_1)
	s_and_not1_b32 s11, s11, exec_lo
	s_and_b32 s14, s15, exec_lo
	s_or_b32 s11, s11, s14
.LBB25_48:                              ;   in Loop: Header=BB25_39 Depth=3
	s_or_b32 exec_lo, exec_lo, s13
	s_delay_alu instid0(SALU_CYCLE_1)
	s_and_b32 s11, s11, exec_lo
.LBB25_49:                              ;   in Loop: Header=BB25_39 Depth=3
	s_and_not1_saveexec_b32 s10, s10
	s_cbranch_execz .LBB25_38
; %bb.50:                               ;   in Loop: Header=BB25_39 Depth=3
	v_lshl_add_u32 v39, v38, 5, v32
	s_mov_b32 s13, 0
	ds_load_b64 v[27:28], v39
.LBB25_51:                              ;   Parent Loop BB25_18 Depth=1
                                        ;     Parent Loop BB25_21 Depth=2
                                        ;       Parent Loop BB25_39 Depth=3
                                        ; =>      This Inner Loop Header: Depth=4
	s_waitcnt lgkmcnt(0)
	v_add_f64 v[40:41], v[27:28], v[25:26]
	ds_cmpstore_rtn_b64 v[40:41], v39, v[40:41], v[27:28]
	s_waitcnt lgkmcnt(0)
	v_cmp_eq_u64_e32 vcc_lo, v[40:41], v[27:28]
	v_dual_mov_b32 v27, v40 :: v_dual_mov_b32 v28, v41
	s_or_b32 s13, vcc_lo, s13
	s_delay_alu instid0(SALU_CYCLE_1)
	s_and_not1_b32 exec_lo, exec_lo, s13
	s_cbranch_execnz .LBB25_51
; %bb.52:                               ;   in Loop: Header=BB25_39 Depth=3
	s_or_b32 exec_lo, exec_lo, s13
	s_delay_alu instid0(SALU_CYCLE_1)
	s_and_not1_b32 s11, s11, exec_lo
	s_branch .LBB25_38
.LBB25_53:                              ;   in Loop: Header=BB25_21 Depth=2
	s_or_b32 exec_lo, exec_lo, s9
	v_mul_f64 v[21:22], v[8:9], v[21:22]
	v_mov_b32_e32 v25, v37
	s_mov_b32 s9, 0
	s_delay_alu instid0(VALU_DEP_2)
	v_fma_f64 v[21:22], v[10:11], v[23:24], v[21:22]
	s_branch .LBB25_55
.LBB25_54:                              ;   in Loop: Header=BB25_55 Depth=3
	s_or_b32 exec_lo, exec_lo, s10
	s_xor_b32 s10, s11, -1
	s_delay_alu instid0(SALU_CYCLE_1) | instskip(NEXT) | instid1(SALU_CYCLE_1)
	s_and_b32 s10, exec_lo, s10
	s_or_b32 s9, s10, s9
	s_delay_alu instid0(SALU_CYCLE_1)
	s_and_not1_b32 exec_lo, exec_lo, s9
	s_cbranch_execz .LBB25_69
.LBB25_55:                              ;   Parent Loop BB25_18 Depth=1
                                        ;     Parent Loop BB25_21 Depth=2
                                        ; =>    This Loop Header: Depth=3
                                        ;         Child Loop BB25_61 Depth 4
                                        ;         Child Loop BB25_67 Depth 4
	s_delay_alu instid0(VALU_DEP_2)
	v_lshl_add_u32 v23, v25, 2, v29
	s_mov_b32 s10, exec_lo
                                        ; implicit-def: $sgpr11
	ds_load_b32 v24, v23
	s_waitcnt lgkmcnt(0)
	v_cmpx_ne_u32_e64 v24, v36
	s_xor_b32 s10, exec_lo, s10
	s_cbranch_execz .LBB25_65
; %bb.56:                               ;   in Loop: Header=BB25_55 Depth=3
	s_mov_b32 s13, exec_lo
                                        ; implicit-def: $sgpr11
	v_cmpx_ne_u32_e64 s6, v24
	s_xor_b32 s13, exec_lo, s13
; %bb.57:                               ;   in Loop: Header=BB25_55 Depth=3
	v_add_nc_u32_e32 v23, 1, v25
	s_mov_b32 s11, -1
	s_delay_alu instid0(VALU_DEP_1)
	v_and_b32_e32 v25, 7, v23
                                        ; implicit-def: $vgpr23
; %bb.58:                               ;   in Loop: Header=BB25_55 Depth=3
	s_and_not1_saveexec_b32 s13, s13
	s_cbranch_execz .LBB25_64
; %bb.59:                               ;   in Loop: Header=BB25_55 Depth=3
	v_mov_b32_e32 v24, s6
	s_mov_b32 s15, -1
	s_mov_b32 s14, exec_lo
	ds_cmpstore_rtn_b32 v23, v23, v36, v24
	s_waitcnt lgkmcnt(0)
	v_cmpx_eq_u32_e64 s6, v23
	s_cbranch_execz .LBB25_63
; %bb.60:                               ;   in Loop: Header=BB25_55 Depth=3
	v_lshl_add_u32 v26, v25, 5, v33
	s_mov_b32 s15, 0
	ds_load_b64 v[23:24], v26
.LBB25_61:                              ;   Parent Loop BB25_18 Depth=1
                                        ;     Parent Loop BB25_21 Depth=2
                                        ;       Parent Loop BB25_55 Depth=3
                                        ; =>      This Inner Loop Header: Depth=4
	s_waitcnt lgkmcnt(0)
	v_add_f64 v[27:28], v[23:24], v[21:22]
	ds_cmpstore_rtn_b64 v[27:28], v26, v[27:28], v[23:24]
	s_waitcnt lgkmcnt(0)
	v_cmp_eq_u64_e32 vcc_lo, v[27:28], v[23:24]
	v_dual_mov_b32 v23, v27 :: v_dual_mov_b32 v24, v28
	s_or_b32 s15, vcc_lo, s15
	s_delay_alu instid0(SALU_CYCLE_1)
	s_and_not1_b32 exec_lo, exec_lo, s15
	s_cbranch_execnz .LBB25_61
; %bb.62:                               ;   in Loop: Header=BB25_55 Depth=3
	s_or_b32 exec_lo, exec_lo, s15
	s_delay_alu instid0(SALU_CYCLE_1)
	s_xor_b32 s15, exec_lo, -1
.LBB25_63:                              ;   in Loop: Header=BB25_55 Depth=3
	s_or_b32 exec_lo, exec_lo, s14
	s_delay_alu instid0(SALU_CYCLE_1) | instskip(SKIP_1) | instid1(SALU_CYCLE_1)
	s_and_not1_b32 s11, s11, exec_lo
	s_and_b32 s14, s15, exec_lo
	s_or_b32 s11, s11, s14
.LBB25_64:                              ;   in Loop: Header=BB25_55 Depth=3
	s_or_b32 exec_lo, exec_lo, s13
	s_delay_alu instid0(SALU_CYCLE_1)
	s_and_b32 s11, s11, exec_lo
.LBB25_65:                              ;   in Loop: Header=BB25_55 Depth=3
	s_and_not1_saveexec_b32 s10, s10
	s_cbranch_execz .LBB25_54
; %bb.66:                               ;   in Loop: Header=BB25_55 Depth=3
	v_lshl_add_u32 v26, v25, 5, v33
	s_mov_b32 s13, 0
	ds_load_b64 v[23:24], v26
.LBB25_67:                              ;   Parent Loop BB25_18 Depth=1
                                        ;     Parent Loop BB25_21 Depth=2
                                        ;       Parent Loop BB25_55 Depth=3
                                        ; =>      This Inner Loop Header: Depth=4
	s_waitcnt lgkmcnt(0)
	v_add_f64 v[27:28], v[23:24], v[21:22]
	ds_cmpstore_rtn_b64 v[27:28], v26, v[27:28], v[23:24]
	s_waitcnt lgkmcnt(0)
	v_cmp_eq_u64_e32 vcc_lo, v[27:28], v[23:24]
	v_dual_mov_b32 v23, v27 :: v_dual_mov_b32 v24, v28
	s_or_b32 s13, vcc_lo, s13
	s_delay_alu instid0(SALU_CYCLE_1)
	s_and_not1_b32 exec_lo, exec_lo, s13
	s_cbranch_execnz .LBB25_67
; %bb.68:                               ;   in Loop: Header=BB25_55 Depth=3
	s_or_b32 exec_lo, exec_lo, s13
	s_delay_alu instid0(SALU_CYCLE_1)
	s_and_not1_b32 s11, s11, exec_lo
	s_branch .LBB25_54
.LBB25_69:                              ;   in Loop: Header=BB25_21 Depth=2
	s_or_b32 exec_lo, exec_lo, s9
	v_mul_f64 v[19:20], v[8:9], v[19:20]
	s_mov_b32 s9, 0
	s_delay_alu instid0(VALU_DEP_1)
	v_fma_f64 v[17:18], v[10:11], v[17:18], v[19:20]
	s_branch .LBB25_71
.LBB25_70:                              ;   in Loop: Header=BB25_71 Depth=3
	s_or_b32 exec_lo, exec_lo, s10
	s_xor_b32 s10, s11, -1
	s_delay_alu instid0(SALU_CYCLE_1) | instskip(NEXT) | instid1(SALU_CYCLE_1)
	s_and_b32 s10, exec_lo, s10
	s_or_b32 s9, s10, s9
	s_delay_alu instid0(SALU_CYCLE_1)
	s_and_not1_b32 exec_lo, exec_lo, s9
	s_cbranch_execz .LBB25_20
.LBB25_71:                              ;   Parent Loop BB25_18 Depth=1
                                        ;     Parent Loop BB25_21 Depth=2
                                        ; =>    This Loop Header: Depth=3
                                        ;         Child Loop BB25_77 Depth 4
                                        ;         Child Loop BB25_83 Depth 4
	v_lshl_add_u32 v19, v37, 2, v29
	s_mov_b32 s10, exec_lo
                                        ; implicit-def: $sgpr11
	ds_load_b32 v20, v19
	s_waitcnt lgkmcnt(0)
	v_cmpx_ne_u32_e64 v20, v36
	s_xor_b32 s10, exec_lo, s10
	s_cbranch_execz .LBB25_81
; %bb.72:                               ;   in Loop: Header=BB25_71 Depth=3
	s_mov_b32 s13, exec_lo
                                        ; implicit-def: $sgpr11
	v_cmpx_ne_u32_e64 s6, v20
	s_xor_b32 s13, exec_lo, s13
; %bb.73:                               ;   in Loop: Header=BB25_71 Depth=3
	v_add_nc_u32_e32 v19, 1, v37
	s_mov_b32 s11, -1
	s_delay_alu instid0(VALU_DEP_1)
	v_and_b32_e32 v37, 7, v19
                                        ; implicit-def: $vgpr19
; %bb.74:                               ;   in Loop: Header=BB25_71 Depth=3
	s_and_not1_saveexec_b32 s13, s13
	s_cbranch_execz .LBB25_80
; %bb.75:                               ;   in Loop: Header=BB25_71 Depth=3
	v_mov_b32_e32 v20, s6
	s_mov_b32 s15, -1
	s_mov_b32 s14, exec_lo
	ds_cmpstore_rtn_b32 v19, v19, v36, v20
	s_waitcnt lgkmcnt(0)
	v_cmpx_eq_u32_e64 s6, v19
	s_cbranch_execz .LBB25_79
; %bb.76:                               ;   in Loop: Header=BB25_71 Depth=3
	v_lshl_add_u32 v21, v37, 5, v34
	s_mov_b32 s15, 0
	ds_load_b64 v[19:20], v21
.LBB25_77:                              ;   Parent Loop BB25_18 Depth=1
                                        ;     Parent Loop BB25_21 Depth=2
                                        ;       Parent Loop BB25_71 Depth=3
                                        ; =>      This Inner Loop Header: Depth=4
	s_waitcnt lgkmcnt(0)
	v_add_f64 v[22:23], v[19:20], v[17:18]
	ds_cmpstore_rtn_b64 v[22:23], v21, v[22:23], v[19:20]
	s_waitcnt lgkmcnt(0)
	v_cmp_eq_u64_e32 vcc_lo, v[22:23], v[19:20]
	v_dual_mov_b32 v19, v22 :: v_dual_mov_b32 v20, v23
	s_or_b32 s15, vcc_lo, s15
	s_delay_alu instid0(SALU_CYCLE_1)
	s_and_not1_b32 exec_lo, exec_lo, s15
	s_cbranch_execnz .LBB25_77
; %bb.78:                               ;   in Loop: Header=BB25_71 Depth=3
	s_or_b32 exec_lo, exec_lo, s15
	s_delay_alu instid0(SALU_CYCLE_1)
	s_xor_b32 s15, exec_lo, -1
.LBB25_79:                              ;   in Loop: Header=BB25_71 Depth=3
	s_or_b32 exec_lo, exec_lo, s14
	s_delay_alu instid0(SALU_CYCLE_1) | instskip(SKIP_1) | instid1(SALU_CYCLE_1)
	s_and_not1_b32 s11, s11, exec_lo
	s_and_b32 s14, s15, exec_lo
	s_or_b32 s11, s11, s14
.LBB25_80:                              ;   in Loop: Header=BB25_71 Depth=3
	s_or_b32 exec_lo, exec_lo, s13
	s_delay_alu instid0(SALU_CYCLE_1)
	s_and_b32 s11, s11, exec_lo
.LBB25_81:                              ;   in Loop: Header=BB25_71 Depth=3
	s_and_not1_saveexec_b32 s10, s10
	s_cbranch_execz .LBB25_70
; %bb.82:                               ;   in Loop: Header=BB25_71 Depth=3
	v_lshl_add_u32 v21, v37, 5, v34
	s_mov_b32 s13, 0
	ds_load_b64 v[19:20], v21
.LBB25_83:                              ;   Parent Loop BB25_18 Depth=1
                                        ;     Parent Loop BB25_21 Depth=2
                                        ;       Parent Loop BB25_71 Depth=3
                                        ; =>      This Inner Loop Header: Depth=4
	s_waitcnt lgkmcnt(0)
	v_add_f64 v[22:23], v[19:20], v[17:18]
	ds_cmpstore_rtn_b64 v[22:23], v21, v[22:23], v[19:20]
	s_waitcnt lgkmcnt(0)
	v_cmp_eq_u64_e32 vcc_lo, v[22:23], v[19:20]
	v_dual_mov_b32 v19, v22 :: v_dual_mov_b32 v20, v23
	s_or_b32 s13, vcc_lo, s13
	s_delay_alu instid0(SALU_CYCLE_1)
	s_and_not1_b32 exec_lo, exec_lo, s13
	s_cbranch_execnz .LBB25_83
; %bb.84:                               ;   in Loop: Header=BB25_71 Depth=3
	s_or_b32 exec_lo, exec_lo, s13
	s_delay_alu instid0(SALU_CYCLE_1)
	s_and_not1_b32 s11, s11, exec_lo
	s_branch .LBB25_70
.LBB25_85:
	s_or_b32 exec_lo, exec_lo, s1
	s_delay_alu instid0(SALU_CYCLE_1)
	s_and_not1_b32 vcc_lo, exec_lo, s12
	buffer_gl0_inv
	s_cbranch_vccnz .LBB25_13
.LBB25_86:
	v_lshlrev_b64 v[5:6], 2, v[3:4]
	v_subrev_nc_u32_e32 v7, s39, v0
	s_mov_b32 s1, exec_lo
	s_delay_alu instid0(VALU_DEP_2) | instskip(NEXT) | instid1(VALU_DEP_3)
	v_add_co_u32 v5, vcc_lo, s16, v5
	v_add_co_ci_u32_e32 v6, vcc_lo, s17, v6, vcc_lo
	global_load_b64 v[5:6], v[5:6], off
	s_waitcnt vmcnt(0)
	v_subrev_nc_u32_e32 v16, s39, v6
	v_add_nc_u32_e32 v5, v5, v7
	s_delay_alu instid0(VALU_DEP_1)
	v_cmpx_lt_i32_e64 v5, v16
	s_cbranch_execz .LBB25_153
; %bb.87:
	v_add_nc_u32_e32 v17, 8, v30
	v_add_nc_u32_e32 v18, 16, v30
	;; [unrolled: 1-line block ×3, first 2 shown]
	s_cmp_eq_u32 s4, 0
	s_mov_b32 s2, 0
	s_cselect_b32 s3, 1, 2
	s_cselect_b32 s5, 2, 1
	s_branch .LBB25_89
.LBB25_88:                              ;   in Loop: Header=BB25_89 Depth=1
	s_or_b32 exec_lo, exec_lo, s7
	v_add_nc_u32_e32 v5, 16, v5
	s_delay_alu instid0(VALU_DEP_1) | instskip(SKIP_1) | instid1(SALU_CYCLE_1)
	v_cmp_ge_i32_e32 vcc_lo, v5, v16
	s_or_b32 s2, vcc_lo, s2
	s_and_not1_b32 exec_lo, exec_lo, s2
	s_cbranch_execz .LBB25_153
.LBB25_89:                              ; =>This Loop Header: Depth=1
                                        ;     Child Loop BB25_91 Depth 2
                                        ;       Child Loop BB25_97 Depth 3
                                        ;       Child Loop BB25_103 Depth 3
                                        ;     Child Loop BB25_107 Depth 2
                                        ;       Child Loop BB25_113 Depth 3
                                        ;       Child Loop BB25_119 Depth 3
	;; [unrolled: 3-line block ×4, first 2 shown]
	v_lshlrev_b32_e32 v7, 2, v5
	v_ashrrev_i32_e32 v6, 31, v5
	s_mov_b32 s7, 0
	s_delay_alu instid0(VALU_DEP_2) | instskip(NEXT) | instid1(VALU_DEP_2)
	v_ashrrev_i32_e32 v8, 31, v7
	v_lshlrev_b64 v[10:11], 2, v[5:6]
	s_delay_alu instid0(VALU_DEP_2) | instskip(NEXT) | instid1(VALU_DEP_1)
	v_lshlrev_b64 v[8:9], 3, v[7:8]
	v_add_co_u32 v12, vcc_lo, s20, v8
	s_delay_alu instid0(VALU_DEP_2) | instskip(NEXT) | instid1(VALU_DEP_4)
	v_add_co_ci_u32_e32 v13, vcc_lo, s21, v9, vcc_lo
	v_add_co_u32 v10, vcc_lo, s18, v10
	v_add_co_ci_u32_e32 v11, vcc_lo, s19, v11, vcc_lo
	global_load_b64 v[14:15], v[12:13], off
	global_load_b32 v20, v[10:11], off
	s_waitcnt vmcnt(0)
	v_subrev_nc_u32_e32 v20, s39, v20
	s_delay_alu instid0(VALU_DEP_1) | instskip(NEXT) | instid1(VALU_DEP_1)
	v_and_b32_e32 v21, 7, v20
	v_mov_b32_e32 v22, v21
	v_or_b32_e32 v8, s5, v7
	v_or_b32_e32 v6, s3, v7
	s_delay_alu instid0(VALU_DEP_2) | instskip(NEXT) | instid1(VALU_DEP_2)
	v_ashrrev_i32_e32 v9, 31, v8
	v_ashrrev_i32_e32 v7, 31, v6
	s_delay_alu instid0(VALU_DEP_2) | instskip(NEXT) | instid1(VALU_DEP_2)
	v_lshlrev_b64 v[8:9], 3, v[8:9]
	v_lshlrev_b64 v[6:7], 3, v[6:7]
	s_delay_alu instid0(VALU_DEP_2) | instskip(NEXT) | instid1(VALU_DEP_3)
	v_add_co_u32 v8, vcc_lo, s20, v8
	v_add_co_ci_u32_e32 v9, vcc_lo, s21, v9, vcc_lo
	s_delay_alu instid0(VALU_DEP_3) | instskip(NEXT) | instid1(VALU_DEP_4)
	v_add_co_u32 v6, vcc_lo, s20, v6
	v_add_co_ci_u32_e32 v7, vcc_lo, s21, v7, vcc_lo
	s_clause 0x2
	global_load_b64 v[8:9], v[8:9], off
	global_load_b64 v[10:11], v[6:7], off
	global_load_b64 v[6:7], v[12:13], off offset:24
	v_mul_f64 v[12:13], v[1:2], v[14:15]
	s_branch .LBB25_91
.LBB25_90:                              ;   in Loop: Header=BB25_91 Depth=2
	s_or_b32 exec_lo, exec_lo, s8
	s_xor_b32 s8, s9, -1
	s_delay_alu instid0(SALU_CYCLE_1) | instskip(NEXT) | instid1(SALU_CYCLE_1)
	s_and_b32 s8, exec_lo, s8
	s_or_b32 s7, s8, s7
	s_delay_alu instid0(SALU_CYCLE_1)
	s_and_not1_b32 exec_lo, exec_lo, s7
	s_cbranch_execz .LBB25_105
.LBB25_91:                              ;   Parent Loop BB25_89 Depth=1
                                        ; =>  This Loop Header: Depth=2
                                        ;       Child Loop BB25_97 Depth 3
                                        ;       Child Loop BB25_103 Depth 3
	v_lshl_add_u32 v14, v22, 2, v29
	s_mov_b32 s8, exec_lo
                                        ; implicit-def: $sgpr9
	ds_load_b32 v15, v14
	s_waitcnt lgkmcnt(0)
	v_cmpx_ne_u32_e64 v15, v20
	s_xor_b32 s8, exec_lo, s8
	s_cbranch_execz .LBB25_101
; %bb.92:                               ;   in Loop: Header=BB25_91 Depth=2
	s_mov_b32 s10, exec_lo
                                        ; implicit-def: $sgpr9
	v_cmpx_ne_u32_e64 s6, v15
	s_xor_b32 s10, exec_lo, s10
; %bb.93:                               ;   in Loop: Header=BB25_91 Depth=2
	v_add_nc_u32_e32 v14, 1, v22
	s_mov_b32 s9, -1
	s_delay_alu instid0(VALU_DEP_1)
	v_and_b32_e32 v22, 7, v14
                                        ; implicit-def: $vgpr14
; %bb.94:                               ;   in Loop: Header=BB25_91 Depth=2
	s_and_not1_saveexec_b32 s10, s10
	s_cbranch_execz .LBB25_100
; %bb.95:                               ;   in Loop: Header=BB25_91 Depth=2
	v_mov_b32_e32 v15, s6
	s_mov_b32 s12, -1
	s_mov_b32 s11, exec_lo
	ds_cmpstore_rtn_b32 v14, v14, v20, v15
	s_waitcnt lgkmcnt(0)
	v_cmpx_eq_u32_e64 s6, v14
	s_cbranch_execz .LBB25_99
; %bb.96:                               ;   in Loop: Header=BB25_91 Depth=2
	v_lshlrev_b32_e32 v14, 5, v22
	s_mov_b32 s12, 0
	s_delay_alu instid0(VALU_DEP_1)
	v_add_nc_u32_e32 v23, v30, v14
	ds_load_b64 v[14:15], v23
.LBB25_97:                              ;   Parent Loop BB25_89 Depth=1
                                        ;     Parent Loop BB25_91 Depth=2
                                        ; =>    This Inner Loop Header: Depth=3
	s_waitcnt lgkmcnt(0)
	v_add_f64 v[24:25], v[14:15], v[12:13]
	ds_cmpstore_rtn_b64 v[24:25], v23, v[24:25], v[14:15]
	s_waitcnt lgkmcnt(0)
	v_cmp_eq_u64_e32 vcc_lo, v[24:25], v[14:15]
	v_dual_mov_b32 v14, v24 :: v_dual_mov_b32 v15, v25
	s_or_b32 s12, vcc_lo, s12
	s_delay_alu instid0(SALU_CYCLE_1)
	s_and_not1_b32 exec_lo, exec_lo, s12
	s_cbranch_execnz .LBB25_97
; %bb.98:                               ;   in Loop: Header=BB25_91 Depth=2
	s_or_b32 exec_lo, exec_lo, s12
	s_delay_alu instid0(SALU_CYCLE_1)
	s_xor_b32 s12, exec_lo, -1
.LBB25_99:                              ;   in Loop: Header=BB25_91 Depth=2
	s_or_b32 exec_lo, exec_lo, s11
	s_delay_alu instid0(SALU_CYCLE_1) | instskip(SKIP_1) | instid1(SALU_CYCLE_1)
	s_and_not1_b32 s9, s9, exec_lo
	s_and_b32 s11, s12, exec_lo
	s_or_b32 s9, s9, s11
.LBB25_100:                             ;   in Loop: Header=BB25_91 Depth=2
	s_or_b32 exec_lo, exec_lo, s10
	s_delay_alu instid0(SALU_CYCLE_1)
	s_and_b32 s9, s9, exec_lo
.LBB25_101:                             ;   in Loop: Header=BB25_91 Depth=2
	s_and_not1_saveexec_b32 s8, s8
	s_cbranch_execz .LBB25_90
; %bb.102:                              ;   in Loop: Header=BB25_91 Depth=2
	v_lshlrev_b32_e32 v14, 5, v22
	s_mov_b32 s10, 0
	s_delay_alu instid0(VALU_DEP_1)
	v_add_nc_u32_e32 v23, v30, v14
	ds_load_b64 v[14:15], v23
.LBB25_103:                             ;   Parent Loop BB25_89 Depth=1
                                        ;     Parent Loop BB25_91 Depth=2
                                        ; =>    This Inner Loop Header: Depth=3
	s_waitcnt lgkmcnt(0)
	v_add_f64 v[24:25], v[14:15], v[12:13]
	ds_cmpstore_rtn_b64 v[24:25], v23, v[24:25], v[14:15]
	s_waitcnt lgkmcnt(0)
	v_cmp_eq_u64_e32 vcc_lo, v[24:25], v[14:15]
	v_dual_mov_b32 v14, v24 :: v_dual_mov_b32 v15, v25
	s_or_b32 s10, vcc_lo, s10
	s_delay_alu instid0(SALU_CYCLE_1)
	s_and_not1_b32 exec_lo, exec_lo, s10
	s_cbranch_execnz .LBB25_103
; %bb.104:                              ;   in Loop: Header=BB25_91 Depth=2
	s_or_b32 exec_lo, exec_lo, s10
	s_delay_alu instid0(SALU_CYCLE_1)
	s_and_not1_b32 s9, s9, exec_lo
	s_branch .LBB25_90
.LBB25_105:                             ;   in Loop: Header=BB25_89 Depth=1
	s_or_b32 exec_lo, exec_lo, s7
	s_waitcnt vmcnt(1)
	v_mul_f64 v[10:11], v[1:2], v[10:11]
	v_mov_b32_e32 v14, v21
	s_mov_b32 s7, 0
	s_branch .LBB25_107
.LBB25_106:                             ;   in Loop: Header=BB25_107 Depth=2
	s_or_b32 exec_lo, exec_lo, s8
	s_xor_b32 s8, s9, -1
	s_delay_alu instid0(SALU_CYCLE_1) | instskip(NEXT) | instid1(SALU_CYCLE_1)
	s_and_b32 s8, exec_lo, s8
	s_or_b32 s7, s8, s7
	s_delay_alu instid0(SALU_CYCLE_1)
	s_and_not1_b32 exec_lo, exec_lo, s7
	s_cbranch_execz .LBB25_121
.LBB25_107:                             ;   Parent Loop BB25_89 Depth=1
                                        ; =>  This Loop Header: Depth=2
                                        ;       Child Loop BB25_113 Depth 3
                                        ;       Child Loop BB25_119 Depth 3
	s_delay_alu instid0(VALU_DEP_1)
	v_lshl_add_u32 v12, v14, 2, v29
	s_mov_b32 s8, exec_lo
                                        ; implicit-def: $sgpr9
	ds_load_b32 v13, v12
	s_waitcnt lgkmcnt(0)
	v_cmpx_ne_u32_e64 v13, v20
	s_xor_b32 s8, exec_lo, s8
	s_cbranch_execz .LBB25_117
; %bb.108:                              ;   in Loop: Header=BB25_107 Depth=2
	s_mov_b32 s10, exec_lo
                                        ; implicit-def: $sgpr9
	v_cmpx_ne_u32_e64 s6, v13
	s_xor_b32 s10, exec_lo, s10
; %bb.109:                              ;   in Loop: Header=BB25_107 Depth=2
	v_add_nc_u32_e32 v12, 1, v14
	s_mov_b32 s9, -1
	s_delay_alu instid0(VALU_DEP_1)
	v_and_b32_e32 v14, 7, v12
                                        ; implicit-def: $vgpr12
; %bb.110:                              ;   in Loop: Header=BB25_107 Depth=2
	s_and_not1_saveexec_b32 s10, s10
	s_cbranch_execz .LBB25_116
; %bb.111:                              ;   in Loop: Header=BB25_107 Depth=2
	v_mov_b32_e32 v13, s6
	s_mov_b32 s12, -1
	s_mov_b32 s11, exec_lo
	ds_cmpstore_rtn_b32 v12, v12, v20, v13
	s_waitcnt lgkmcnt(0)
	v_cmpx_eq_u32_e64 s6, v12
	s_cbranch_execz .LBB25_115
; %bb.112:                              ;   in Loop: Header=BB25_107 Depth=2
	v_lshl_add_u32 v15, v14, 5, v17
	s_mov_b32 s12, 0
	ds_load_b64 v[12:13], v15
.LBB25_113:                             ;   Parent Loop BB25_89 Depth=1
                                        ;     Parent Loop BB25_107 Depth=2
                                        ; =>    This Inner Loop Header: Depth=3
	s_waitcnt lgkmcnt(0)
	v_add_f64 v[22:23], v[12:13], v[10:11]
	ds_cmpstore_rtn_b64 v[22:23], v15, v[22:23], v[12:13]
	s_waitcnt lgkmcnt(0)
	v_cmp_eq_u64_e32 vcc_lo, v[22:23], v[12:13]
	v_dual_mov_b32 v12, v22 :: v_dual_mov_b32 v13, v23
	s_or_b32 s12, vcc_lo, s12
	s_delay_alu instid0(SALU_CYCLE_1)
	s_and_not1_b32 exec_lo, exec_lo, s12
	s_cbranch_execnz .LBB25_113
; %bb.114:                              ;   in Loop: Header=BB25_107 Depth=2
	s_or_b32 exec_lo, exec_lo, s12
	s_delay_alu instid0(SALU_CYCLE_1)
	s_xor_b32 s12, exec_lo, -1
.LBB25_115:                             ;   in Loop: Header=BB25_107 Depth=2
	s_or_b32 exec_lo, exec_lo, s11
	s_delay_alu instid0(SALU_CYCLE_1) | instskip(SKIP_1) | instid1(SALU_CYCLE_1)
	s_and_not1_b32 s9, s9, exec_lo
	s_and_b32 s11, s12, exec_lo
	s_or_b32 s9, s9, s11
.LBB25_116:                             ;   in Loop: Header=BB25_107 Depth=2
	s_or_b32 exec_lo, exec_lo, s10
	s_delay_alu instid0(SALU_CYCLE_1)
	s_and_b32 s9, s9, exec_lo
.LBB25_117:                             ;   in Loop: Header=BB25_107 Depth=2
	s_and_not1_saveexec_b32 s8, s8
	s_cbranch_execz .LBB25_106
; %bb.118:                              ;   in Loop: Header=BB25_107 Depth=2
	v_lshl_add_u32 v15, v14, 5, v17
	s_mov_b32 s10, 0
	ds_load_b64 v[12:13], v15
.LBB25_119:                             ;   Parent Loop BB25_89 Depth=1
                                        ;     Parent Loop BB25_107 Depth=2
                                        ; =>    This Inner Loop Header: Depth=3
	s_waitcnt lgkmcnt(0)
	v_add_f64 v[22:23], v[12:13], v[10:11]
	ds_cmpstore_rtn_b64 v[22:23], v15, v[22:23], v[12:13]
	s_waitcnt lgkmcnt(0)
	v_cmp_eq_u64_e32 vcc_lo, v[22:23], v[12:13]
	v_dual_mov_b32 v12, v22 :: v_dual_mov_b32 v13, v23
	s_or_b32 s10, vcc_lo, s10
	s_delay_alu instid0(SALU_CYCLE_1)
	s_and_not1_b32 exec_lo, exec_lo, s10
	s_cbranch_execnz .LBB25_119
; %bb.120:                              ;   in Loop: Header=BB25_107 Depth=2
	s_or_b32 exec_lo, exec_lo, s10
	s_delay_alu instid0(SALU_CYCLE_1)
	s_and_not1_b32 s9, s9, exec_lo
	s_branch .LBB25_106
.LBB25_121:                             ;   in Loop: Header=BB25_89 Depth=1
	s_or_b32 exec_lo, exec_lo, s7
	v_mul_f64 v[8:9], v[1:2], v[8:9]
	v_mov_b32_e32 v12, v21
	s_mov_b32 s7, 0
	s_branch .LBB25_123
.LBB25_122:                             ;   in Loop: Header=BB25_123 Depth=2
	s_or_b32 exec_lo, exec_lo, s8
	s_xor_b32 s8, s9, -1
	s_delay_alu instid0(SALU_CYCLE_1) | instskip(NEXT) | instid1(SALU_CYCLE_1)
	s_and_b32 s8, exec_lo, s8
	s_or_b32 s7, s8, s7
	s_delay_alu instid0(SALU_CYCLE_1)
	s_and_not1_b32 exec_lo, exec_lo, s7
	s_cbranch_execz .LBB25_137
.LBB25_123:                             ;   Parent Loop BB25_89 Depth=1
                                        ; =>  This Loop Header: Depth=2
                                        ;       Child Loop BB25_129 Depth 3
                                        ;       Child Loop BB25_135 Depth 3
	s_delay_alu instid0(VALU_DEP_1)
	v_lshl_add_u32 v10, v12, 2, v29
	s_mov_b32 s8, exec_lo
                                        ; implicit-def: $sgpr9
	ds_load_b32 v11, v10
	s_waitcnt lgkmcnt(0)
	v_cmpx_ne_u32_e64 v11, v20
	s_xor_b32 s8, exec_lo, s8
	s_cbranch_execz .LBB25_133
; %bb.124:                              ;   in Loop: Header=BB25_123 Depth=2
	s_mov_b32 s10, exec_lo
                                        ; implicit-def: $sgpr9
	v_cmpx_ne_u32_e64 s6, v11
	s_xor_b32 s10, exec_lo, s10
; %bb.125:                              ;   in Loop: Header=BB25_123 Depth=2
	v_add_nc_u32_e32 v10, 1, v12
	s_mov_b32 s9, -1
	s_delay_alu instid0(VALU_DEP_1)
	v_and_b32_e32 v12, 7, v10
                                        ; implicit-def: $vgpr10
; %bb.126:                              ;   in Loop: Header=BB25_123 Depth=2
	s_and_not1_saveexec_b32 s10, s10
	s_cbranch_execz .LBB25_132
; %bb.127:                              ;   in Loop: Header=BB25_123 Depth=2
	v_mov_b32_e32 v11, s6
	s_mov_b32 s12, -1
	s_mov_b32 s11, exec_lo
	ds_cmpstore_rtn_b32 v10, v10, v20, v11
	s_waitcnt lgkmcnt(0)
	v_cmpx_eq_u32_e64 s6, v10
	s_cbranch_execz .LBB25_131
; %bb.128:                              ;   in Loop: Header=BB25_123 Depth=2
	v_lshl_add_u32 v13, v12, 5, v18
	s_mov_b32 s12, 0
	ds_load_b64 v[10:11], v13
.LBB25_129:                             ;   Parent Loop BB25_89 Depth=1
                                        ;     Parent Loop BB25_123 Depth=2
                                        ; =>    This Inner Loop Header: Depth=3
	s_waitcnt lgkmcnt(0)
	v_add_f64 v[14:15], v[10:11], v[8:9]
	ds_cmpstore_rtn_b64 v[14:15], v13, v[14:15], v[10:11]
	s_waitcnt lgkmcnt(0)
	v_cmp_eq_u64_e32 vcc_lo, v[14:15], v[10:11]
	v_dual_mov_b32 v10, v14 :: v_dual_mov_b32 v11, v15
	s_or_b32 s12, vcc_lo, s12
	s_delay_alu instid0(SALU_CYCLE_1)
	s_and_not1_b32 exec_lo, exec_lo, s12
	s_cbranch_execnz .LBB25_129
; %bb.130:                              ;   in Loop: Header=BB25_123 Depth=2
	s_or_b32 exec_lo, exec_lo, s12
	s_delay_alu instid0(SALU_CYCLE_1)
	s_xor_b32 s12, exec_lo, -1
.LBB25_131:                             ;   in Loop: Header=BB25_123 Depth=2
	s_or_b32 exec_lo, exec_lo, s11
	s_delay_alu instid0(SALU_CYCLE_1) | instskip(SKIP_1) | instid1(SALU_CYCLE_1)
	s_and_not1_b32 s9, s9, exec_lo
	s_and_b32 s11, s12, exec_lo
	s_or_b32 s9, s9, s11
.LBB25_132:                             ;   in Loop: Header=BB25_123 Depth=2
	s_or_b32 exec_lo, exec_lo, s10
	s_delay_alu instid0(SALU_CYCLE_1)
	s_and_b32 s9, s9, exec_lo
.LBB25_133:                             ;   in Loop: Header=BB25_123 Depth=2
	s_and_not1_saveexec_b32 s8, s8
	s_cbranch_execz .LBB25_122
; %bb.134:                              ;   in Loop: Header=BB25_123 Depth=2
	v_lshl_add_u32 v13, v12, 5, v18
	s_mov_b32 s10, 0
	ds_load_b64 v[10:11], v13
.LBB25_135:                             ;   Parent Loop BB25_89 Depth=1
                                        ;     Parent Loop BB25_123 Depth=2
                                        ; =>    This Inner Loop Header: Depth=3
	s_waitcnt lgkmcnt(0)
	v_add_f64 v[14:15], v[10:11], v[8:9]
	ds_cmpstore_rtn_b64 v[14:15], v13, v[14:15], v[10:11]
	s_waitcnt lgkmcnt(0)
	v_cmp_eq_u64_e32 vcc_lo, v[14:15], v[10:11]
	v_dual_mov_b32 v10, v14 :: v_dual_mov_b32 v11, v15
	s_or_b32 s10, vcc_lo, s10
	s_delay_alu instid0(SALU_CYCLE_1)
	s_and_not1_b32 exec_lo, exec_lo, s10
	s_cbranch_execnz .LBB25_135
; %bb.136:                              ;   in Loop: Header=BB25_123 Depth=2
	s_or_b32 exec_lo, exec_lo, s10
	s_delay_alu instid0(SALU_CYCLE_1)
	s_and_not1_b32 s9, s9, exec_lo
	s_branch .LBB25_122
.LBB25_137:                             ;   in Loop: Header=BB25_89 Depth=1
	s_or_b32 exec_lo, exec_lo, s7
	s_waitcnt vmcnt(0)
	v_mul_f64 v[6:7], v[1:2], v[6:7]
	s_mov_b32 s7, 0
	s_branch .LBB25_139
.LBB25_138:                             ;   in Loop: Header=BB25_139 Depth=2
	s_or_b32 exec_lo, exec_lo, s8
	s_xor_b32 s8, s9, -1
	s_delay_alu instid0(SALU_CYCLE_1) | instskip(NEXT) | instid1(SALU_CYCLE_1)
	s_and_b32 s8, exec_lo, s8
	s_or_b32 s7, s8, s7
	s_delay_alu instid0(SALU_CYCLE_1)
	s_and_not1_b32 exec_lo, exec_lo, s7
	s_cbranch_execz .LBB25_88
.LBB25_139:                             ;   Parent Loop BB25_89 Depth=1
                                        ; =>  This Loop Header: Depth=2
                                        ;       Child Loop BB25_145 Depth 3
                                        ;       Child Loop BB25_151 Depth 3
	v_lshl_add_u32 v8, v21, 2, v29
	s_mov_b32 s8, exec_lo
                                        ; implicit-def: $sgpr9
	ds_load_b32 v9, v8
	s_waitcnt lgkmcnt(0)
	v_cmpx_ne_u32_e64 v9, v20
	s_xor_b32 s8, exec_lo, s8
	s_cbranch_execz .LBB25_149
; %bb.140:                              ;   in Loop: Header=BB25_139 Depth=2
	s_mov_b32 s10, exec_lo
                                        ; implicit-def: $sgpr9
	v_cmpx_ne_u32_e64 s6, v9
	s_xor_b32 s10, exec_lo, s10
; %bb.141:                              ;   in Loop: Header=BB25_139 Depth=2
	v_add_nc_u32_e32 v8, 1, v21
	s_mov_b32 s9, -1
	s_delay_alu instid0(VALU_DEP_1)
	v_and_b32_e32 v21, 7, v8
                                        ; implicit-def: $vgpr8
; %bb.142:                              ;   in Loop: Header=BB25_139 Depth=2
	s_and_not1_saveexec_b32 s10, s10
	s_cbranch_execz .LBB25_148
; %bb.143:                              ;   in Loop: Header=BB25_139 Depth=2
	v_mov_b32_e32 v9, s6
	s_mov_b32 s12, -1
	s_mov_b32 s11, exec_lo
	ds_cmpstore_rtn_b32 v8, v8, v20, v9
	s_waitcnt lgkmcnt(0)
	v_cmpx_eq_u32_e64 s6, v8
	s_cbranch_execz .LBB25_147
; %bb.144:                              ;   in Loop: Header=BB25_139 Depth=2
	v_lshl_add_u32 v10, v21, 5, v19
	s_mov_b32 s12, 0
	ds_load_b64 v[8:9], v10
.LBB25_145:                             ;   Parent Loop BB25_89 Depth=1
                                        ;     Parent Loop BB25_139 Depth=2
                                        ; =>    This Inner Loop Header: Depth=3
	s_waitcnt lgkmcnt(0)
	v_add_f64 v[11:12], v[8:9], v[6:7]
	ds_cmpstore_rtn_b64 v[11:12], v10, v[11:12], v[8:9]
	s_waitcnt lgkmcnt(0)
	v_cmp_eq_u64_e32 vcc_lo, v[11:12], v[8:9]
	v_dual_mov_b32 v8, v11 :: v_dual_mov_b32 v9, v12
	s_or_b32 s12, vcc_lo, s12
	s_delay_alu instid0(SALU_CYCLE_1)
	s_and_not1_b32 exec_lo, exec_lo, s12
	s_cbranch_execnz .LBB25_145
; %bb.146:                              ;   in Loop: Header=BB25_139 Depth=2
	s_or_b32 exec_lo, exec_lo, s12
	s_delay_alu instid0(SALU_CYCLE_1)
	s_xor_b32 s12, exec_lo, -1
.LBB25_147:                             ;   in Loop: Header=BB25_139 Depth=2
	s_or_b32 exec_lo, exec_lo, s11
	s_delay_alu instid0(SALU_CYCLE_1) | instskip(SKIP_1) | instid1(SALU_CYCLE_1)
	s_and_not1_b32 s9, s9, exec_lo
	s_and_b32 s11, s12, exec_lo
	s_or_b32 s9, s9, s11
.LBB25_148:                             ;   in Loop: Header=BB25_139 Depth=2
	s_or_b32 exec_lo, exec_lo, s10
	s_delay_alu instid0(SALU_CYCLE_1)
	s_and_b32 s9, s9, exec_lo
.LBB25_149:                             ;   in Loop: Header=BB25_139 Depth=2
	s_and_not1_saveexec_b32 s8, s8
	s_cbranch_execz .LBB25_138
; %bb.150:                              ;   in Loop: Header=BB25_139 Depth=2
	v_lshl_add_u32 v10, v21, 5, v19
	s_mov_b32 s10, 0
	ds_load_b64 v[8:9], v10
.LBB25_151:                             ;   Parent Loop BB25_89 Depth=1
                                        ;     Parent Loop BB25_139 Depth=2
                                        ; =>    This Inner Loop Header: Depth=3
	s_waitcnt lgkmcnt(0)
	v_add_f64 v[11:12], v[8:9], v[6:7]
	ds_cmpstore_rtn_b64 v[11:12], v10, v[11:12], v[8:9]
	s_waitcnt lgkmcnt(0)
	v_cmp_eq_u64_e32 vcc_lo, v[11:12], v[8:9]
	v_dual_mov_b32 v8, v11 :: v_dual_mov_b32 v9, v12
	s_or_b32 s10, vcc_lo, s10
	s_delay_alu instid0(SALU_CYCLE_1)
	s_and_not1_b32 exec_lo, exec_lo, s10
	s_cbranch_execnz .LBB25_151
; %bb.152:                              ;   in Loop: Header=BB25_139 Depth=2
	s_or_b32 exec_lo, exec_lo, s10
	s_delay_alu instid0(SALU_CYCLE_1)
	s_and_not1_b32 s9, s9, exec_lo
	s_branch .LBB25_138
.LBB25_153:
	s_or_b32 exec_lo, exec_lo, s1
	buffer_gl0_inv
	s_and_b32 exec_lo, exec_lo, s0
	s_cbranch_execz .LBB25_14
.LBB25_154:
	v_lshl_add_u32 v1, v0, 2, v29
	ds_load_b32 v1, v1
	s_waitcnt lgkmcnt(0)
	v_cmp_gt_i32_e32 vcc_lo, s6, v1
	s_and_b32 exec_lo, exec_lo, vcc_lo
	s_cbranch_execz .LBB25_14
; %bb.155:
	v_lshlrev_b64 v[2:3], 2, v[3:4]
	v_lshl_add_u32 v10, v0, 5, v30
	s_cmp_eq_u32 s4, 0
	s_cselect_b32 s0, 1, 2
	s_cselect_b32 s1, 2, 1
	s_delay_alu instid0(VALU_DEP_2)
	v_add_co_u32 v2, vcc_lo, s22, v2
	v_add_co_ci_u32_e32 v3, vcc_lo, s23, v3, vcc_lo
	global_load_b32 v14, v[2:3], off
	ds_load_b128 v[2:5], v29
	ds_load_b128 v[6:9], v29 offset:16
	ds_load_2addr_b64 v[10:13], v10 offset1:3
	v_lshlrev_b32_e32 v0, 2, v0
	s_waitcnt lgkmcnt(2)
	v_cmp_gt_i32_e32 vcc_lo, v1, v2
	v_cndmask_b32_e64 v2, 0, 1, vcc_lo
	v_cmp_gt_i32_e32 vcc_lo, v1, v4
	v_cndmask_b32_e64 v4, 0, 1, vcc_lo
	v_cmp_gt_i32_e32 vcc_lo, v1, v3
	s_waitcnt vmcnt(0)
	v_subrev_nc_u32_e32 v14, s38, v14
	s_delay_alu instid0(VALU_DEP_1)
	v_add_co_ci_u32_e32 v2, vcc_lo, v14, v2, vcc_lo
	s_waitcnt lgkmcnt(1)
	v_cmp_gt_i32_e32 vcc_lo, v1, v6
	v_add_nc_u32_e32 v14, s38, v1
	v_cndmask_b32_e64 v3, 0, 1, vcc_lo
	v_cmp_gt_i32_e32 vcc_lo, v1, v5
	v_add_co_ci_u32_e32 v2, vcc_lo, v2, v4, vcc_lo
	v_cmp_gt_i32_e32 vcc_lo, v1, v8
	v_cndmask_b32_e64 v4, 0, 1, vcc_lo
	v_cmp_gt_i32_e32 vcc_lo, v1, v7
	s_delay_alu instid0(VALU_DEP_4) | instskip(SKIP_2) | instid1(VALU_DEP_3)
	v_add_co_ci_u32_e32 v2, vcc_lo, v2, v3, vcc_lo
	v_or_b32_e32 v3, s0, v0
	v_cmp_gt_i32_e32 vcc_lo, v1, v9
	v_add_co_ci_u32_e32 v6, vcc_lo, v2, v4, vcc_lo
	s_delay_alu instid0(VALU_DEP_3)
	v_lshl_add_u32 v4, v3, 3, v30
	s_waitcnt lgkmcnt(0)
	v_mov_b32_e32 v3, v11
	v_or_b32_e32 v0, s1, v0
	v_lshlrev_b32_e32 v8, 2, v6
	v_mov_b32_e32 v2, v10
	v_ashrrev_i32_e32 v7, 31, v6
	s_delay_alu instid0(VALU_DEP_4) | instskip(SKIP_4) | instid1(VALU_DEP_2)
	v_lshl_add_u32 v0, v0, 3, v30
	ds_load_b64 v[4:5], v4
	ds_load_b64 v[10:11], v0
	v_ashrrev_i32_e32 v9, 31, v8
	v_lshlrev_b64 v[6:7], 2, v[6:7]
	v_lshlrev_b64 v[0:1], 3, v[8:9]
	s_delay_alu instid0(VALU_DEP_2) | instskip(NEXT) | instid1(VALU_DEP_3)
	v_add_co_u32 v6, vcc_lo, s40, v6
	v_add_co_ci_u32_e32 v7, vcc_lo, s41, v7, vcc_lo
	s_delay_alu instid0(VALU_DEP_3) | instskip(NEXT) | instid1(VALU_DEP_4)
	v_add_co_u32 v0, vcc_lo, s42, v0
	v_add_co_ci_u32_e32 v1, vcc_lo, s43, v1, vcc_lo
	global_store_b32 v[6:7], v14, off
	s_waitcnt lgkmcnt(1)
	global_store_b128 v[0:1], v[2:5], off
	s_waitcnt lgkmcnt(0)
	global_store_b128 v[0:1], v[10:13], off offset:16
	s_nop 0
	s_sendmsg sendmsg(MSG_DEALLOC_VGPRS)
	s_endpgm
	.section	.rodata,"a",@progbits
	.p2align	6, 0x0
	.amdhsa_kernel _ZN9rocsparseL27bsrgemm_fill_wf_per_row_2x2ILj256ELj16ELj8ELj137EiidEEv20rocsparse_direction_T4_S2_PKS2_S4_NS_24const_host_device_scalarIT5_EEPKT3_S4_PKS6_SA_S4_SC_S7_SA_S4_SC_SA_PS2_PS6_21rocsparse_index_base_SF_SF_SF_bbb
		.amdhsa_group_segment_fixed_size 4608
		.amdhsa_private_segment_fixed_size 0
		.amdhsa_kernarg_size 164
		.amdhsa_user_sgpr_count 15
		.amdhsa_user_sgpr_dispatch_ptr 0
		.amdhsa_user_sgpr_queue_ptr 0
		.amdhsa_user_sgpr_kernarg_segment_ptr 1
		.amdhsa_user_sgpr_dispatch_id 0
		.amdhsa_user_sgpr_private_segment_size 0
		.amdhsa_wavefront_size32 1
		.amdhsa_uses_dynamic_stack 0
		.amdhsa_enable_private_segment 0
		.amdhsa_system_sgpr_workgroup_id_x 1
		.amdhsa_system_sgpr_workgroup_id_y 0
		.amdhsa_system_sgpr_workgroup_id_z 0
		.amdhsa_system_sgpr_workgroup_info 0
		.amdhsa_system_vgpr_workitem_id 0
		.amdhsa_next_free_vgpr 42
		.amdhsa_next_free_sgpr 48
		.amdhsa_reserve_vcc 1
		.amdhsa_float_round_mode_32 0
		.amdhsa_float_round_mode_16_64 0
		.amdhsa_float_denorm_mode_32 3
		.amdhsa_float_denorm_mode_16_64 3
		.amdhsa_dx10_clamp 1
		.amdhsa_ieee_mode 1
		.amdhsa_fp16_overflow 0
		.amdhsa_workgroup_processor_mode 1
		.amdhsa_memory_ordered 1
		.amdhsa_forward_progress 0
		.amdhsa_shared_vgpr_count 0
		.amdhsa_exception_fp_ieee_invalid_op 0
		.amdhsa_exception_fp_denorm_src 0
		.amdhsa_exception_fp_ieee_div_zero 0
		.amdhsa_exception_fp_ieee_overflow 0
		.amdhsa_exception_fp_ieee_underflow 0
		.amdhsa_exception_fp_ieee_inexact 0
		.amdhsa_exception_int_div_zero 0
	.end_amdhsa_kernel
	.section	.text._ZN9rocsparseL27bsrgemm_fill_wf_per_row_2x2ILj256ELj16ELj8ELj137EiidEEv20rocsparse_direction_T4_S2_PKS2_S4_NS_24const_host_device_scalarIT5_EEPKT3_S4_PKS6_SA_S4_SC_S7_SA_S4_SC_SA_PS2_PS6_21rocsparse_index_base_SF_SF_SF_bbb,"axG",@progbits,_ZN9rocsparseL27bsrgemm_fill_wf_per_row_2x2ILj256ELj16ELj8ELj137EiidEEv20rocsparse_direction_T4_S2_PKS2_S4_NS_24const_host_device_scalarIT5_EEPKT3_S4_PKS6_SA_S4_SC_S7_SA_S4_SC_SA_PS2_PS6_21rocsparse_index_base_SF_SF_SF_bbb,comdat
.Lfunc_end25:
	.size	_ZN9rocsparseL27bsrgemm_fill_wf_per_row_2x2ILj256ELj16ELj8ELj137EiidEEv20rocsparse_direction_T4_S2_PKS2_S4_NS_24const_host_device_scalarIT5_EEPKT3_S4_PKS6_SA_S4_SC_S7_SA_S4_SC_SA_PS2_PS6_21rocsparse_index_base_SF_SF_SF_bbb, .Lfunc_end25-_ZN9rocsparseL27bsrgemm_fill_wf_per_row_2x2ILj256ELj16ELj8ELj137EiidEEv20rocsparse_direction_T4_S2_PKS2_S4_NS_24const_host_device_scalarIT5_EEPKT3_S4_PKS6_SA_S4_SC_S7_SA_S4_SC_SA_PS2_PS6_21rocsparse_index_base_SF_SF_SF_bbb
                                        ; -- End function
	.section	.AMDGPU.csdata,"",@progbits
; Kernel info:
; codeLenInByte = 5116
; NumSgprs: 50
; NumVgprs: 42
; ScratchSize: 0
; MemoryBound: 0
; FloatMode: 240
; IeeeMode: 1
; LDSByteSize: 4608 bytes/workgroup (compile time only)
; SGPRBlocks: 6
; VGPRBlocks: 5
; NumSGPRsForWavesPerEU: 50
; NumVGPRsForWavesPerEU: 42
; Occupancy: 16
; WaveLimiterHint : 1
; COMPUTE_PGM_RSRC2:SCRATCH_EN: 0
; COMPUTE_PGM_RSRC2:USER_SGPR: 15
; COMPUTE_PGM_RSRC2:TRAP_HANDLER: 0
; COMPUTE_PGM_RSRC2:TGID_X_EN: 1
; COMPUTE_PGM_RSRC2:TGID_Y_EN: 0
; COMPUTE_PGM_RSRC2:TGID_Z_EN: 0
; COMPUTE_PGM_RSRC2:TIDIG_COMP_CNT: 0
	.section	.text._ZN9rocsparseL27bsrgemm_fill_wf_per_row_2x2ILj256ELj16ELj16ELj137EiidEEv20rocsparse_direction_T4_S2_PKS2_S4_NS_24const_host_device_scalarIT5_EEPKT3_S4_PKS6_SA_S4_SC_S7_SA_S4_SC_SA_PS2_PS6_21rocsparse_index_base_SF_SF_SF_bbb,"axG",@progbits,_ZN9rocsparseL27bsrgemm_fill_wf_per_row_2x2ILj256ELj16ELj16ELj137EiidEEv20rocsparse_direction_T4_S2_PKS2_S4_NS_24const_host_device_scalarIT5_EEPKT3_S4_PKS6_SA_S4_SC_S7_SA_S4_SC_SA_PS2_PS6_21rocsparse_index_base_SF_SF_SF_bbb,comdat
	.globl	_ZN9rocsparseL27bsrgemm_fill_wf_per_row_2x2ILj256ELj16ELj16ELj137EiidEEv20rocsparse_direction_T4_S2_PKS2_S4_NS_24const_host_device_scalarIT5_EEPKT3_S4_PKS6_SA_S4_SC_S7_SA_S4_SC_SA_PS2_PS6_21rocsparse_index_base_SF_SF_SF_bbb ; -- Begin function _ZN9rocsparseL27bsrgemm_fill_wf_per_row_2x2ILj256ELj16ELj16ELj137EiidEEv20rocsparse_direction_T4_S2_PKS2_S4_NS_24const_host_device_scalarIT5_EEPKT3_S4_PKS6_SA_S4_SC_S7_SA_S4_SC_SA_PS2_PS6_21rocsparse_index_base_SF_SF_SF_bbb
	.p2align	8
	.type	_ZN9rocsparseL27bsrgemm_fill_wf_per_row_2x2ILj256ELj16ELj16ELj137EiidEEv20rocsparse_direction_T4_S2_PKS2_S4_NS_24const_host_device_scalarIT5_EEPKT3_S4_PKS6_SA_S4_SC_S7_SA_S4_SC_SA_PS2_PS6_21rocsparse_index_base_SF_SF_SF_bbb,@function
_ZN9rocsparseL27bsrgemm_fill_wf_per_row_2x2ILj256ELj16ELj16ELj137EiidEEv20rocsparse_direction_T4_S2_PKS2_S4_NS_24const_host_device_scalarIT5_EEPKT3_S4_PKS6_SA_S4_SC_S7_SA_S4_SC_SA_PS2_PS6_21rocsparse_index_base_SF_SF_SF_bbb: ; @_ZN9rocsparseL27bsrgemm_fill_wf_per_row_2x2ILj256ELj16ELj16ELj137EiidEEv20rocsparse_direction_T4_S2_PKS2_S4_NS_24const_host_device_scalarIT5_EEPKT3_S4_PKS6_SA_S4_SC_S7_SA_S4_SC_SA_PS2_PS6_21rocsparse_index_base_SF_SF_SF_bbb
; %bb.0:
	s_clause 0x3
	s_load_b32 s12, s[0:1], 0xa0
	s_load_b64 s[4:5], s[0:1], 0x20
	s_load_b128 s[24:27], s[0:1], 0x90
	s_load_b64 s[2:3], s[0:1], 0x58
	s_waitcnt lgkmcnt(0)
	s_and_b32 s6, 1, s12
	s_bitcmp1_b32 s12, 16
	s_cselect_b32 s14, -1, 0
	s_cmp_eq_u32 s6, 1
	s_cselect_b32 s13, -1, 0
	s_delay_alu instid0(SALU_CYCLE_1)
	s_and_b32 s6, s13, exec_lo
	s_cselect_b32 s7, s5, 0
	s_cselect_b32 s6, s4, 0
	s_xor_b32 s8, s13, -1
	v_dual_mov_b32 v5, s6 :: v_dual_mov_b32 v6, s7
	s_or_b32 s8, s8, s14
	s_delay_alu instid0(SALU_CYCLE_1)
	s_and_b32 vcc_lo, exec_lo, s8
	s_cbranch_vccnz .LBB26_2
; %bb.1:
	v_dual_mov_b32 v1, s4 :: v_dual_mov_b32 v2, s5
	flat_load_b64 v[5:6], v[1:2]
.LBB26_2:
	s_clause 0x4
	s_load_b128 s[28:31], s[0:1], 0x80
	s_load_b256 s[4:11], s[0:1], 0x60
	s_load_b128 s[36:39], s[0:1], 0x48
	s_load_b128 s[40:43], s[0:1], 0x10
	s_load_b256 s[16:23], s[0:1], 0x28
	s_bitcmp1_b32 s12, 8
	s_cselect_b32 s12, -1, 0
	s_delay_alu instid0(SALU_CYCLE_1)
	s_and_b32 s33, s12, exec_lo
	s_cselect_b32 s35, s3, 0
	s_cselect_b32 s34, s2, 0
	s_xor_b32 s33, s12, -1
	v_dual_mov_b32 v1, s34 :: v_dual_mov_b32 v2, s35
	s_or_b32 s14, s33, s14
	s_delay_alu instid0(SALU_CYCLE_1)
	s_and_b32 vcc_lo, exec_lo, s14
	s_cbranch_vccnz .LBB26_4
; %bb.3:
	v_dual_mov_b32 v1, s2 :: v_dual_mov_b32 v2, s3
	flat_load_b64 v[1:2], v[1:2]
.LBB26_4:
	s_load_b128 s[0:3], s[0:1], 0x0
	v_and_b32_e32 v3, 0xf0, v0
	s_waitcnt lgkmcnt(0)
	s_mov_b32 s3, 0
	s_delay_alu instid0(VALU_DEP_1) | instskip(SKIP_3) | instid1(VALU_DEP_2)
	v_lshl_or_b32 v30, v3, 2, 0x2000
	v_mov_b32_e32 v3, 0
	v_and_b32_e32 v29, 15, v0
	v_lshrrev_b32_e32 v0, 4, v0
	v_dual_mov_b32 v9, s2 :: v_dual_lshlrev_b32 v4, 3, v29
	s_delay_alu instid0(VALU_DEP_1)
	v_lshl_or_b32 v8, v0, 9, v4
	v_mov_b32_e32 v4, v3
	v_or_b32_e32 v7, -16, v29
	v_lshl_or_b32 v31, v29, 2, v30
	ds_store_b32 v31, v9
.LBB26_5:                               ; =>This Inner Loop Header: Depth=1
	v_add_nc_u32_e32 v7, 16, v7
	ds_store_b64 v8, v[3:4]
	v_add_nc_u32_e32 v8, 0x80, v8
	v_cmp_lt_u32_e32 vcc_lo, 47, v7
	s_or_b32 s3, vcc_lo, s3
	s_delay_alu instid0(SALU_CYCLE_1)
	s_and_not1_b32 exec_lo, exec_lo, s3
	s_cbranch_execnz .LBB26_5
; %bb.6:
	s_or_b32 exec_lo, exec_lo, s3
	v_lshl_or_b32 v3, s15, 4, v0
	s_waitcnt vmcnt(0) lgkmcnt(0)
	s_barrier
	buffer_gl0_inv
	v_cmp_gt_i32_e32 vcc_lo, s1, v3
	s_and_saveexec_b32 s1, vcc_lo
	s_cbranch_execz .LBB26_152
; %bb.7:
	s_cmp_eq_u64 s[42:43], 0
	s_cbranch_scc1 .LBB26_9
; %bb.8:
	s_load_b32 s1, s[40:41], 0x0
	s_waitcnt lgkmcnt(0)
	v_add_nc_u32_e32 v3, s1, v3
	s_delay_alu instid0(VALU_DEP_1) | instskip(NEXT) | instid1(VALU_DEP_1)
	v_ashrrev_i32_e32 v4, 31, v3
	v_lshlrev_b64 v[3:4], 2, v[3:4]
	s_delay_alu instid0(VALU_DEP_1) | instskip(NEXT) | instid1(VALU_DEP_2)
	v_add_co_u32 v3, vcc_lo, s42, v3
	v_add_co_ci_u32_e32 v4, vcc_lo, s43, v4, vcc_lo
	global_load_b32 v3, v[3:4], off
.LBB26_9:
	s_waitcnt vmcnt(0)
	v_ashrrev_i32_e32 v4, 31, v3
	v_lshlrev_b32_e32 v0, 9, v0
	s_and_not1_b32 vcc_lo, exec_lo, s13
	s_delay_alu instid0(VALU_DEP_2)
	v_lshlrev_b64 v[3:4], 2, v[3:4]
	s_cbranch_vccnz .LBB26_81
; %bb.10:
	s_delay_alu instid0(VALU_DEP_1) | instskip(NEXT) | instid1(VALU_DEP_2)
	v_add_co_u32 v7, vcc_lo, s16, v3
	v_add_co_ci_u32_e32 v8, vcc_lo, s17, v4, vcc_lo
	v_subrev_nc_u32_e32 v9, s24, v29
	s_mov_b32 s1, exec_lo
	global_load_b64 v[7:8], v[7:8], off
	s_waitcnt vmcnt(0)
	v_subrev_nc_u32_e32 v32, s24, v8
	v_add_nc_u32_e32 v7, v7, v9
	s_delay_alu instid0(VALU_DEP_1)
	v_cmpx_lt_i32_e64 v7, v32
	s_cbranch_execz .LBB26_80
; %bb.11:
	v_add_nc_u32_e32 v33, 8, v0
	v_add_nc_u32_e32 v34, 16, v0
	;; [unrolled: 1-line block ×3, first 2 shown]
	s_cmp_eq_u32 s0, 0
	s_mov_b32 s3, 0
	s_cselect_b32 s13, 1, 2
	s_cselect_b32 s14, 2, 1
	s_branch .LBB26_13
.LBB26_12:                              ;   in Loop: Header=BB26_13 Depth=1
	s_or_b32 exec_lo, exec_lo, s15
	v_add_nc_u32_e32 v7, 16, v7
	s_delay_alu instid0(VALU_DEP_1) | instskip(SKIP_1) | instid1(SALU_CYCLE_1)
	v_cmp_ge_i32_e32 vcc_lo, v7, v32
	s_or_b32 s3, vcc_lo, s3
	s_and_not1_b32 exec_lo, exec_lo, s3
	s_cbranch_execz .LBB26_80
.LBB26_13:                              ; =>This Loop Header: Depth=1
                                        ;     Child Loop BB26_16 Depth 2
                                        ;       Child Loop BB26_18 Depth 3
                                        ;         Child Loop BB26_24 Depth 4
                                        ;         Child Loop BB26_30 Depth 4
                                        ;       Child Loop BB26_34 Depth 3
                                        ;         Child Loop BB26_40 Depth 4
                                        ;         Child Loop BB26_46 Depth 4
	;; [unrolled: 3-line block ×4, first 2 shown]
	v_ashrrev_i32_e32 v8, 31, v7
	s_mov_b32 s15, exec_lo
	s_delay_alu instid0(VALU_DEP_1) | instskip(NEXT) | instid1(VALU_DEP_1)
	v_lshlrev_b64 v[8:9], 2, v[7:8]
	v_add_co_u32 v8, vcc_lo, s18, v8
	s_delay_alu instid0(VALU_DEP_2) | instskip(SKIP_3) | instid1(VALU_DEP_1)
	v_add_co_ci_u32_e32 v9, vcc_lo, s19, v9, vcc_lo
	global_load_b32 v8, v[8:9], off
	s_waitcnt vmcnt(0)
	v_subrev_nc_u32_e32 v8, s24, v8
	v_ashrrev_i32_e32 v9, 31, v8
	s_delay_alu instid0(VALU_DEP_1) | instskip(NEXT) | instid1(VALU_DEP_1)
	v_lshlrev_b64 v[8:9], 2, v[8:9]
	v_add_co_u32 v8, vcc_lo, s22, v8
	s_delay_alu instid0(VALU_DEP_2)
	v_add_co_ci_u32_e32 v9, vcc_lo, s23, v9, vcc_lo
	global_load_b64 v[16:17], v[8:9], off
	s_waitcnt vmcnt(0)
	v_cmpx_lt_i32_e64 v16, v17
	s_cbranch_execz .LBB26_12
; %bb.14:                               ;   in Loop: Header=BB26_13 Depth=1
	v_lshlrev_b32_e32 v8, 2, v7
	v_subrev_nc_u32_e32 v36, s25, v17
	v_subrev_nc_u32_e32 v16, s25, v16
	s_mov_b32 s16, 0
	s_delay_alu instid0(VALU_DEP_3) | instskip(SKIP_2) | instid1(VALU_DEP_3)
	v_or_b32_e32 v10, s14, v8
	v_ashrrev_i32_e32 v9, 31, v8
	v_or_b32_e32 v12, s13, v8
	v_ashrrev_i32_e32 v11, 31, v10
	s_delay_alu instid0(VALU_DEP_3) | instskip(NEXT) | instid1(VALU_DEP_3)
	v_lshlrev_b64 v[8:9], 3, v[8:9]
	v_ashrrev_i32_e32 v13, 31, v12
	s_delay_alu instid0(VALU_DEP_3) | instskip(NEXT) | instid1(VALU_DEP_2)
	v_lshlrev_b64 v[10:11], 3, v[10:11]
	v_lshlrev_b64 v[12:13], 3, v[12:13]
	s_delay_alu instid0(VALU_DEP_4) | instskip(SKIP_1) | instid1(VALU_DEP_4)
	v_add_co_u32 v8, vcc_lo, s20, v8
	v_add_co_ci_u32_e32 v9, vcc_lo, s21, v9, vcc_lo
	v_add_co_u32 v10, vcc_lo, s20, v10
	v_add_co_ci_u32_e32 v11, vcc_lo, s21, v11, vcc_lo
	;; [unrolled: 2-line block ×3, first 2 shown]
	s_clause 0x3
	global_load_b64 v[14:15], v[8:9], off offset:24
	global_load_b64 v[10:11], v[10:11], off
	global_load_b64 v[18:19], v[12:13], off
	;; [unrolled: 1-line block ×3, first 2 shown]
	s_waitcnt vmcnt(3)
	v_mul_f64 v[8:9], v[5:6], v[14:15]
	s_waitcnt vmcnt(2)
	v_mul_f64 v[10:11], v[5:6], v[10:11]
	;; [unrolled: 2-line block ×4, first 2 shown]
	s_branch .LBB26_16
.LBB26_15:                              ;   in Loop: Header=BB26_16 Depth=2
	s_or_b32 exec_lo, exec_lo, s17
	v_add_nc_u32_e32 v16, 1, v16
	s_delay_alu instid0(VALU_DEP_1) | instskip(SKIP_1) | instid1(SALU_CYCLE_1)
	v_cmp_ge_i32_e32 vcc_lo, v16, v36
	s_or_b32 s16, vcc_lo, s16
	s_and_not1_b32 exec_lo, exec_lo, s16
	s_cbranch_execz .LBB26_12
.LBB26_16:                              ;   Parent Loop BB26_13 Depth=1
                                        ; =>  This Loop Header: Depth=2
                                        ;       Child Loop BB26_18 Depth 3
                                        ;         Child Loop BB26_24 Depth 4
                                        ;         Child Loop BB26_30 Depth 4
                                        ;       Child Loop BB26_34 Depth 3
                                        ;         Child Loop BB26_40 Depth 4
                                        ;         Child Loop BB26_46 Depth 4
	;; [unrolled: 3-line block ×4, first 2 shown]
	v_lshlrev_b32_e32 v18, 2, v16
	v_ashrrev_i32_e32 v17, 31, v16
	s_mov_b32 s17, 0
	s_delay_alu instid0(VALU_DEP_2) | instskip(NEXT) | instid1(VALU_DEP_2)
	v_or_b32_e32 v19, s14, v18
	v_lshlrev_b64 v[25:26], 2, v[16:17]
	s_delay_alu instid0(VALU_DEP_2) | instskip(NEXT) | instid1(VALU_DEP_1)
	v_ashrrev_i32_e32 v20, 31, v19
	v_lshlrev_b64 v[19:20], 3, v[19:20]
	s_delay_alu instid0(VALU_DEP_1) | instskip(NEXT) | instid1(VALU_DEP_2)
	v_add_co_u32 v19, vcc_lo, s38, v19
	v_add_co_ci_u32_e32 v20, vcc_lo, s39, v20, vcc_lo
	global_load_b64 v[21:22], v[19:20], off
	v_ashrrev_i32_e32 v19, 31, v18
	s_delay_alu instid0(VALU_DEP_1) | instskip(NEXT) | instid1(VALU_DEP_1)
	v_lshlrev_b64 v[19:20], 3, v[18:19]
	v_add_co_u32 v19, vcc_lo, s38, v19
	s_delay_alu instid0(VALU_DEP_2)
	v_add_co_ci_u32_e32 v20, vcc_lo, s39, v20, vcc_lo
	v_add_co_u32 v25, vcc_lo, s36, v25
	v_add_co_ci_u32_e32 v26, vcc_lo, s37, v26, vcc_lo
	global_load_b64 v[23:24], v[19:20], off
	global_load_b32 v27, v[25:26], off
	s_waitcnt vmcnt(2)
	v_mul_f64 v[25:26], v[14:15], v[21:22]
	s_waitcnt vmcnt(0)
	v_subrev_nc_u32_e32 v37, s25, v27
	s_delay_alu instid0(VALU_DEP_1) | instskip(NEXT) | instid1(VALU_DEP_1)
	v_lshl_add_u32 v27, v37, 3, v37
	v_and_b32_e32 v38, 15, v27
	s_delay_alu instid0(VALU_DEP_1) | instskip(SKIP_2) | instid1(VALU_DEP_2)
	v_mov_b32_e32 v39, v38
	v_or_b32_e32 v17, s13, v18
	v_fma_f64 v[25:26], v[12:13], v[23:24], v[25:26]
	v_ashrrev_i32_e32 v18, 31, v17
	s_delay_alu instid0(VALU_DEP_1) | instskip(NEXT) | instid1(VALU_DEP_1)
	v_lshlrev_b64 v[17:18], 3, v[17:18]
	v_add_co_u32 v17, vcc_lo, s38, v17
	s_delay_alu instid0(VALU_DEP_2)
	v_add_co_ci_u32_e32 v18, vcc_lo, s39, v18, vcc_lo
	s_clause 0x1
	global_load_b64 v[17:18], v[17:18], off
	global_load_b64 v[19:20], v[19:20], off offset:24
	s_branch .LBB26_18
.LBB26_17:                              ;   in Loop: Header=BB26_18 Depth=3
	s_or_b32 exec_lo, exec_lo, s33
	s_xor_b32 s33, s34, -1
	s_delay_alu instid0(SALU_CYCLE_1) | instskip(NEXT) | instid1(SALU_CYCLE_1)
	s_and_b32 s33, exec_lo, s33
	s_or_b32 s17, s33, s17
	s_delay_alu instid0(SALU_CYCLE_1)
	s_and_not1_b32 exec_lo, exec_lo, s17
	s_cbranch_execz .LBB26_32
.LBB26_18:                              ;   Parent Loop BB26_13 Depth=1
                                        ;     Parent Loop BB26_16 Depth=2
                                        ; =>    This Loop Header: Depth=3
                                        ;         Child Loop BB26_24 Depth 4
                                        ;         Child Loop BB26_30 Depth 4
	v_lshl_add_u32 v27, v39, 2, v30
	s_mov_b32 s33, exec_lo
                                        ; implicit-def: $sgpr34
	ds_load_b32 v28, v27
	s_waitcnt lgkmcnt(0)
	v_cmpx_ne_u32_e64 v28, v37
	s_xor_b32 s33, exec_lo, s33
	s_cbranch_execz .LBB26_28
; %bb.19:                               ;   in Loop: Header=BB26_18 Depth=3
	s_mov_b32 s35, exec_lo
                                        ; implicit-def: $sgpr34
	v_cmpx_ne_u32_e64 s2, v28
	s_xor_b32 s35, exec_lo, s35
; %bb.20:                               ;   in Loop: Header=BB26_18 Depth=3
	v_add_nc_u32_e32 v27, 1, v39
	s_mov_b32 s34, -1
	s_delay_alu instid0(VALU_DEP_1)
	v_and_b32_e32 v39, 15, v27
                                        ; implicit-def: $vgpr27
; %bb.21:                               ;   in Loop: Header=BB26_18 Depth=3
	s_and_not1_saveexec_b32 s35, s35
	s_cbranch_execz .LBB26_27
; %bb.22:                               ;   in Loop: Header=BB26_18 Depth=3
	v_mov_b32_e32 v28, s2
	s_mov_b32 s41, -1
	s_mov_b32 s40, exec_lo
	ds_cmpstore_rtn_b32 v27, v27, v37, v28
	s_waitcnt lgkmcnt(0)
	v_cmpx_eq_u32_e64 s2, v27
	s_cbranch_execz .LBB26_26
; %bb.23:                               ;   in Loop: Header=BB26_18 Depth=3
	v_lshlrev_b32_e32 v27, 5, v39
	s_mov_b32 s41, 0
	s_delay_alu instid0(VALU_DEP_1)
	v_add_nc_u32_e32 v40, v0, v27
	ds_load_b64 v[27:28], v40
.LBB26_24:                              ;   Parent Loop BB26_13 Depth=1
                                        ;     Parent Loop BB26_16 Depth=2
                                        ;       Parent Loop BB26_18 Depth=3
                                        ; =>      This Inner Loop Header: Depth=4
	s_waitcnt lgkmcnt(0)
	v_add_f64 v[41:42], v[27:28], v[25:26]
	ds_cmpstore_rtn_b64 v[41:42], v40, v[41:42], v[27:28]
	s_waitcnt lgkmcnt(0)
	v_cmp_eq_u64_e32 vcc_lo, v[41:42], v[27:28]
	v_dual_mov_b32 v27, v41 :: v_dual_mov_b32 v28, v42
	s_or_b32 s41, vcc_lo, s41
	s_delay_alu instid0(SALU_CYCLE_1)
	s_and_not1_b32 exec_lo, exec_lo, s41
	s_cbranch_execnz .LBB26_24
; %bb.25:                               ;   in Loop: Header=BB26_18 Depth=3
	s_or_b32 exec_lo, exec_lo, s41
	s_delay_alu instid0(SALU_CYCLE_1)
	s_xor_b32 s41, exec_lo, -1
.LBB26_26:                              ;   in Loop: Header=BB26_18 Depth=3
	s_or_b32 exec_lo, exec_lo, s40
	s_delay_alu instid0(SALU_CYCLE_1) | instskip(SKIP_1) | instid1(SALU_CYCLE_1)
	s_and_not1_b32 s34, s34, exec_lo
	s_and_b32 s40, s41, exec_lo
	s_or_b32 s34, s34, s40
.LBB26_27:                              ;   in Loop: Header=BB26_18 Depth=3
	s_or_b32 exec_lo, exec_lo, s35
	s_delay_alu instid0(SALU_CYCLE_1)
	s_and_b32 s34, s34, exec_lo
.LBB26_28:                              ;   in Loop: Header=BB26_18 Depth=3
	s_and_not1_saveexec_b32 s33, s33
	s_cbranch_execz .LBB26_17
; %bb.29:                               ;   in Loop: Header=BB26_18 Depth=3
	v_lshlrev_b32_e32 v27, 5, v39
	s_mov_b32 s35, 0
	s_delay_alu instid0(VALU_DEP_1)
	v_add_nc_u32_e32 v40, v0, v27
	ds_load_b64 v[27:28], v40
.LBB26_30:                              ;   Parent Loop BB26_13 Depth=1
                                        ;     Parent Loop BB26_16 Depth=2
                                        ;       Parent Loop BB26_18 Depth=3
                                        ; =>      This Inner Loop Header: Depth=4
	s_waitcnt lgkmcnt(0)
	v_add_f64 v[41:42], v[27:28], v[25:26]
	ds_cmpstore_rtn_b64 v[41:42], v40, v[41:42], v[27:28]
	s_waitcnt lgkmcnt(0)
	v_cmp_eq_u64_e32 vcc_lo, v[41:42], v[27:28]
	v_dual_mov_b32 v27, v41 :: v_dual_mov_b32 v28, v42
	s_or_b32 s35, vcc_lo, s35
	s_delay_alu instid0(SALU_CYCLE_1)
	s_and_not1_b32 exec_lo, exec_lo, s35
	s_cbranch_execnz .LBB26_30
; %bb.31:                               ;   in Loop: Header=BB26_18 Depth=3
	s_or_b32 exec_lo, exec_lo, s35
	s_delay_alu instid0(SALU_CYCLE_1)
	s_and_not1_b32 s34, s34, exec_lo
	s_branch .LBB26_17
.LBB26_32:                              ;   in Loop: Header=BB26_16 Depth=2
	s_or_b32 exec_lo, exec_lo, s17
	s_waitcnt vmcnt(0)
	v_mul_f64 v[25:26], v[14:15], v[19:20]
	v_mov_b32_e32 v39, v38
	s_mov_b32 s17, 0
	s_delay_alu instid0(VALU_DEP_2)
	v_fma_f64 v[25:26], v[12:13], v[17:18], v[25:26]
	s_branch .LBB26_34
.LBB26_33:                              ;   in Loop: Header=BB26_34 Depth=3
	s_or_b32 exec_lo, exec_lo, s33
	s_xor_b32 s33, s34, -1
	s_delay_alu instid0(SALU_CYCLE_1) | instskip(NEXT) | instid1(SALU_CYCLE_1)
	s_and_b32 s33, exec_lo, s33
	s_or_b32 s17, s33, s17
	s_delay_alu instid0(SALU_CYCLE_1)
	s_and_not1_b32 exec_lo, exec_lo, s17
	s_cbranch_execz .LBB26_48
.LBB26_34:                              ;   Parent Loop BB26_13 Depth=1
                                        ;     Parent Loop BB26_16 Depth=2
                                        ; =>    This Loop Header: Depth=3
                                        ;         Child Loop BB26_40 Depth 4
                                        ;         Child Loop BB26_46 Depth 4
	s_delay_alu instid0(VALU_DEP_2)
	v_lshl_add_u32 v27, v39, 2, v30
	s_mov_b32 s33, exec_lo
                                        ; implicit-def: $sgpr34
	ds_load_b32 v28, v27
	s_waitcnt lgkmcnt(0)
	v_cmpx_ne_u32_e64 v28, v37
	s_xor_b32 s33, exec_lo, s33
	s_cbranch_execz .LBB26_44
; %bb.35:                               ;   in Loop: Header=BB26_34 Depth=3
	s_mov_b32 s35, exec_lo
                                        ; implicit-def: $sgpr34
	v_cmpx_ne_u32_e64 s2, v28
	s_xor_b32 s35, exec_lo, s35
; %bb.36:                               ;   in Loop: Header=BB26_34 Depth=3
	v_add_nc_u32_e32 v27, 1, v39
	s_mov_b32 s34, -1
	s_delay_alu instid0(VALU_DEP_1)
	v_and_b32_e32 v39, 15, v27
                                        ; implicit-def: $vgpr27
; %bb.37:                               ;   in Loop: Header=BB26_34 Depth=3
	s_and_not1_saveexec_b32 s35, s35
	s_cbranch_execz .LBB26_43
; %bb.38:                               ;   in Loop: Header=BB26_34 Depth=3
	v_mov_b32_e32 v28, s2
	s_mov_b32 s41, -1
	s_mov_b32 s40, exec_lo
	ds_cmpstore_rtn_b32 v27, v27, v37, v28
	s_waitcnt lgkmcnt(0)
	v_cmpx_eq_u32_e64 s2, v27
	s_cbranch_execz .LBB26_42
; %bb.39:                               ;   in Loop: Header=BB26_34 Depth=3
	v_lshl_add_u32 v40, v39, 5, v33
	s_mov_b32 s41, 0
	ds_load_b64 v[27:28], v40
.LBB26_40:                              ;   Parent Loop BB26_13 Depth=1
                                        ;     Parent Loop BB26_16 Depth=2
                                        ;       Parent Loop BB26_34 Depth=3
                                        ; =>      This Inner Loop Header: Depth=4
	s_waitcnt lgkmcnt(0)
	v_add_f64 v[41:42], v[27:28], v[25:26]
	ds_cmpstore_rtn_b64 v[41:42], v40, v[41:42], v[27:28]
	s_waitcnt lgkmcnt(0)
	v_cmp_eq_u64_e32 vcc_lo, v[41:42], v[27:28]
	v_dual_mov_b32 v27, v41 :: v_dual_mov_b32 v28, v42
	s_or_b32 s41, vcc_lo, s41
	s_delay_alu instid0(SALU_CYCLE_1)
	s_and_not1_b32 exec_lo, exec_lo, s41
	s_cbranch_execnz .LBB26_40
; %bb.41:                               ;   in Loop: Header=BB26_34 Depth=3
	s_or_b32 exec_lo, exec_lo, s41
	s_delay_alu instid0(SALU_CYCLE_1)
	s_xor_b32 s41, exec_lo, -1
.LBB26_42:                              ;   in Loop: Header=BB26_34 Depth=3
	s_or_b32 exec_lo, exec_lo, s40
	s_delay_alu instid0(SALU_CYCLE_1) | instskip(SKIP_1) | instid1(SALU_CYCLE_1)
	s_and_not1_b32 s34, s34, exec_lo
	s_and_b32 s40, s41, exec_lo
	s_or_b32 s34, s34, s40
.LBB26_43:                              ;   in Loop: Header=BB26_34 Depth=3
	s_or_b32 exec_lo, exec_lo, s35
	s_delay_alu instid0(SALU_CYCLE_1)
	s_and_b32 s34, s34, exec_lo
.LBB26_44:                              ;   in Loop: Header=BB26_34 Depth=3
	s_and_not1_saveexec_b32 s33, s33
	s_cbranch_execz .LBB26_33
; %bb.45:                               ;   in Loop: Header=BB26_34 Depth=3
	v_lshl_add_u32 v40, v39, 5, v33
	s_mov_b32 s35, 0
	ds_load_b64 v[27:28], v40
.LBB26_46:                              ;   Parent Loop BB26_13 Depth=1
                                        ;     Parent Loop BB26_16 Depth=2
                                        ;       Parent Loop BB26_34 Depth=3
                                        ; =>      This Inner Loop Header: Depth=4
	s_waitcnt lgkmcnt(0)
	v_add_f64 v[41:42], v[27:28], v[25:26]
	ds_cmpstore_rtn_b64 v[41:42], v40, v[41:42], v[27:28]
	s_waitcnt lgkmcnt(0)
	v_cmp_eq_u64_e32 vcc_lo, v[41:42], v[27:28]
	v_dual_mov_b32 v27, v41 :: v_dual_mov_b32 v28, v42
	s_or_b32 s35, vcc_lo, s35
	s_delay_alu instid0(SALU_CYCLE_1)
	s_and_not1_b32 exec_lo, exec_lo, s35
	s_cbranch_execnz .LBB26_46
; %bb.47:                               ;   in Loop: Header=BB26_34 Depth=3
	s_or_b32 exec_lo, exec_lo, s35
	s_delay_alu instid0(SALU_CYCLE_1)
	s_and_not1_b32 s34, s34, exec_lo
	s_branch .LBB26_33
.LBB26_48:                              ;   in Loop: Header=BB26_16 Depth=2
	s_or_b32 exec_lo, exec_lo, s17
	v_mul_f64 v[21:22], v[8:9], v[21:22]
	v_mov_b32_e32 v25, v38
	s_mov_b32 s17, 0
	s_delay_alu instid0(VALU_DEP_2)
	v_fma_f64 v[21:22], v[10:11], v[23:24], v[21:22]
	s_branch .LBB26_50
.LBB26_49:                              ;   in Loop: Header=BB26_50 Depth=3
	s_or_b32 exec_lo, exec_lo, s33
	s_xor_b32 s33, s34, -1
	s_delay_alu instid0(SALU_CYCLE_1) | instskip(NEXT) | instid1(SALU_CYCLE_1)
	s_and_b32 s33, exec_lo, s33
	s_or_b32 s17, s33, s17
	s_delay_alu instid0(SALU_CYCLE_1)
	s_and_not1_b32 exec_lo, exec_lo, s17
	s_cbranch_execz .LBB26_64
.LBB26_50:                              ;   Parent Loop BB26_13 Depth=1
                                        ;     Parent Loop BB26_16 Depth=2
                                        ; =>    This Loop Header: Depth=3
                                        ;         Child Loop BB26_56 Depth 4
                                        ;         Child Loop BB26_62 Depth 4
	s_delay_alu instid0(VALU_DEP_2)
	v_lshl_add_u32 v23, v25, 2, v30
	s_mov_b32 s33, exec_lo
                                        ; implicit-def: $sgpr34
	ds_load_b32 v24, v23
	s_waitcnt lgkmcnt(0)
	v_cmpx_ne_u32_e64 v24, v37
	s_xor_b32 s33, exec_lo, s33
	s_cbranch_execz .LBB26_60
; %bb.51:                               ;   in Loop: Header=BB26_50 Depth=3
	s_mov_b32 s35, exec_lo
                                        ; implicit-def: $sgpr34
	v_cmpx_ne_u32_e64 s2, v24
	s_xor_b32 s35, exec_lo, s35
; %bb.52:                               ;   in Loop: Header=BB26_50 Depth=3
	v_add_nc_u32_e32 v23, 1, v25
	s_mov_b32 s34, -1
	s_delay_alu instid0(VALU_DEP_1)
	v_and_b32_e32 v25, 15, v23
                                        ; implicit-def: $vgpr23
; %bb.53:                               ;   in Loop: Header=BB26_50 Depth=3
	s_and_not1_saveexec_b32 s35, s35
	s_cbranch_execz .LBB26_59
; %bb.54:                               ;   in Loop: Header=BB26_50 Depth=3
	v_mov_b32_e32 v24, s2
	s_mov_b32 s41, -1
	s_mov_b32 s40, exec_lo
	ds_cmpstore_rtn_b32 v23, v23, v37, v24
	s_waitcnt lgkmcnt(0)
	v_cmpx_eq_u32_e64 s2, v23
	s_cbranch_execz .LBB26_58
; %bb.55:                               ;   in Loop: Header=BB26_50 Depth=3
	v_lshl_add_u32 v26, v25, 5, v34
	s_mov_b32 s41, 0
	ds_load_b64 v[23:24], v26
.LBB26_56:                              ;   Parent Loop BB26_13 Depth=1
                                        ;     Parent Loop BB26_16 Depth=2
                                        ;       Parent Loop BB26_50 Depth=3
                                        ; =>      This Inner Loop Header: Depth=4
	s_waitcnt lgkmcnt(0)
	v_add_f64 v[27:28], v[23:24], v[21:22]
	ds_cmpstore_rtn_b64 v[27:28], v26, v[27:28], v[23:24]
	s_waitcnt lgkmcnt(0)
	v_cmp_eq_u64_e32 vcc_lo, v[27:28], v[23:24]
	v_dual_mov_b32 v23, v27 :: v_dual_mov_b32 v24, v28
	s_or_b32 s41, vcc_lo, s41
	s_delay_alu instid0(SALU_CYCLE_1)
	s_and_not1_b32 exec_lo, exec_lo, s41
	s_cbranch_execnz .LBB26_56
; %bb.57:                               ;   in Loop: Header=BB26_50 Depth=3
	s_or_b32 exec_lo, exec_lo, s41
	s_delay_alu instid0(SALU_CYCLE_1)
	s_xor_b32 s41, exec_lo, -1
.LBB26_58:                              ;   in Loop: Header=BB26_50 Depth=3
	s_or_b32 exec_lo, exec_lo, s40
	s_delay_alu instid0(SALU_CYCLE_1) | instskip(SKIP_1) | instid1(SALU_CYCLE_1)
	s_and_not1_b32 s34, s34, exec_lo
	s_and_b32 s40, s41, exec_lo
	s_or_b32 s34, s34, s40
.LBB26_59:                              ;   in Loop: Header=BB26_50 Depth=3
	s_or_b32 exec_lo, exec_lo, s35
	s_delay_alu instid0(SALU_CYCLE_1)
	s_and_b32 s34, s34, exec_lo
.LBB26_60:                              ;   in Loop: Header=BB26_50 Depth=3
	s_and_not1_saveexec_b32 s33, s33
	s_cbranch_execz .LBB26_49
; %bb.61:                               ;   in Loop: Header=BB26_50 Depth=3
	v_lshl_add_u32 v26, v25, 5, v34
	s_mov_b32 s35, 0
	ds_load_b64 v[23:24], v26
.LBB26_62:                              ;   Parent Loop BB26_13 Depth=1
                                        ;     Parent Loop BB26_16 Depth=2
                                        ;       Parent Loop BB26_50 Depth=3
                                        ; =>      This Inner Loop Header: Depth=4
	s_waitcnt lgkmcnt(0)
	v_add_f64 v[27:28], v[23:24], v[21:22]
	ds_cmpstore_rtn_b64 v[27:28], v26, v[27:28], v[23:24]
	s_waitcnt lgkmcnt(0)
	v_cmp_eq_u64_e32 vcc_lo, v[27:28], v[23:24]
	v_dual_mov_b32 v23, v27 :: v_dual_mov_b32 v24, v28
	s_or_b32 s35, vcc_lo, s35
	s_delay_alu instid0(SALU_CYCLE_1)
	s_and_not1_b32 exec_lo, exec_lo, s35
	s_cbranch_execnz .LBB26_62
; %bb.63:                               ;   in Loop: Header=BB26_50 Depth=3
	s_or_b32 exec_lo, exec_lo, s35
	s_delay_alu instid0(SALU_CYCLE_1)
	s_and_not1_b32 s34, s34, exec_lo
	s_branch .LBB26_49
.LBB26_64:                              ;   in Loop: Header=BB26_16 Depth=2
	s_or_b32 exec_lo, exec_lo, s17
	v_mul_f64 v[19:20], v[8:9], v[19:20]
	s_mov_b32 s17, 0
	s_delay_alu instid0(VALU_DEP_1)
	v_fma_f64 v[17:18], v[10:11], v[17:18], v[19:20]
	s_branch .LBB26_66
.LBB26_65:                              ;   in Loop: Header=BB26_66 Depth=3
	s_or_b32 exec_lo, exec_lo, s33
	s_xor_b32 s33, s34, -1
	s_delay_alu instid0(SALU_CYCLE_1) | instskip(NEXT) | instid1(SALU_CYCLE_1)
	s_and_b32 s33, exec_lo, s33
	s_or_b32 s17, s33, s17
	s_delay_alu instid0(SALU_CYCLE_1)
	s_and_not1_b32 exec_lo, exec_lo, s17
	s_cbranch_execz .LBB26_15
.LBB26_66:                              ;   Parent Loop BB26_13 Depth=1
                                        ;     Parent Loop BB26_16 Depth=2
                                        ; =>    This Loop Header: Depth=3
                                        ;         Child Loop BB26_72 Depth 4
                                        ;         Child Loop BB26_78 Depth 4
	v_lshl_add_u32 v19, v38, 2, v30
	s_mov_b32 s33, exec_lo
                                        ; implicit-def: $sgpr34
	ds_load_b32 v20, v19
	s_waitcnt lgkmcnt(0)
	v_cmpx_ne_u32_e64 v20, v37
	s_xor_b32 s33, exec_lo, s33
	s_cbranch_execz .LBB26_76
; %bb.67:                               ;   in Loop: Header=BB26_66 Depth=3
	s_mov_b32 s35, exec_lo
                                        ; implicit-def: $sgpr34
	v_cmpx_ne_u32_e64 s2, v20
	s_xor_b32 s35, exec_lo, s35
; %bb.68:                               ;   in Loop: Header=BB26_66 Depth=3
	v_add_nc_u32_e32 v19, 1, v38
	s_mov_b32 s34, -1
	s_delay_alu instid0(VALU_DEP_1)
	v_and_b32_e32 v38, 15, v19
                                        ; implicit-def: $vgpr19
; %bb.69:                               ;   in Loop: Header=BB26_66 Depth=3
	s_and_not1_saveexec_b32 s35, s35
	s_cbranch_execz .LBB26_75
; %bb.70:                               ;   in Loop: Header=BB26_66 Depth=3
	v_mov_b32_e32 v20, s2
	s_mov_b32 s41, -1
	s_mov_b32 s40, exec_lo
	ds_cmpstore_rtn_b32 v19, v19, v37, v20
	s_waitcnt lgkmcnt(0)
	v_cmpx_eq_u32_e64 s2, v19
	s_cbranch_execz .LBB26_74
; %bb.71:                               ;   in Loop: Header=BB26_66 Depth=3
	v_lshl_add_u32 v21, v38, 5, v35
	s_mov_b32 s41, 0
	ds_load_b64 v[19:20], v21
.LBB26_72:                              ;   Parent Loop BB26_13 Depth=1
                                        ;     Parent Loop BB26_16 Depth=2
                                        ;       Parent Loop BB26_66 Depth=3
                                        ; =>      This Inner Loop Header: Depth=4
	s_waitcnt lgkmcnt(0)
	v_add_f64 v[22:23], v[19:20], v[17:18]
	ds_cmpstore_rtn_b64 v[22:23], v21, v[22:23], v[19:20]
	s_waitcnt lgkmcnt(0)
	v_cmp_eq_u64_e32 vcc_lo, v[22:23], v[19:20]
	v_dual_mov_b32 v19, v22 :: v_dual_mov_b32 v20, v23
	s_or_b32 s41, vcc_lo, s41
	s_delay_alu instid0(SALU_CYCLE_1)
	s_and_not1_b32 exec_lo, exec_lo, s41
	s_cbranch_execnz .LBB26_72
; %bb.73:                               ;   in Loop: Header=BB26_66 Depth=3
	s_or_b32 exec_lo, exec_lo, s41
	s_delay_alu instid0(SALU_CYCLE_1)
	s_xor_b32 s41, exec_lo, -1
.LBB26_74:                              ;   in Loop: Header=BB26_66 Depth=3
	s_or_b32 exec_lo, exec_lo, s40
	s_delay_alu instid0(SALU_CYCLE_1) | instskip(SKIP_1) | instid1(SALU_CYCLE_1)
	s_and_not1_b32 s34, s34, exec_lo
	s_and_b32 s40, s41, exec_lo
	s_or_b32 s34, s34, s40
.LBB26_75:                              ;   in Loop: Header=BB26_66 Depth=3
	s_or_b32 exec_lo, exec_lo, s35
	s_delay_alu instid0(SALU_CYCLE_1)
	s_and_b32 s34, s34, exec_lo
.LBB26_76:                              ;   in Loop: Header=BB26_66 Depth=3
	s_and_not1_saveexec_b32 s33, s33
	s_cbranch_execz .LBB26_65
; %bb.77:                               ;   in Loop: Header=BB26_66 Depth=3
	v_lshl_add_u32 v21, v38, 5, v35
	s_mov_b32 s35, 0
	ds_load_b64 v[19:20], v21
.LBB26_78:                              ;   Parent Loop BB26_13 Depth=1
                                        ;     Parent Loop BB26_16 Depth=2
                                        ;       Parent Loop BB26_66 Depth=3
                                        ; =>      This Inner Loop Header: Depth=4
	s_waitcnt lgkmcnt(0)
	v_add_f64 v[22:23], v[19:20], v[17:18]
	ds_cmpstore_rtn_b64 v[22:23], v21, v[22:23], v[19:20]
	s_waitcnt lgkmcnt(0)
	v_cmp_eq_u64_e32 vcc_lo, v[22:23], v[19:20]
	v_dual_mov_b32 v19, v22 :: v_dual_mov_b32 v20, v23
	s_or_b32 s35, vcc_lo, s35
	s_delay_alu instid0(SALU_CYCLE_1)
	s_and_not1_b32 exec_lo, exec_lo, s35
	s_cbranch_execnz .LBB26_78
; %bb.79:                               ;   in Loop: Header=BB26_66 Depth=3
	s_or_b32 exec_lo, exec_lo, s35
	s_delay_alu instid0(SALU_CYCLE_1)
	s_and_not1_b32 s34, s34, exec_lo
	s_branch .LBB26_65
.LBB26_80:
	s_or_b32 exec_lo, exec_lo, s1
.LBB26_81:
	s_delay_alu instid0(SALU_CYCLE_1)
	s_and_not1_b32 vcc_lo, exec_lo, s12
	buffer_gl0_inv
	s_cbranch_vccnz .LBB26_150
; %bb.82:
	v_add_co_u32 v5, vcc_lo, s4, v3
	v_add_co_ci_u32_e32 v6, vcc_lo, s5, v4, vcc_lo
	v_subrev_nc_u32_e32 v7, s27, v29
	s_mov_b32 s1, exec_lo
	global_load_b64 v[5:6], v[5:6], off
	s_waitcnt vmcnt(0)
	v_subrev_nc_u32_e32 v16, s27, v6
	v_add_nc_u32_e32 v5, v5, v7
	s_delay_alu instid0(VALU_DEP_1)
	v_cmpx_lt_i32_e64 v5, v16
	s_cbranch_execz .LBB26_149
; %bb.83:
	v_add_nc_u32_e32 v17, 8, v0
	v_add_nc_u32_e32 v18, 16, v0
	;; [unrolled: 1-line block ×3, first 2 shown]
	s_cmp_eq_u32 s0, 0
	s_mov_b32 s3, 0
	s_cselect_b32 s4, 1, 2
	s_cselect_b32 s5, 2, 1
	s_branch .LBB26_85
.LBB26_84:                              ;   in Loop: Header=BB26_85 Depth=1
	s_or_b32 exec_lo, exec_lo, s12
	v_add_nc_u32_e32 v5, 16, v5
	s_delay_alu instid0(VALU_DEP_1) | instskip(SKIP_1) | instid1(SALU_CYCLE_1)
	v_cmp_ge_i32_e32 vcc_lo, v5, v16
	s_or_b32 s3, vcc_lo, s3
	s_and_not1_b32 exec_lo, exec_lo, s3
	s_cbranch_execz .LBB26_149
.LBB26_85:                              ; =>This Loop Header: Depth=1
                                        ;     Child Loop BB26_87 Depth 2
                                        ;       Child Loop BB26_93 Depth 3
                                        ;       Child Loop BB26_99 Depth 3
                                        ;     Child Loop BB26_103 Depth 2
                                        ;       Child Loop BB26_109 Depth 3
                                        ;       Child Loop BB26_115 Depth 3
	;; [unrolled: 3-line block ×4, first 2 shown]
	v_lshlrev_b32_e32 v7, 2, v5
	v_ashrrev_i32_e32 v6, 31, v5
	s_mov_b32 s12, 0
	s_delay_alu instid0(VALU_DEP_2) | instskip(SKIP_1) | instid1(VALU_DEP_2)
	v_ashrrev_i32_e32 v8, 31, v7
	v_or_b32_e32 v10, s4, v7
	v_lshlrev_b64 v[8:9], 3, v[7:8]
	s_delay_alu instid0(VALU_DEP_2) | instskip(NEXT) | instid1(VALU_DEP_2)
	v_ashrrev_i32_e32 v11, 31, v10
	v_add_co_u32 v12, vcc_lo, s8, v8
	s_delay_alu instid0(VALU_DEP_3)
	v_add_co_ci_u32_e32 v13, vcc_lo, s9, v9, vcc_lo
	v_lshlrev_b64 v[8:9], 2, v[5:6]
	v_or_b32_e32 v6, s5, v7
	global_load_b64 v[14:15], v[12:13], off
	v_add_co_u32 v8, vcc_lo, s6, v8
	v_add_co_ci_u32_e32 v9, vcc_lo, s7, v9, vcc_lo
	v_ashrrev_i32_e32 v7, 31, v6
	global_load_b32 v20, v[8:9], off
	v_lshlrev_b64 v[8:9], 3, v[10:11]
	v_lshlrev_b64 v[6:7], 3, v[6:7]
	s_delay_alu instid0(VALU_DEP_1) | instskip(NEXT) | instid1(VALU_DEP_2)
	v_add_co_u32 v6, vcc_lo, s8, v6
	v_add_co_ci_u32_e32 v7, vcc_lo, s9, v7, vcc_lo
	s_delay_alu instid0(VALU_DEP_4)
	v_add_co_u32 v10, vcc_lo, s8, v8
	v_add_co_ci_u32_e32 v11, vcc_lo, s9, v9, vcc_lo
	s_clause 0x2
	global_load_b64 v[8:9], v[6:7], off
	global_load_b64 v[10:11], v[10:11], off
	global_load_b64 v[6:7], v[12:13], off offset:24
	s_waitcnt vmcnt(4)
	v_mul_f64 v[12:13], v[1:2], v[14:15]
	s_waitcnt vmcnt(3)
	v_subrev_nc_u32_e32 v20, s27, v20
	s_delay_alu instid0(VALU_DEP_1) | instskip(NEXT) | instid1(VALU_DEP_1)
	v_lshl_add_u32 v14, v20, 3, v20
	v_and_b32_e32 v21, 15, v14
	s_delay_alu instid0(VALU_DEP_1)
	v_mov_b32_e32 v22, v21
	s_branch .LBB26_87
.LBB26_86:                              ;   in Loop: Header=BB26_87 Depth=2
	s_or_b32 exec_lo, exec_lo, s13
	s_xor_b32 s13, s14, -1
	s_delay_alu instid0(SALU_CYCLE_1) | instskip(NEXT) | instid1(SALU_CYCLE_1)
	s_and_b32 s13, exec_lo, s13
	s_or_b32 s12, s13, s12
	s_delay_alu instid0(SALU_CYCLE_1)
	s_and_not1_b32 exec_lo, exec_lo, s12
	s_cbranch_execz .LBB26_101
.LBB26_87:                              ;   Parent Loop BB26_85 Depth=1
                                        ; =>  This Loop Header: Depth=2
                                        ;       Child Loop BB26_93 Depth 3
                                        ;       Child Loop BB26_99 Depth 3
	s_delay_alu instid0(VALU_DEP_1)
	v_lshl_add_u32 v14, v22, 2, v30
	s_mov_b32 s13, exec_lo
                                        ; implicit-def: $sgpr14
	ds_load_b32 v15, v14
	s_waitcnt lgkmcnt(0)
	v_cmpx_ne_u32_e64 v15, v20
	s_xor_b32 s13, exec_lo, s13
	s_cbranch_execz .LBB26_97
; %bb.88:                               ;   in Loop: Header=BB26_87 Depth=2
	s_mov_b32 s15, exec_lo
                                        ; implicit-def: $sgpr14
	v_cmpx_ne_u32_e64 s2, v15
	s_xor_b32 s15, exec_lo, s15
; %bb.89:                               ;   in Loop: Header=BB26_87 Depth=2
	v_add_nc_u32_e32 v14, 1, v22
	s_mov_b32 s14, -1
	s_delay_alu instid0(VALU_DEP_1)
	v_and_b32_e32 v22, 15, v14
                                        ; implicit-def: $vgpr14
; %bb.90:                               ;   in Loop: Header=BB26_87 Depth=2
	s_and_not1_saveexec_b32 s15, s15
	s_cbranch_execz .LBB26_96
; %bb.91:                               ;   in Loop: Header=BB26_87 Depth=2
	v_mov_b32_e32 v15, s2
	s_mov_b32 s17, -1
	s_mov_b32 s16, exec_lo
	ds_cmpstore_rtn_b32 v14, v14, v20, v15
	s_waitcnt lgkmcnt(0)
	v_cmpx_eq_u32_e64 s2, v14
	s_cbranch_execz .LBB26_95
; %bb.92:                               ;   in Loop: Header=BB26_87 Depth=2
	v_lshlrev_b32_e32 v14, 5, v22
	s_mov_b32 s17, 0
	s_delay_alu instid0(VALU_DEP_1)
	v_add_nc_u32_e32 v23, v0, v14
	ds_load_b64 v[14:15], v23
.LBB26_93:                              ;   Parent Loop BB26_85 Depth=1
                                        ;     Parent Loop BB26_87 Depth=2
                                        ; =>    This Inner Loop Header: Depth=3
	s_waitcnt lgkmcnt(0)
	v_add_f64 v[24:25], v[14:15], v[12:13]
	ds_cmpstore_rtn_b64 v[24:25], v23, v[24:25], v[14:15]
	s_waitcnt lgkmcnt(0)
	v_cmp_eq_u64_e32 vcc_lo, v[24:25], v[14:15]
	v_dual_mov_b32 v14, v24 :: v_dual_mov_b32 v15, v25
	s_or_b32 s17, vcc_lo, s17
	s_delay_alu instid0(SALU_CYCLE_1)
	s_and_not1_b32 exec_lo, exec_lo, s17
	s_cbranch_execnz .LBB26_93
; %bb.94:                               ;   in Loop: Header=BB26_87 Depth=2
	s_or_b32 exec_lo, exec_lo, s17
	s_delay_alu instid0(SALU_CYCLE_1)
	s_xor_b32 s17, exec_lo, -1
.LBB26_95:                              ;   in Loop: Header=BB26_87 Depth=2
	s_or_b32 exec_lo, exec_lo, s16
	s_delay_alu instid0(SALU_CYCLE_1) | instskip(SKIP_1) | instid1(SALU_CYCLE_1)
	s_and_not1_b32 s14, s14, exec_lo
	s_and_b32 s16, s17, exec_lo
	s_or_b32 s14, s14, s16
.LBB26_96:                              ;   in Loop: Header=BB26_87 Depth=2
	s_or_b32 exec_lo, exec_lo, s15
	s_delay_alu instid0(SALU_CYCLE_1)
	s_and_b32 s14, s14, exec_lo
.LBB26_97:                              ;   in Loop: Header=BB26_87 Depth=2
	s_and_not1_saveexec_b32 s13, s13
	s_cbranch_execz .LBB26_86
; %bb.98:                               ;   in Loop: Header=BB26_87 Depth=2
	v_lshlrev_b32_e32 v14, 5, v22
	s_mov_b32 s15, 0
	s_delay_alu instid0(VALU_DEP_1)
	v_add_nc_u32_e32 v23, v0, v14
	ds_load_b64 v[14:15], v23
.LBB26_99:                              ;   Parent Loop BB26_85 Depth=1
                                        ;     Parent Loop BB26_87 Depth=2
                                        ; =>    This Inner Loop Header: Depth=3
	s_waitcnt lgkmcnt(0)
	v_add_f64 v[24:25], v[14:15], v[12:13]
	ds_cmpstore_rtn_b64 v[24:25], v23, v[24:25], v[14:15]
	s_waitcnt lgkmcnt(0)
	v_cmp_eq_u64_e32 vcc_lo, v[24:25], v[14:15]
	v_dual_mov_b32 v14, v24 :: v_dual_mov_b32 v15, v25
	s_or_b32 s15, vcc_lo, s15
	s_delay_alu instid0(SALU_CYCLE_1)
	s_and_not1_b32 exec_lo, exec_lo, s15
	s_cbranch_execnz .LBB26_99
; %bb.100:                              ;   in Loop: Header=BB26_87 Depth=2
	s_or_b32 exec_lo, exec_lo, s15
	s_delay_alu instid0(SALU_CYCLE_1)
	s_and_not1_b32 s14, s14, exec_lo
	s_branch .LBB26_86
.LBB26_101:                             ;   in Loop: Header=BB26_85 Depth=1
	s_or_b32 exec_lo, exec_lo, s12
	s_waitcnt vmcnt(1)
	v_mul_f64 v[10:11], v[1:2], v[10:11]
	v_mov_b32_e32 v14, v21
	s_mov_b32 s12, 0
	s_branch .LBB26_103
.LBB26_102:                             ;   in Loop: Header=BB26_103 Depth=2
	s_or_b32 exec_lo, exec_lo, s13
	s_xor_b32 s13, s14, -1
	s_delay_alu instid0(SALU_CYCLE_1) | instskip(NEXT) | instid1(SALU_CYCLE_1)
	s_and_b32 s13, exec_lo, s13
	s_or_b32 s12, s13, s12
	s_delay_alu instid0(SALU_CYCLE_1)
	s_and_not1_b32 exec_lo, exec_lo, s12
	s_cbranch_execz .LBB26_117
.LBB26_103:                             ;   Parent Loop BB26_85 Depth=1
                                        ; =>  This Loop Header: Depth=2
                                        ;       Child Loop BB26_109 Depth 3
                                        ;       Child Loop BB26_115 Depth 3
	s_delay_alu instid0(VALU_DEP_1)
	v_lshl_add_u32 v12, v14, 2, v30
	s_mov_b32 s13, exec_lo
                                        ; implicit-def: $sgpr14
	ds_load_b32 v13, v12
	s_waitcnt lgkmcnt(0)
	v_cmpx_ne_u32_e64 v13, v20
	s_xor_b32 s13, exec_lo, s13
	s_cbranch_execz .LBB26_113
; %bb.104:                              ;   in Loop: Header=BB26_103 Depth=2
	s_mov_b32 s15, exec_lo
                                        ; implicit-def: $sgpr14
	v_cmpx_ne_u32_e64 s2, v13
	s_xor_b32 s15, exec_lo, s15
; %bb.105:                              ;   in Loop: Header=BB26_103 Depth=2
	v_add_nc_u32_e32 v12, 1, v14
	s_mov_b32 s14, -1
	s_delay_alu instid0(VALU_DEP_1)
	v_and_b32_e32 v14, 15, v12
                                        ; implicit-def: $vgpr12
; %bb.106:                              ;   in Loop: Header=BB26_103 Depth=2
	s_and_not1_saveexec_b32 s15, s15
	s_cbranch_execz .LBB26_112
; %bb.107:                              ;   in Loop: Header=BB26_103 Depth=2
	v_mov_b32_e32 v13, s2
	s_mov_b32 s17, -1
	s_mov_b32 s16, exec_lo
	ds_cmpstore_rtn_b32 v12, v12, v20, v13
	s_waitcnt lgkmcnt(0)
	v_cmpx_eq_u32_e64 s2, v12
	s_cbranch_execz .LBB26_111
; %bb.108:                              ;   in Loop: Header=BB26_103 Depth=2
	v_lshl_add_u32 v15, v14, 5, v17
	s_mov_b32 s17, 0
	ds_load_b64 v[12:13], v15
.LBB26_109:                             ;   Parent Loop BB26_85 Depth=1
                                        ;     Parent Loop BB26_103 Depth=2
                                        ; =>    This Inner Loop Header: Depth=3
	s_waitcnt lgkmcnt(0)
	v_add_f64 v[22:23], v[12:13], v[10:11]
	ds_cmpstore_rtn_b64 v[22:23], v15, v[22:23], v[12:13]
	s_waitcnt lgkmcnt(0)
	v_cmp_eq_u64_e32 vcc_lo, v[22:23], v[12:13]
	v_dual_mov_b32 v12, v22 :: v_dual_mov_b32 v13, v23
	s_or_b32 s17, vcc_lo, s17
	s_delay_alu instid0(SALU_CYCLE_1)
	s_and_not1_b32 exec_lo, exec_lo, s17
	s_cbranch_execnz .LBB26_109
; %bb.110:                              ;   in Loop: Header=BB26_103 Depth=2
	s_or_b32 exec_lo, exec_lo, s17
	s_delay_alu instid0(SALU_CYCLE_1)
	s_xor_b32 s17, exec_lo, -1
.LBB26_111:                             ;   in Loop: Header=BB26_103 Depth=2
	s_or_b32 exec_lo, exec_lo, s16
	s_delay_alu instid0(SALU_CYCLE_1) | instskip(SKIP_1) | instid1(SALU_CYCLE_1)
	s_and_not1_b32 s14, s14, exec_lo
	s_and_b32 s16, s17, exec_lo
	s_or_b32 s14, s14, s16
.LBB26_112:                             ;   in Loop: Header=BB26_103 Depth=2
	s_or_b32 exec_lo, exec_lo, s15
	s_delay_alu instid0(SALU_CYCLE_1)
	s_and_b32 s14, s14, exec_lo
.LBB26_113:                             ;   in Loop: Header=BB26_103 Depth=2
	s_and_not1_saveexec_b32 s13, s13
	s_cbranch_execz .LBB26_102
; %bb.114:                              ;   in Loop: Header=BB26_103 Depth=2
	v_lshl_add_u32 v15, v14, 5, v17
	s_mov_b32 s15, 0
	ds_load_b64 v[12:13], v15
.LBB26_115:                             ;   Parent Loop BB26_85 Depth=1
                                        ;     Parent Loop BB26_103 Depth=2
                                        ; =>    This Inner Loop Header: Depth=3
	s_waitcnt lgkmcnt(0)
	v_add_f64 v[22:23], v[12:13], v[10:11]
	ds_cmpstore_rtn_b64 v[22:23], v15, v[22:23], v[12:13]
	s_waitcnt lgkmcnt(0)
	v_cmp_eq_u64_e32 vcc_lo, v[22:23], v[12:13]
	v_dual_mov_b32 v12, v22 :: v_dual_mov_b32 v13, v23
	s_or_b32 s15, vcc_lo, s15
	s_delay_alu instid0(SALU_CYCLE_1)
	s_and_not1_b32 exec_lo, exec_lo, s15
	s_cbranch_execnz .LBB26_115
; %bb.116:                              ;   in Loop: Header=BB26_103 Depth=2
	s_or_b32 exec_lo, exec_lo, s15
	s_delay_alu instid0(SALU_CYCLE_1)
	s_and_not1_b32 s14, s14, exec_lo
	s_branch .LBB26_102
.LBB26_117:                             ;   in Loop: Header=BB26_85 Depth=1
	s_or_b32 exec_lo, exec_lo, s12
	v_mul_f64 v[8:9], v[1:2], v[8:9]
	v_mov_b32_e32 v12, v21
	s_mov_b32 s12, 0
	s_branch .LBB26_119
.LBB26_118:                             ;   in Loop: Header=BB26_119 Depth=2
	s_or_b32 exec_lo, exec_lo, s13
	s_xor_b32 s13, s14, -1
	s_delay_alu instid0(SALU_CYCLE_1) | instskip(NEXT) | instid1(SALU_CYCLE_1)
	s_and_b32 s13, exec_lo, s13
	s_or_b32 s12, s13, s12
	s_delay_alu instid0(SALU_CYCLE_1)
	s_and_not1_b32 exec_lo, exec_lo, s12
	s_cbranch_execz .LBB26_133
.LBB26_119:                             ;   Parent Loop BB26_85 Depth=1
                                        ; =>  This Loop Header: Depth=2
                                        ;       Child Loop BB26_125 Depth 3
                                        ;       Child Loop BB26_131 Depth 3
	s_delay_alu instid0(VALU_DEP_1)
	v_lshl_add_u32 v10, v12, 2, v30
	s_mov_b32 s13, exec_lo
                                        ; implicit-def: $sgpr14
	ds_load_b32 v11, v10
	s_waitcnt lgkmcnt(0)
	v_cmpx_ne_u32_e64 v11, v20
	s_xor_b32 s13, exec_lo, s13
	s_cbranch_execz .LBB26_129
; %bb.120:                              ;   in Loop: Header=BB26_119 Depth=2
	s_mov_b32 s15, exec_lo
                                        ; implicit-def: $sgpr14
	v_cmpx_ne_u32_e64 s2, v11
	s_xor_b32 s15, exec_lo, s15
; %bb.121:                              ;   in Loop: Header=BB26_119 Depth=2
	v_add_nc_u32_e32 v10, 1, v12
	s_mov_b32 s14, -1
	s_delay_alu instid0(VALU_DEP_1)
	v_and_b32_e32 v12, 15, v10
                                        ; implicit-def: $vgpr10
; %bb.122:                              ;   in Loop: Header=BB26_119 Depth=2
	s_and_not1_saveexec_b32 s15, s15
	s_cbranch_execz .LBB26_128
; %bb.123:                              ;   in Loop: Header=BB26_119 Depth=2
	v_mov_b32_e32 v11, s2
	s_mov_b32 s17, -1
	s_mov_b32 s16, exec_lo
	ds_cmpstore_rtn_b32 v10, v10, v20, v11
	s_waitcnt lgkmcnt(0)
	v_cmpx_eq_u32_e64 s2, v10
	s_cbranch_execz .LBB26_127
; %bb.124:                              ;   in Loop: Header=BB26_119 Depth=2
	v_lshl_add_u32 v13, v12, 5, v18
	s_mov_b32 s17, 0
	ds_load_b64 v[10:11], v13
.LBB26_125:                             ;   Parent Loop BB26_85 Depth=1
                                        ;     Parent Loop BB26_119 Depth=2
                                        ; =>    This Inner Loop Header: Depth=3
	s_waitcnt lgkmcnt(0)
	v_add_f64 v[14:15], v[10:11], v[8:9]
	ds_cmpstore_rtn_b64 v[14:15], v13, v[14:15], v[10:11]
	s_waitcnt lgkmcnt(0)
	v_cmp_eq_u64_e32 vcc_lo, v[14:15], v[10:11]
	v_dual_mov_b32 v10, v14 :: v_dual_mov_b32 v11, v15
	s_or_b32 s17, vcc_lo, s17
	s_delay_alu instid0(SALU_CYCLE_1)
	s_and_not1_b32 exec_lo, exec_lo, s17
	s_cbranch_execnz .LBB26_125
; %bb.126:                              ;   in Loop: Header=BB26_119 Depth=2
	s_or_b32 exec_lo, exec_lo, s17
	s_delay_alu instid0(SALU_CYCLE_1)
	s_xor_b32 s17, exec_lo, -1
.LBB26_127:                             ;   in Loop: Header=BB26_119 Depth=2
	s_or_b32 exec_lo, exec_lo, s16
	s_delay_alu instid0(SALU_CYCLE_1) | instskip(SKIP_1) | instid1(SALU_CYCLE_1)
	s_and_not1_b32 s14, s14, exec_lo
	s_and_b32 s16, s17, exec_lo
	s_or_b32 s14, s14, s16
.LBB26_128:                             ;   in Loop: Header=BB26_119 Depth=2
	s_or_b32 exec_lo, exec_lo, s15
	s_delay_alu instid0(SALU_CYCLE_1)
	s_and_b32 s14, s14, exec_lo
.LBB26_129:                             ;   in Loop: Header=BB26_119 Depth=2
	s_and_not1_saveexec_b32 s13, s13
	s_cbranch_execz .LBB26_118
; %bb.130:                              ;   in Loop: Header=BB26_119 Depth=2
	v_lshl_add_u32 v13, v12, 5, v18
	s_mov_b32 s15, 0
	ds_load_b64 v[10:11], v13
.LBB26_131:                             ;   Parent Loop BB26_85 Depth=1
                                        ;     Parent Loop BB26_119 Depth=2
                                        ; =>    This Inner Loop Header: Depth=3
	s_waitcnt lgkmcnt(0)
	v_add_f64 v[14:15], v[10:11], v[8:9]
	ds_cmpstore_rtn_b64 v[14:15], v13, v[14:15], v[10:11]
	s_waitcnt lgkmcnt(0)
	v_cmp_eq_u64_e32 vcc_lo, v[14:15], v[10:11]
	v_dual_mov_b32 v10, v14 :: v_dual_mov_b32 v11, v15
	s_or_b32 s15, vcc_lo, s15
	s_delay_alu instid0(SALU_CYCLE_1)
	s_and_not1_b32 exec_lo, exec_lo, s15
	s_cbranch_execnz .LBB26_131
; %bb.132:                              ;   in Loop: Header=BB26_119 Depth=2
	s_or_b32 exec_lo, exec_lo, s15
	s_delay_alu instid0(SALU_CYCLE_1)
	s_and_not1_b32 s14, s14, exec_lo
	s_branch .LBB26_118
.LBB26_133:                             ;   in Loop: Header=BB26_85 Depth=1
	s_or_b32 exec_lo, exec_lo, s12
	s_waitcnt vmcnt(0)
	v_mul_f64 v[6:7], v[1:2], v[6:7]
	s_mov_b32 s12, 0
	s_branch .LBB26_135
.LBB26_134:                             ;   in Loop: Header=BB26_135 Depth=2
	s_or_b32 exec_lo, exec_lo, s13
	s_xor_b32 s13, s14, -1
	s_delay_alu instid0(SALU_CYCLE_1) | instskip(NEXT) | instid1(SALU_CYCLE_1)
	s_and_b32 s13, exec_lo, s13
	s_or_b32 s12, s13, s12
	s_delay_alu instid0(SALU_CYCLE_1)
	s_and_not1_b32 exec_lo, exec_lo, s12
	s_cbranch_execz .LBB26_84
.LBB26_135:                             ;   Parent Loop BB26_85 Depth=1
                                        ; =>  This Loop Header: Depth=2
                                        ;       Child Loop BB26_141 Depth 3
                                        ;       Child Loop BB26_147 Depth 3
	v_lshl_add_u32 v8, v21, 2, v30
	s_mov_b32 s13, exec_lo
                                        ; implicit-def: $sgpr14
	ds_load_b32 v9, v8
	s_waitcnt lgkmcnt(0)
	v_cmpx_ne_u32_e64 v9, v20
	s_xor_b32 s13, exec_lo, s13
	s_cbranch_execz .LBB26_145
; %bb.136:                              ;   in Loop: Header=BB26_135 Depth=2
	s_mov_b32 s15, exec_lo
                                        ; implicit-def: $sgpr14
	v_cmpx_ne_u32_e64 s2, v9
	s_xor_b32 s15, exec_lo, s15
; %bb.137:                              ;   in Loop: Header=BB26_135 Depth=2
	v_add_nc_u32_e32 v8, 1, v21
	s_mov_b32 s14, -1
	s_delay_alu instid0(VALU_DEP_1)
	v_and_b32_e32 v21, 15, v8
                                        ; implicit-def: $vgpr8
; %bb.138:                              ;   in Loop: Header=BB26_135 Depth=2
	s_and_not1_saveexec_b32 s15, s15
	s_cbranch_execz .LBB26_144
; %bb.139:                              ;   in Loop: Header=BB26_135 Depth=2
	v_mov_b32_e32 v9, s2
	s_mov_b32 s17, -1
	s_mov_b32 s16, exec_lo
	ds_cmpstore_rtn_b32 v8, v8, v20, v9
	s_waitcnt lgkmcnt(0)
	v_cmpx_eq_u32_e64 s2, v8
	s_cbranch_execz .LBB26_143
; %bb.140:                              ;   in Loop: Header=BB26_135 Depth=2
	v_lshl_add_u32 v10, v21, 5, v19
	s_mov_b32 s17, 0
	ds_load_b64 v[8:9], v10
.LBB26_141:                             ;   Parent Loop BB26_85 Depth=1
                                        ;     Parent Loop BB26_135 Depth=2
                                        ; =>    This Inner Loop Header: Depth=3
	s_waitcnt lgkmcnt(0)
	v_add_f64 v[11:12], v[8:9], v[6:7]
	ds_cmpstore_rtn_b64 v[11:12], v10, v[11:12], v[8:9]
	s_waitcnt lgkmcnt(0)
	v_cmp_eq_u64_e32 vcc_lo, v[11:12], v[8:9]
	v_dual_mov_b32 v8, v11 :: v_dual_mov_b32 v9, v12
	s_or_b32 s17, vcc_lo, s17
	s_delay_alu instid0(SALU_CYCLE_1)
	s_and_not1_b32 exec_lo, exec_lo, s17
	s_cbranch_execnz .LBB26_141
; %bb.142:                              ;   in Loop: Header=BB26_135 Depth=2
	s_or_b32 exec_lo, exec_lo, s17
	s_delay_alu instid0(SALU_CYCLE_1)
	s_xor_b32 s17, exec_lo, -1
.LBB26_143:                             ;   in Loop: Header=BB26_135 Depth=2
	s_or_b32 exec_lo, exec_lo, s16
	s_delay_alu instid0(SALU_CYCLE_1) | instskip(SKIP_1) | instid1(SALU_CYCLE_1)
	s_and_not1_b32 s14, s14, exec_lo
	s_and_b32 s16, s17, exec_lo
	s_or_b32 s14, s14, s16
.LBB26_144:                             ;   in Loop: Header=BB26_135 Depth=2
	s_or_b32 exec_lo, exec_lo, s15
	s_delay_alu instid0(SALU_CYCLE_1)
	s_and_b32 s14, s14, exec_lo
.LBB26_145:                             ;   in Loop: Header=BB26_135 Depth=2
	s_and_not1_saveexec_b32 s13, s13
	s_cbranch_execz .LBB26_134
; %bb.146:                              ;   in Loop: Header=BB26_135 Depth=2
	v_lshl_add_u32 v10, v21, 5, v19
	s_mov_b32 s15, 0
	ds_load_b64 v[8:9], v10
.LBB26_147:                             ;   Parent Loop BB26_85 Depth=1
                                        ;     Parent Loop BB26_135 Depth=2
                                        ; =>    This Inner Loop Header: Depth=3
	s_waitcnt lgkmcnt(0)
	v_add_f64 v[11:12], v[8:9], v[6:7]
	ds_cmpstore_rtn_b64 v[11:12], v10, v[11:12], v[8:9]
	s_waitcnt lgkmcnt(0)
	v_cmp_eq_u64_e32 vcc_lo, v[11:12], v[8:9]
	v_dual_mov_b32 v8, v11 :: v_dual_mov_b32 v9, v12
	s_or_b32 s15, vcc_lo, s15
	s_delay_alu instid0(SALU_CYCLE_1)
	s_and_not1_b32 exec_lo, exec_lo, s15
	s_cbranch_execnz .LBB26_147
; %bb.148:                              ;   in Loop: Header=BB26_135 Depth=2
	s_or_b32 exec_lo, exec_lo, s15
	s_delay_alu instid0(SALU_CYCLE_1)
	s_and_not1_b32 s14, s14, exec_lo
	s_branch .LBB26_134
.LBB26_149:
	s_or_b32 exec_lo, exec_lo, s1
.LBB26_150:
	buffer_gl0_inv
	ds_load_b32 v1, v31
	s_waitcnt lgkmcnt(0)
	v_cmp_gt_i32_e32 vcc_lo, s2, v1
	s_and_b32 exec_lo, exec_lo, vcc_lo
	s_cbranch_execz .LBB26_152
; %bb.151:
	v_add_co_u32 v2, vcc_lo, s10, v3
	v_add_co_ci_u32_e32 v3, vcc_lo, s11, v4, vcc_lo
	v_lshl_add_u32 v18, v29, 5, v0
	s_cmp_eq_u32 s0, 0
	s_cselect_b32 s0, 1, 2
	global_load_b32 v22, v[2:3], off
	ds_load_b128 v[2:5], v30
	ds_load_b128 v[6:9], v30 offset:16
	ds_load_b128 v[10:13], v30 offset:32
	;; [unrolled: 1-line block ×3, first 2 shown]
	ds_load_2addr_b64 v[18:21], v18 offset1:3
	v_lshlrev_b32_e32 v23, 2, v29
	s_cselect_b32 s1, 2, 1
	s_waitcnt lgkmcnt(4)
	v_cmp_gt_i32_e32 vcc_lo, v1, v2
	v_cndmask_b32_e64 v2, 0, 1, vcc_lo
	v_cmp_gt_i32_e32 vcc_lo, v1, v4
	v_cndmask_b32_e64 v4, 0, 1, vcc_lo
	v_cmp_gt_i32_e32 vcc_lo, v1, v3
	s_waitcnt vmcnt(0)
	v_subrev_nc_u32_e32 v22, s26, v22
	s_delay_alu instid0(VALU_DEP_1)
	v_add_co_ci_u32_e32 v2, vcc_lo, v22, v2, vcc_lo
	s_waitcnt lgkmcnt(3)
	v_cmp_gt_i32_e32 vcc_lo, v1, v6
	v_cndmask_b32_e64 v3, 0, 1, vcc_lo
	v_cmp_gt_i32_e32 vcc_lo, v1, v5
	v_add_co_ci_u32_e32 v2, vcc_lo, v2, v4, vcc_lo
	v_cmp_gt_i32_e32 vcc_lo, v1, v8
	v_cndmask_b32_e64 v4, 0, 1, vcc_lo
	v_cmp_gt_i32_e32 vcc_lo, v1, v7
	s_delay_alu instid0(VALU_DEP_4)
	v_add_co_ci_u32_e32 v2, vcc_lo, v2, v3, vcc_lo
	s_waitcnt lgkmcnt(2)
	v_cmp_gt_i32_e32 vcc_lo, v1, v10
	v_add_nc_u32_e32 v10, s26, v1
	v_cndmask_b32_e64 v3, 0, 1, vcc_lo
	v_cmp_gt_i32_e32 vcc_lo, v1, v9
	v_add_co_ci_u32_e32 v2, vcc_lo, v2, v4, vcc_lo
	v_cmp_gt_i32_e32 vcc_lo, v1, v12
	v_cndmask_b32_e64 v4, 0, 1, vcc_lo
	v_cmp_gt_i32_e32 vcc_lo, v1, v11
	s_delay_alu instid0(VALU_DEP_4)
	v_add_co_ci_u32_e32 v2, vcc_lo, v2, v3, vcc_lo
	s_waitcnt lgkmcnt(1)
	v_cmp_gt_i32_e32 vcc_lo, v1, v14
	v_cndmask_b32_e64 v3, 0, 1, vcc_lo
	v_cmp_gt_i32_e32 vcc_lo, v1, v13
	v_add_co_ci_u32_e32 v2, vcc_lo, v2, v4, vcc_lo
	v_cmp_gt_i32_e32 vcc_lo, v1, v16
	v_cndmask_b32_e64 v4, 0, 1, vcc_lo
	v_cmp_gt_i32_e32 vcc_lo, v1, v15
	s_delay_alu instid0(VALU_DEP_4) | instskip(SKIP_1) | instid1(VALU_DEP_2)
	v_add_co_ci_u32_e32 v2, vcc_lo, v2, v3, vcc_lo
	v_cmp_gt_i32_e32 vcc_lo, v1, v17
	v_add_co_ci_u32_e32 v6, vcc_lo, v2, v4, vcc_lo
	s_waitcnt lgkmcnt(0)
	v_mov_b32_e32 v2, v18
	v_or_b32_e32 v3, s0, v23
	v_or_b32_e32 v5, s1, v23
	v_lshlrev_b32_e32 v8, 2, v6
	v_ashrrev_i32_e32 v7, 31, v6
	s_delay_alu instid0(VALU_DEP_4)
	v_lshl_add_u32 v4, v3, 3, v0
	v_mov_b32_e32 v3, v19
	v_lshl_add_u32 v0, v5, 3, v0
	ds_load_b64 v[4:5], v4
	ds_load_b64 v[18:19], v0
	v_ashrrev_i32_e32 v9, 31, v8
	v_lshlrev_b64 v[6:7], 2, v[6:7]
	s_delay_alu instid0(VALU_DEP_2) | instskip(NEXT) | instid1(VALU_DEP_2)
	v_lshlrev_b64 v[0:1], 3, v[8:9]
	v_add_co_u32 v6, vcc_lo, s28, v6
	s_delay_alu instid0(VALU_DEP_3) | instskip(NEXT) | instid1(VALU_DEP_3)
	v_add_co_ci_u32_e32 v7, vcc_lo, s29, v7, vcc_lo
	v_add_co_u32 v0, vcc_lo, s30, v0
	s_delay_alu instid0(VALU_DEP_4)
	v_add_co_ci_u32_e32 v1, vcc_lo, s31, v1, vcc_lo
	global_store_b32 v[6:7], v10, off
	s_waitcnt lgkmcnt(1)
	global_store_b128 v[0:1], v[2:5], off
	s_waitcnt lgkmcnt(0)
	global_store_b128 v[0:1], v[18:21], off offset:16
.LBB26_152:
	s_nop 0
	s_sendmsg sendmsg(MSG_DEALLOC_VGPRS)
	s_endpgm
	.section	.rodata,"a",@progbits
	.p2align	6, 0x0
	.amdhsa_kernel _ZN9rocsparseL27bsrgemm_fill_wf_per_row_2x2ILj256ELj16ELj16ELj137EiidEEv20rocsparse_direction_T4_S2_PKS2_S4_NS_24const_host_device_scalarIT5_EEPKT3_S4_PKS6_SA_S4_SC_S7_SA_S4_SC_SA_PS2_PS6_21rocsparse_index_base_SF_SF_SF_bbb
		.amdhsa_group_segment_fixed_size 9216
		.amdhsa_private_segment_fixed_size 0
		.amdhsa_kernarg_size 164
		.amdhsa_user_sgpr_count 15
		.amdhsa_user_sgpr_dispatch_ptr 0
		.amdhsa_user_sgpr_queue_ptr 0
		.amdhsa_user_sgpr_kernarg_segment_ptr 1
		.amdhsa_user_sgpr_dispatch_id 0
		.amdhsa_user_sgpr_private_segment_size 0
		.amdhsa_wavefront_size32 1
		.amdhsa_uses_dynamic_stack 0
		.amdhsa_enable_private_segment 0
		.amdhsa_system_sgpr_workgroup_id_x 1
		.amdhsa_system_sgpr_workgroup_id_y 0
		.amdhsa_system_sgpr_workgroup_id_z 0
		.amdhsa_system_sgpr_workgroup_info 0
		.amdhsa_system_vgpr_workitem_id 0
		.amdhsa_next_free_vgpr 43
		.amdhsa_next_free_sgpr 44
		.amdhsa_reserve_vcc 1
		.amdhsa_float_round_mode_32 0
		.amdhsa_float_round_mode_16_64 0
		.amdhsa_float_denorm_mode_32 3
		.amdhsa_float_denorm_mode_16_64 3
		.amdhsa_dx10_clamp 1
		.amdhsa_ieee_mode 1
		.amdhsa_fp16_overflow 0
		.amdhsa_workgroup_processor_mode 1
		.amdhsa_memory_ordered 1
		.amdhsa_forward_progress 0
		.amdhsa_shared_vgpr_count 0
		.amdhsa_exception_fp_ieee_invalid_op 0
		.amdhsa_exception_fp_denorm_src 0
		.amdhsa_exception_fp_ieee_div_zero 0
		.amdhsa_exception_fp_ieee_overflow 0
		.amdhsa_exception_fp_ieee_underflow 0
		.amdhsa_exception_fp_ieee_inexact 0
		.amdhsa_exception_int_div_zero 0
	.end_amdhsa_kernel
	.section	.text._ZN9rocsparseL27bsrgemm_fill_wf_per_row_2x2ILj256ELj16ELj16ELj137EiidEEv20rocsparse_direction_T4_S2_PKS2_S4_NS_24const_host_device_scalarIT5_EEPKT3_S4_PKS6_SA_S4_SC_S7_SA_S4_SC_SA_PS2_PS6_21rocsparse_index_base_SF_SF_SF_bbb,"axG",@progbits,_ZN9rocsparseL27bsrgemm_fill_wf_per_row_2x2ILj256ELj16ELj16ELj137EiidEEv20rocsparse_direction_T4_S2_PKS2_S4_NS_24const_host_device_scalarIT5_EEPKT3_S4_PKS6_SA_S4_SC_S7_SA_S4_SC_SA_PS2_PS6_21rocsparse_index_base_SF_SF_SF_bbb,comdat
.Lfunc_end26:
	.size	_ZN9rocsparseL27bsrgemm_fill_wf_per_row_2x2ILj256ELj16ELj16ELj137EiidEEv20rocsparse_direction_T4_S2_PKS2_S4_NS_24const_host_device_scalarIT5_EEPKT3_S4_PKS6_SA_S4_SC_S7_SA_S4_SC_SA_PS2_PS6_21rocsparse_index_base_SF_SF_SF_bbb, .Lfunc_end26-_ZN9rocsparseL27bsrgemm_fill_wf_per_row_2x2ILj256ELj16ELj16ELj137EiidEEv20rocsparse_direction_T4_S2_PKS2_S4_NS_24const_host_device_scalarIT5_EEPKT3_S4_PKS6_SA_S4_SC_S7_SA_S4_SC_SA_PS2_PS6_21rocsparse_index_base_SF_SF_SF_bbb
                                        ; -- End function
	.section	.AMDGPU.csdata,"",@progbits
; Kernel info:
; codeLenInByte = 5152
; NumSgprs: 46
; NumVgprs: 43
; ScratchSize: 0
; MemoryBound: 0
; FloatMode: 240
; IeeeMode: 1
; LDSByteSize: 9216 bytes/workgroup (compile time only)
; SGPRBlocks: 5
; VGPRBlocks: 5
; NumSGPRsForWavesPerEU: 46
; NumVGPRsForWavesPerEU: 43
; Occupancy: 16
; WaveLimiterHint : 1
; COMPUTE_PGM_RSRC2:SCRATCH_EN: 0
; COMPUTE_PGM_RSRC2:USER_SGPR: 15
; COMPUTE_PGM_RSRC2:TRAP_HANDLER: 0
; COMPUTE_PGM_RSRC2:TGID_X_EN: 1
; COMPUTE_PGM_RSRC2:TGID_Y_EN: 0
; COMPUTE_PGM_RSRC2:TGID_Z_EN: 0
; COMPUTE_PGM_RSRC2:TIDIG_COMP_CNT: 0
	.section	.text._ZN9rocsparseL27bsrgemm_fill_wf_per_row_2x2ILj256ELj16ELj32ELj137EiidEEv20rocsparse_direction_T4_S2_PKS2_S4_NS_24const_host_device_scalarIT5_EEPKT3_S4_PKS6_SA_S4_SC_S7_SA_S4_SC_SA_PS2_PS6_21rocsparse_index_base_SF_SF_SF_bbb,"axG",@progbits,_ZN9rocsparseL27bsrgemm_fill_wf_per_row_2x2ILj256ELj16ELj32ELj137EiidEEv20rocsparse_direction_T4_S2_PKS2_S4_NS_24const_host_device_scalarIT5_EEPKT3_S4_PKS6_SA_S4_SC_S7_SA_S4_SC_SA_PS2_PS6_21rocsparse_index_base_SF_SF_SF_bbb,comdat
	.globl	_ZN9rocsparseL27bsrgemm_fill_wf_per_row_2x2ILj256ELj16ELj32ELj137EiidEEv20rocsparse_direction_T4_S2_PKS2_S4_NS_24const_host_device_scalarIT5_EEPKT3_S4_PKS6_SA_S4_SC_S7_SA_S4_SC_SA_PS2_PS6_21rocsparse_index_base_SF_SF_SF_bbb ; -- Begin function _ZN9rocsparseL27bsrgemm_fill_wf_per_row_2x2ILj256ELj16ELj32ELj137EiidEEv20rocsparse_direction_T4_S2_PKS2_S4_NS_24const_host_device_scalarIT5_EEPKT3_S4_PKS6_SA_S4_SC_S7_SA_S4_SC_SA_PS2_PS6_21rocsparse_index_base_SF_SF_SF_bbb
	.p2align	8
	.type	_ZN9rocsparseL27bsrgemm_fill_wf_per_row_2x2ILj256ELj16ELj32ELj137EiidEEv20rocsparse_direction_T4_S2_PKS2_S4_NS_24const_host_device_scalarIT5_EEPKT3_S4_PKS6_SA_S4_SC_S7_SA_S4_SC_SA_PS2_PS6_21rocsparse_index_base_SF_SF_SF_bbb,@function
_ZN9rocsparseL27bsrgemm_fill_wf_per_row_2x2ILj256ELj16ELj32ELj137EiidEEv20rocsparse_direction_T4_S2_PKS2_S4_NS_24const_host_device_scalarIT5_EEPKT3_S4_PKS6_SA_S4_SC_S7_SA_S4_SC_SA_PS2_PS6_21rocsparse_index_base_SF_SF_SF_bbb: ; @_ZN9rocsparseL27bsrgemm_fill_wf_per_row_2x2ILj256ELj16ELj32ELj137EiidEEv20rocsparse_direction_T4_S2_PKS2_S4_NS_24const_host_device_scalarIT5_EEPKT3_S4_PKS6_SA_S4_SC_S7_SA_S4_SC_SA_PS2_PS6_21rocsparse_index_base_SF_SF_SF_bbb
; %bb.0:
	s_clause 0x3
	s_load_b32 s12, s[0:1], 0xa0
	s_load_b64 s[4:5], s[0:1], 0x20
	s_load_b128 s[24:27], s[0:1], 0x90
	s_load_b64 s[2:3], s[0:1], 0x58
	s_waitcnt lgkmcnt(0)
	s_and_b32 s6, 1, s12
	s_bitcmp1_b32 s12, 16
	s_cselect_b32 s14, -1, 0
	s_cmp_eq_u32 s6, 1
	s_cselect_b32 s13, -1, 0
	s_delay_alu instid0(SALU_CYCLE_1)
	s_and_b32 s6, s13, exec_lo
	s_cselect_b32 s7, s5, 0
	s_cselect_b32 s6, s4, 0
	s_xor_b32 s8, s13, -1
	v_dual_mov_b32 v5, s6 :: v_dual_mov_b32 v6, s7
	s_or_b32 s8, s8, s14
	s_delay_alu instid0(SALU_CYCLE_1)
	s_and_b32 vcc_lo, exec_lo, s8
	s_cbranch_vccnz .LBB27_2
; %bb.1:
	v_dual_mov_b32 v1, s4 :: v_dual_mov_b32 v2, s5
	flat_load_b64 v[5:6], v[1:2]
.LBB27_2:
	s_clause 0x4
	s_load_b128 s[28:31], s[0:1], 0x80
	s_load_b256 s[4:11], s[0:1], 0x60
	s_load_b128 s[36:39], s[0:1], 0x48
	s_load_b128 s[40:43], s[0:1], 0x10
	s_load_b256 s[16:23], s[0:1], 0x28
	s_bitcmp1_b32 s12, 8
	s_cselect_b32 s12, -1, 0
	s_delay_alu instid0(SALU_CYCLE_1)
	s_and_b32 s33, s12, exec_lo
	s_cselect_b32 s35, s3, 0
	s_cselect_b32 s34, s2, 0
	s_xor_b32 s33, s12, -1
	v_dual_mov_b32 v1, s34 :: v_dual_mov_b32 v2, s35
	s_or_b32 s14, s33, s14
	s_delay_alu instid0(SALU_CYCLE_1)
	s_and_b32 vcc_lo, exec_lo, s14
	s_cbranch_vccnz .LBB27_4
; %bb.3:
	v_dual_mov_b32 v1, s2 :: v_dual_mov_b32 v2, s3
	flat_load_b64 v[1:2], v[1:2]
.LBB27_4:
	s_load_b128 s[0:3], s[0:1], 0x0
	v_lshrrev_b32_e32 v7, 4, v0
	v_and_b32_e32 v31, 15, v0
	s_waitcnt lgkmcnt(0)
	s_mov_b32 s3, 0
	s_delay_alu instid0(VALU_DEP_2) | instskip(SKIP_2) | instid1(VALU_DEP_1)
	v_lshlrev_b32_e32 v8, 7, v7
	v_mov_b32_e32 v4, s2
	v_or_b32_e32 v29, -16, v31
	v_dual_mov_b32 v9, v29 :: v_dual_lshlrev_b32 v0, 2, v31
	s_delay_alu instid0(VALU_DEP_1) | instskip(NEXT) | instid1(VALU_DEP_1)
	v_or3_b32 v0, v8, v0, 0x4000
	v_mov_b32_e32 v3, v0
.LBB27_5:                               ; =>This Inner Loop Header: Depth=1
	s_delay_alu instid0(VALU_DEP_3) | instskip(NEXT) | instid1(VALU_DEP_1)
	v_add_co_u32 v9, s14, v9, 16
	s_xor_b32 s14, s14, -1
	ds_store_b32 v3, v4
	v_add_nc_u32_e32 v3, 64, v3
	s_and_b32 s14, exec_lo, s14
	s_delay_alu instid0(SALU_CYCLE_1) | instskip(NEXT) | instid1(SALU_CYCLE_1)
	s_or_b32 s3, s14, s3
	s_and_not1_b32 exec_lo, exec_lo, s3
	s_cbranch_execnz .LBB27_5
; %bb.6:
	s_or_b32 exec_lo, exec_lo, s3
	v_dual_mov_b32 v3, 0 :: v_dual_lshlrev_b32 v32, 10, v7
	v_mov_b32_e32 v10, v29
	s_mov_b32 s3, 0
	s_delay_alu instid0(VALU_DEP_2) | instskip(NEXT) | instid1(VALU_DEP_3)
	v_lshl_or_b32 v9, v31, 3, v32
	v_mov_b32_e32 v4, v3
.LBB27_7:                               ; =>This Inner Loop Header: Depth=1
	s_delay_alu instid0(VALU_DEP_3) | instskip(SKIP_4) | instid1(SALU_CYCLE_1)
	v_add_nc_u32_e32 v10, 16, v10
	ds_store_b64 v9, v[3:4]
	v_add_nc_u32_e32 v9, 0x80, v9
	v_cmp_lt_u32_e32 vcc_lo, 0x6f, v10
	s_or_b32 s3, vcc_lo, s3
	s_and_not1_b32 exec_lo, exec_lo, s3
	s_cbranch_execnz .LBB27_7
; %bb.8:
	s_or_b32 exec_lo, exec_lo, s3
	v_lshl_or_b32 v3, s15, 4, v7
	s_waitcnt vmcnt(0) lgkmcnt(0)
	s_barrier
	buffer_gl0_inv
	v_cmp_gt_i32_e32 vcc_lo, s1, v3
	s_and_saveexec_b32 s1, vcc_lo
	s_cbranch_execz .LBB27_156
; %bb.9:
	s_cmp_eq_u64 s[42:43], 0
	s_cbranch_scc1 .LBB27_11
; %bb.10:
	s_load_b32 s1, s[40:41], 0x0
	s_waitcnt lgkmcnt(0)
	v_add_nc_u32_e32 v3, s1, v3
	s_delay_alu instid0(VALU_DEP_1) | instskip(NEXT) | instid1(VALU_DEP_1)
	v_ashrrev_i32_e32 v4, 31, v3
	v_lshlrev_b64 v[3:4], 2, v[3:4]
	s_delay_alu instid0(VALU_DEP_1) | instskip(NEXT) | instid1(VALU_DEP_2)
	v_add_co_u32 v3, vcc_lo, s42, v3
	v_add_co_ci_u32_e32 v4, vcc_lo, s43, v4, vcc_lo
	global_load_b32 v3, v[3:4], off
.LBB27_11:
	s_waitcnt vmcnt(0)
	v_ashrrev_i32_e32 v4, 31, v3
	v_lshlrev_b32_e32 v33, 3, v8
	v_lshl_or_b32 v30, v7, 7, 0x4000
	s_and_not1_b32 vcc_lo, exec_lo, s13
	s_delay_alu instid0(VALU_DEP_3)
	v_lshlrev_b64 v[3:4], 2, v[3:4]
	s_cbranch_vccnz .LBB27_83
; %bb.12:
	s_delay_alu instid0(VALU_DEP_1) | instskip(NEXT) | instid1(VALU_DEP_2)
	v_add_co_u32 v7, vcc_lo, s16, v3
	v_add_co_ci_u32_e32 v8, vcc_lo, s17, v4, vcc_lo
	v_subrev_nc_u32_e32 v9, s24, v31
	s_mov_b32 s1, exec_lo
	global_load_b64 v[7:8], v[7:8], off
	s_waitcnt vmcnt(0)
	v_subrev_nc_u32_e32 v34, s24, v8
	v_add_nc_u32_e32 v7, v7, v9
	s_delay_alu instid0(VALU_DEP_1)
	v_cmpx_lt_i32_e64 v7, v34
	s_cbranch_execz .LBB27_82
; %bb.13:
	v_add_nc_u32_e32 v35, 8, v33
	v_add_nc_u32_e32 v36, 16, v33
	;; [unrolled: 1-line block ×3, first 2 shown]
	s_cmp_eq_u32 s0, 0
	s_mov_b32 s3, 0
	s_cselect_b32 s13, 1, 2
	s_cselect_b32 s14, 2, 1
	s_branch .LBB27_15
.LBB27_14:                              ;   in Loop: Header=BB27_15 Depth=1
	s_or_b32 exec_lo, exec_lo, s15
	v_add_nc_u32_e32 v7, 16, v7
	s_delay_alu instid0(VALU_DEP_1) | instskip(SKIP_1) | instid1(SALU_CYCLE_1)
	v_cmp_ge_i32_e32 vcc_lo, v7, v34
	s_or_b32 s3, vcc_lo, s3
	s_and_not1_b32 exec_lo, exec_lo, s3
	s_cbranch_execz .LBB27_82
.LBB27_15:                              ; =>This Loop Header: Depth=1
                                        ;     Child Loop BB27_18 Depth 2
                                        ;       Child Loop BB27_20 Depth 3
                                        ;         Child Loop BB27_26 Depth 4
                                        ;         Child Loop BB27_32 Depth 4
                                        ;       Child Loop BB27_36 Depth 3
                                        ;         Child Loop BB27_42 Depth 4
                                        ;         Child Loop BB27_48 Depth 4
	;; [unrolled: 3-line block ×4, first 2 shown]
	v_ashrrev_i32_e32 v8, 31, v7
	s_mov_b32 s15, exec_lo
	s_delay_alu instid0(VALU_DEP_1) | instskip(NEXT) | instid1(VALU_DEP_1)
	v_lshlrev_b64 v[8:9], 2, v[7:8]
	v_add_co_u32 v8, vcc_lo, s18, v8
	s_delay_alu instid0(VALU_DEP_2) | instskip(SKIP_3) | instid1(VALU_DEP_1)
	v_add_co_ci_u32_e32 v9, vcc_lo, s19, v9, vcc_lo
	global_load_b32 v8, v[8:9], off
	s_waitcnt vmcnt(0)
	v_subrev_nc_u32_e32 v8, s24, v8
	v_ashrrev_i32_e32 v9, 31, v8
	s_delay_alu instid0(VALU_DEP_1) | instskip(NEXT) | instid1(VALU_DEP_1)
	v_lshlrev_b64 v[8:9], 2, v[8:9]
	v_add_co_u32 v8, vcc_lo, s22, v8
	s_delay_alu instid0(VALU_DEP_2)
	v_add_co_ci_u32_e32 v9, vcc_lo, s23, v9, vcc_lo
	global_load_b64 v[16:17], v[8:9], off
	s_waitcnt vmcnt(0)
	v_cmpx_lt_i32_e64 v16, v17
	s_cbranch_execz .LBB27_14
; %bb.16:                               ;   in Loop: Header=BB27_15 Depth=1
	v_lshlrev_b32_e32 v8, 2, v7
	v_subrev_nc_u32_e32 v38, s25, v17
	v_subrev_nc_u32_e32 v16, s25, v16
	s_mov_b32 s16, 0
	s_delay_alu instid0(VALU_DEP_3) | instskip(SKIP_2) | instid1(VALU_DEP_3)
	v_or_b32_e32 v10, s14, v8
	v_ashrrev_i32_e32 v9, 31, v8
	v_or_b32_e32 v12, s13, v8
	v_ashrrev_i32_e32 v11, 31, v10
	s_delay_alu instid0(VALU_DEP_3) | instskip(NEXT) | instid1(VALU_DEP_3)
	v_lshlrev_b64 v[8:9], 3, v[8:9]
	v_ashrrev_i32_e32 v13, 31, v12
	s_delay_alu instid0(VALU_DEP_3) | instskip(NEXT) | instid1(VALU_DEP_2)
	v_lshlrev_b64 v[10:11], 3, v[10:11]
	v_lshlrev_b64 v[12:13], 3, v[12:13]
	s_delay_alu instid0(VALU_DEP_4) | instskip(SKIP_1) | instid1(VALU_DEP_4)
	v_add_co_u32 v8, vcc_lo, s20, v8
	v_add_co_ci_u32_e32 v9, vcc_lo, s21, v9, vcc_lo
	v_add_co_u32 v10, vcc_lo, s20, v10
	v_add_co_ci_u32_e32 v11, vcc_lo, s21, v11, vcc_lo
	;; [unrolled: 2-line block ×3, first 2 shown]
	s_clause 0x3
	global_load_b64 v[14:15], v[8:9], off offset:24
	global_load_b64 v[10:11], v[10:11], off
	global_load_b64 v[18:19], v[12:13], off
	;; [unrolled: 1-line block ×3, first 2 shown]
	s_waitcnt vmcnt(3)
	v_mul_f64 v[8:9], v[5:6], v[14:15]
	s_waitcnt vmcnt(2)
	v_mul_f64 v[10:11], v[5:6], v[10:11]
	;; [unrolled: 2-line block ×4, first 2 shown]
	s_branch .LBB27_18
.LBB27_17:                              ;   in Loop: Header=BB27_18 Depth=2
	s_or_b32 exec_lo, exec_lo, s17
	v_add_nc_u32_e32 v16, 1, v16
	s_delay_alu instid0(VALU_DEP_1) | instskip(SKIP_1) | instid1(SALU_CYCLE_1)
	v_cmp_ge_i32_e32 vcc_lo, v16, v38
	s_or_b32 s16, vcc_lo, s16
	s_and_not1_b32 exec_lo, exec_lo, s16
	s_cbranch_execz .LBB27_14
.LBB27_18:                              ;   Parent Loop BB27_15 Depth=1
                                        ; =>  This Loop Header: Depth=2
                                        ;       Child Loop BB27_20 Depth 3
                                        ;         Child Loop BB27_26 Depth 4
                                        ;         Child Loop BB27_32 Depth 4
                                        ;       Child Loop BB27_36 Depth 3
                                        ;         Child Loop BB27_42 Depth 4
                                        ;         Child Loop BB27_48 Depth 4
                                        ;       Child Loop BB27_52 Depth 3
                                        ;         Child Loop BB27_58 Depth 4
                                        ;         Child Loop BB27_64 Depth 4
                                        ;       Child Loop BB27_68 Depth 3
                                        ;         Child Loop BB27_74 Depth 4
                                        ;         Child Loop BB27_80 Depth 4
	v_lshlrev_b32_e32 v18, 2, v16
	v_ashrrev_i32_e32 v17, 31, v16
	s_mov_b32 s17, 0
	s_delay_alu instid0(VALU_DEP_2) | instskip(NEXT) | instid1(VALU_DEP_2)
	v_or_b32_e32 v19, s14, v18
	v_lshlrev_b64 v[25:26], 2, v[16:17]
	s_delay_alu instid0(VALU_DEP_2) | instskip(NEXT) | instid1(VALU_DEP_1)
	v_ashrrev_i32_e32 v20, 31, v19
	v_lshlrev_b64 v[19:20], 3, v[19:20]
	s_delay_alu instid0(VALU_DEP_1) | instskip(NEXT) | instid1(VALU_DEP_2)
	v_add_co_u32 v19, vcc_lo, s38, v19
	v_add_co_ci_u32_e32 v20, vcc_lo, s39, v20, vcc_lo
	global_load_b64 v[21:22], v[19:20], off
	v_ashrrev_i32_e32 v19, 31, v18
	s_delay_alu instid0(VALU_DEP_1) | instskip(NEXT) | instid1(VALU_DEP_1)
	v_lshlrev_b64 v[19:20], 3, v[18:19]
	v_add_co_u32 v19, vcc_lo, s38, v19
	s_delay_alu instid0(VALU_DEP_2)
	v_add_co_ci_u32_e32 v20, vcc_lo, s39, v20, vcc_lo
	v_add_co_u32 v25, vcc_lo, s36, v25
	v_add_co_ci_u32_e32 v26, vcc_lo, s37, v26, vcc_lo
	global_load_b64 v[23:24], v[19:20], off
	global_load_b32 v27, v[25:26], off
	s_waitcnt vmcnt(2)
	v_mul_f64 v[25:26], v[14:15], v[21:22]
	s_waitcnt vmcnt(0)
	v_subrev_nc_u32_e32 v39, s25, v27
	s_delay_alu instid0(VALU_DEP_1) | instskip(NEXT) | instid1(VALU_DEP_1)
	v_lshl_add_u32 v27, v39, 3, v39
	v_and_b32_e32 v40, 31, v27
	s_delay_alu instid0(VALU_DEP_1) | instskip(SKIP_2) | instid1(VALU_DEP_2)
	v_mov_b32_e32 v41, v40
	v_or_b32_e32 v17, s13, v18
	v_fma_f64 v[25:26], v[12:13], v[23:24], v[25:26]
	v_ashrrev_i32_e32 v18, 31, v17
	s_delay_alu instid0(VALU_DEP_1) | instskip(NEXT) | instid1(VALU_DEP_1)
	v_lshlrev_b64 v[17:18], 3, v[17:18]
	v_add_co_u32 v17, vcc_lo, s38, v17
	s_delay_alu instid0(VALU_DEP_2)
	v_add_co_ci_u32_e32 v18, vcc_lo, s39, v18, vcc_lo
	s_clause 0x1
	global_load_b64 v[17:18], v[17:18], off
	global_load_b64 v[19:20], v[19:20], off offset:24
	s_branch .LBB27_20
.LBB27_19:                              ;   in Loop: Header=BB27_20 Depth=3
	s_or_b32 exec_lo, exec_lo, s33
	s_xor_b32 s33, s34, -1
	s_delay_alu instid0(SALU_CYCLE_1) | instskip(NEXT) | instid1(SALU_CYCLE_1)
	s_and_b32 s33, exec_lo, s33
	s_or_b32 s17, s33, s17
	s_delay_alu instid0(SALU_CYCLE_1)
	s_and_not1_b32 exec_lo, exec_lo, s17
	s_cbranch_execz .LBB27_34
.LBB27_20:                              ;   Parent Loop BB27_15 Depth=1
                                        ;     Parent Loop BB27_18 Depth=2
                                        ; =>    This Loop Header: Depth=3
                                        ;         Child Loop BB27_26 Depth 4
                                        ;         Child Loop BB27_32 Depth 4
	v_lshl_add_u32 v27, v41, 2, v30
	s_mov_b32 s33, exec_lo
                                        ; implicit-def: $sgpr34
	ds_load_b32 v28, v27
	s_waitcnt lgkmcnt(0)
	v_cmpx_ne_u32_e64 v28, v39
	s_xor_b32 s33, exec_lo, s33
	s_cbranch_execz .LBB27_30
; %bb.21:                               ;   in Loop: Header=BB27_20 Depth=3
	s_mov_b32 s35, exec_lo
                                        ; implicit-def: $sgpr34
	v_cmpx_ne_u32_e64 s2, v28
	s_xor_b32 s35, exec_lo, s35
; %bb.22:                               ;   in Loop: Header=BB27_20 Depth=3
	v_add_nc_u32_e32 v27, 1, v41
	s_mov_b32 s34, -1
	s_delay_alu instid0(VALU_DEP_1)
	v_and_b32_e32 v41, 31, v27
                                        ; implicit-def: $vgpr27
; %bb.23:                               ;   in Loop: Header=BB27_20 Depth=3
	s_and_not1_saveexec_b32 s35, s35
	s_cbranch_execz .LBB27_29
; %bb.24:                               ;   in Loop: Header=BB27_20 Depth=3
	v_mov_b32_e32 v28, s2
	s_mov_b32 s41, -1
	s_mov_b32 s40, exec_lo
	ds_cmpstore_rtn_b32 v27, v27, v39, v28
	s_waitcnt lgkmcnt(0)
	v_cmpx_eq_u32_e64 s2, v27
	s_cbranch_execz .LBB27_28
; %bb.25:                               ;   in Loop: Header=BB27_20 Depth=3
	v_lshlrev_b32_e32 v27, 5, v41
	s_mov_b32 s41, 0
	s_delay_alu instid0(VALU_DEP_1)
	v_add_nc_u32_e32 v42, v33, v27
	ds_load_b64 v[27:28], v42
.LBB27_26:                              ;   Parent Loop BB27_15 Depth=1
                                        ;     Parent Loop BB27_18 Depth=2
                                        ;       Parent Loop BB27_20 Depth=3
                                        ; =>      This Inner Loop Header: Depth=4
	s_waitcnt lgkmcnt(0)
	v_add_f64 v[43:44], v[27:28], v[25:26]
	ds_cmpstore_rtn_b64 v[43:44], v42, v[43:44], v[27:28]
	s_waitcnt lgkmcnt(0)
	v_cmp_eq_u64_e32 vcc_lo, v[43:44], v[27:28]
	v_dual_mov_b32 v27, v43 :: v_dual_mov_b32 v28, v44
	s_or_b32 s41, vcc_lo, s41
	s_delay_alu instid0(SALU_CYCLE_1)
	s_and_not1_b32 exec_lo, exec_lo, s41
	s_cbranch_execnz .LBB27_26
; %bb.27:                               ;   in Loop: Header=BB27_20 Depth=3
	s_or_b32 exec_lo, exec_lo, s41
	s_delay_alu instid0(SALU_CYCLE_1)
	s_xor_b32 s41, exec_lo, -1
.LBB27_28:                              ;   in Loop: Header=BB27_20 Depth=3
	s_or_b32 exec_lo, exec_lo, s40
	s_delay_alu instid0(SALU_CYCLE_1) | instskip(SKIP_1) | instid1(SALU_CYCLE_1)
	s_and_not1_b32 s34, s34, exec_lo
	s_and_b32 s40, s41, exec_lo
	s_or_b32 s34, s34, s40
.LBB27_29:                              ;   in Loop: Header=BB27_20 Depth=3
	s_or_b32 exec_lo, exec_lo, s35
	s_delay_alu instid0(SALU_CYCLE_1)
	s_and_b32 s34, s34, exec_lo
.LBB27_30:                              ;   in Loop: Header=BB27_20 Depth=3
	s_and_not1_saveexec_b32 s33, s33
	s_cbranch_execz .LBB27_19
; %bb.31:                               ;   in Loop: Header=BB27_20 Depth=3
	v_lshlrev_b32_e32 v27, 5, v41
	s_mov_b32 s35, 0
	s_delay_alu instid0(VALU_DEP_1)
	v_add_nc_u32_e32 v42, v33, v27
	ds_load_b64 v[27:28], v42
.LBB27_32:                              ;   Parent Loop BB27_15 Depth=1
                                        ;     Parent Loop BB27_18 Depth=2
                                        ;       Parent Loop BB27_20 Depth=3
                                        ; =>      This Inner Loop Header: Depth=4
	s_waitcnt lgkmcnt(0)
	v_add_f64 v[43:44], v[27:28], v[25:26]
	ds_cmpstore_rtn_b64 v[43:44], v42, v[43:44], v[27:28]
	s_waitcnt lgkmcnt(0)
	v_cmp_eq_u64_e32 vcc_lo, v[43:44], v[27:28]
	v_dual_mov_b32 v27, v43 :: v_dual_mov_b32 v28, v44
	s_or_b32 s35, vcc_lo, s35
	s_delay_alu instid0(SALU_CYCLE_1)
	s_and_not1_b32 exec_lo, exec_lo, s35
	s_cbranch_execnz .LBB27_32
; %bb.33:                               ;   in Loop: Header=BB27_20 Depth=3
	s_or_b32 exec_lo, exec_lo, s35
	s_delay_alu instid0(SALU_CYCLE_1)
	s_and_not1_b32 s34, s34, exec_lo
	s_branch .LBB27_19
.LBB27_34:                              ;   in Loop: Header=BB27_18 Depth=2
	s_or_b32 exec_lo, exec_lo, s17
	s_waitcnt vmcnt(0)
	v_mul_f64 v[25:26], v[14:15], v[19:20]
	v_mov_b32_e32 v41, v40
	s_mov_b32 s17, 0
	s_delay_alu instid0(VALU_DEP_2)
	v_fma_f64 v[25:26], v[12:13], v[17:18], v[25:26]
	s_branch .LBB27_36
.LBB27_35:                              ;   in Loop: Header=BB27_36 Depth=3
	s_or_b32 exec_lo, exec_lo, s33
	s_xor_b32 s33, s34, -1
	s_delay_alu instid0(SALU_CYCLE_1) | instskip(NEXT) | instid1(SALU_CYCLE_1)
	s_and_b32 s33, exec_lo, s33
	s_or_b32 s17, s33, s17
	s_delay_alu instid0(SALU_CYCLE_1)
	s_and_not1_b32 exec_lo, exec_lo, s17
	s_cbranch_execz .LBB27_50
.LBB27_36:                              ;   Parent Loop BB27_15 Depth=1
                                        ;     Parent Loop BB27_18 Depth=2
                                        ; =>    This Loop Header: Depth=3
                                        ;         Child Loop BB27_42 Depth 4
                                        ;         Child Loop BB27_48 Depth 4
	s_delay_alu instid0(VALU_DEP_2)
	v_lshl_add_u32 v27, v41, 2, v30
	s_mov_b32 s33, exec_lo
                                        ; implicit-def: $sgpr34
	ds_load_b32 v28, v27
	s_waitcnt lgkmcnt(0)
	v_cmpx_ne_u32_e64 v28, v39
	s_xor_b32 s33, exec_lo, s33
	s_cbranch_execz .LBB27_46
; %bb.37:                               ;   in Loop: Header=BB27_36 Depth=3
	s_mov_b32 s35, exec_lo
                                        ; implicit-def: $sgpr34
	v_cmpx_ne_u32_e64 s2, v28
	s_xor_b32 s35, exec_lo, s35
; %bb.38:                               ;   in Loop: Header=BB27_36 Depth=3
	v_add_nc_u32_e32 v27, 1, v41
	s_mov_b32 s34, -1
	s_delay_alu instid0(VALU_DEP_1)
	v_and_b32_e32 v41, 31, v27
                                        ; implicit-def: $vgpr27
; %bb.39:                               ;   in Loop: Header=BB27_36 Depth=3
	s_and_not1_saveexec_b32 s35, s35
	s_cbranch_execz .LBB27_45
; %bb.40:                               ;   in Loop: Header=BB27_36 Depth=3
	v_mov_b32_e32 v28, s2
	s_mov_b32 s41, -1
	s_mov_b32 s40, exec_lo
	ds_cmpstore_rtn_b32 v27, v27, v39, v28
	s_waitcnt lgkmcnt(0)
	v_cmpx_eq_u32_e64 s2, v27
	s_cbranch_execz .LBB27_44
; %bb.41:                               ;   in Loop: Header=BB27_36 Depth=3
	v_lshl_add_u32 v42, v41, 5, v35
	s_mov_b32 s41, 0
	ds_load_b64 v[27:28], v42
.LBB27_42:                              ;   Parent Loop BB27_15 Depth=1
                                        ;     Parent Loop BB27_18 Depth=2
                                        ;       Parent Loop BB27_36 Depth=3
                                        ; =>      This Inner Loop Header: Depth=4
	s_waitcnt lgkmcnt(0)
	v_add_f64 v[43:44], v[27:28], v[25:26]
	ds_cmpstore_rtn_b64 v[43:44], v42, v[43:44], v[27:28]
	s_waitcnt lgkmcnt(0)
	v_cmp_eq_u64_e32 vcc_lo, v[43:44], v[27:28]
	v_dual_mov_b32 v27, v43 :: v_dual_mov_b32 v28, v44
	s_or_b32 s41, vcc_lo, s41
	s_delay_alu instid0(SALU_CYCLE_1)
	s_and_not1_b32 exec_lo, exec_lo, s41
	s_cbranch_execnz .LBB27_42
; %bb.43:                               ;   in Loop: Header=BB27_36 Depth=3
	s_or_b32 exec_lo, exec_lo, s41
	s_delay_alu instid0(SALU_CYCLE_1)
	s_xor_b32 s41, exec_lo, -1
.LBB27_44:                              ;   in Loop: Header=BB27_36 Depth=3
	s_or_b32 exec_lo, exec_lo, s40
	s_delay_alu instid0(SALU_CYCLE_1) | instskip(SKIP_1) | instid1(SALU_CYCLE_1)
	s_and_not1_b32 s34, s34, exec_lo
	s_and_b32 s40, s41, exec_lo
	s_or_b32 s34, s34, s40
.LBB27_45:                              ;   in Loop: Header=BB27_36 Depth=3
	s_or_b32 exec_lo, exec_lo, s35
	s_delay_alu instid0(SALU_CYCLE_1)
	s_and_b32 s34, s34, exec_lo
.LBB27_46:                              ;   in Loop: Header=BB27_36 Depth=3
	s_and_not1_saveexec_b32 s33, s33
	s_cbranch_execz .LBB27_35
; %bb.47:                               ;   in Loop: Header=BB27_36 Depth=3
	v_lshl_add_u32 v42, v41, 5, v35
	s_mov_b32 s35, 0
	ds_load_b64 v[27:28], v42
.LBB27_48:                              ;   Parent Loop BB27_15 Depth=1
                                        ;     Parent Loop BB27_18 Depth=2
                                        ;       Parent Loop BB27_36 Depth=3
                                        ; =>      This Inner Loop Header: Depth=4
	s_waitcnt lgkmcnt(0)
	v_add_f64 v[43:44], v[27:28], v[25:26]
	ds_cmpstore_rtn_b64 v[43:44], v42, v[43:44], v[27:28]
	s_waitcnt lgkmcnt(0)
	v_cmp_eq_u64_e32 vcc_lo, v[43:44], v[27:28]
	v_dual_mov_b32 v27, v43 :: v_dual_mov_b32 v28, v44
	s_or_b32 s35, vcc_lo, s35
	s_delay_alu instid0(SALU_CYCLE_1)
	s_and_not1_b32 exec_lo, exec_lo, s35
	s_cbranch_execnz .LBB27_48
; %bb.49:                               ;   in Loop: Header=BB27_36 Depth=3
	s_or_b32 exec_lo, exec_lo, s35
	s_delay_alu instid0(SALU_CYCLE_1)
	s_and_not1_b32 s34, s34, exec_lo
	s_branch .LBB27_35
.LBB27_50:                              ;   in Loop: Header=BB27_18 Depth=2
	s_or_b32 exec_lo, exec_lo, s17
	v_mul_f64 v[21:22], v[8:9], v[21:22]
	v_mov_b32_e32 v25, v40
	s_mov_b32 s17, 0
	s_delay_alu instid0(VALU_DEP_2)
	v_fma_f64 v[21:22], v[10:11], v[23:24], v[21:22]
	s_branch .LBB27_52
.LBB27_51:                              ;   in Loop: Header=BB27_52 Depth=3
	s_or_b32 exec_lo, exec_lo, s33
	s_xor_b32 s33, s34, -1
	s_delay_alu instid0(SALU_CYCLE_1) | instskip(NEXT) | instid1(SALU_CYCLE_1)
	s_and_b32 s33, exec_lo, s33
	s_or_b32 s17, s33, s17
	s_delay_alu instid0(SALU_CYCLE_1)
	s_and_not1_b32 exec_lo, exec_lo, s17
	s_cbranch_execz .LBB27_66
.LBB27_52:                              ;   Parent Loop BB27_15 Depth=1
                                        ;     Parent Loop BB27_18 Depth=2
                                        ; =>    This Loop Header: Depth=3
                                        ;         Child Loop BB27_58 Depth 4
                                        ;         Child Loop BB27_64 Depth 4
	s_delay_alu instid0(VALU_DEP_2)
	v_lshl_add_u32 v23, v25, 2, v30
	s_mov_b32 s33, exec_lo
                                        ; implicit-def: $sgpr34
	ds_load_b32 v24, v23
	s_waitcnt lgkmcnt(0)
	v_cmpx_ne_u32_e64 v24, v39
	s_xor_b32 s33, exec_lo, s33
	s_cbranch_execz .LBB27_62
; %bb.53:                               ;   in Loop: Header=BB27_52 Depth=3
	s_mov_b32 s35, exec_lo
                                        ; implicit-def: $sgpr34
	v_cmpx_ne_u32_e64 s2, v24
	s_xor_b32 s35, exec_lo, s35
; %bb.54:                               ;   in Loop: Header=BB27_52 Depth=3
	v_add_nc_u32_e32 v23, 1, v25
	s_mov_b32 s34, -1
	s_delay_alu instid0(VALU_DEP_1)
	v_and_b32_e32 v25, 31, v23
                                        ; implicit-def: $vgpr23
; %bb.55:                               ;   in Loop: Header=BB27_52 Depth=3
	s_and_not1_saveexec_b32 s35, s35
	s_cbranch_execz .LBB27_61
; %bb.56:                               ;   in Loop: Header=BB27_52 Depth=3
	v_mov_b32_e32 v24, s2
	s_mov_b32 s41, -1
	s_mov_b32 s40, exec_lo
	ds_cmpstore_rtn_b32 v23, v23, v39, v24
	s_waitcnt lgkmcnt(0)
	v_cmpx_eq_u32_e64 s2, v23
	s_cbranch_execz .LBB27_60
; %bb.57:                               ;   in Loop: Header=BB27_52 Depth=3
	v_lshl_add_u32 v26, v25, 5, v36
	s_mov_b32 s41, 0
	ds_load_b64 v[23:24], v26
.LBB27_58:                              ;   Parent Loop BB27_15 Depth=1
                                        ;     Parent Loop BB27_18 Depth=2
                                        ;       Parent Loop BB27_52 Depth=3
                                        ; =>      This Inner Loop Header: Depth=4
	s_waitcnt lgkmcnt(0)
	v_add_f64 v[27:28], v[23:24], v[21:22]
	ds_cmpstore_rtn_b64 v[27:28], v26, v[27:28], v[23:24]
	s_waitcnt lgkmcnt(0)
	v_cmp_eq_u64_e32 vcc_lo, v[27:28], v[23:24]
	v_dual_mov_b32 v23, v27 :: v_dual_mov_b32 v24, v28
	s_or_b32 s41, vcc_lo, s41
	s_delay_alu instid0(SALU_CYCLE_1)
	s_and_not1_b32 exec_lo, exec_lo, s41
	s_cbranch_execnz .LBB27_58
; %bb.59:                               ;   in Loop: Header=BB27_52 Depth=3
	s_or_b32 exec_lo, exec_lo, s41
	s_delay_alu instid0(SALU_CYCLE_1)
	s_xor_b32 s41, exec_lo, -1
.LBB27_60:                              ;   in Loop: Header=BB27_52 Depth=3
	s_or_b32 exec_lo, exec_lo, s40
	s_delay_alu instid0(SALU_CYCLE_1) | instskip(SKIP_1) | instid1(SALU_CYCLE_1)
	s_and_not1_b32 s34, s34, exec_lo
	s_and_b32 s40, s41, exec_lo
	s_or_b32 s34, s34, s40
.LBB27_61:                              ;   in Loop: Header=BB27_52 Depth=3
	s_or_b32 exec_lo, exec_lo, s35
	s_delay_alu instid0(SALU_CYCLE_1)
	s_and_b32 s34, s34, exec_lo
.LBB27_62:                              ;   in Loop: Header=BB27_52 Depth=3
	s_and_not1_saveexec_b32 s33, s33
	s_cbranch_execz .LBB27_51
; %bb.63:                               ;   in Loop: Header=BB27_52 Depth=3
	v_lshl_add_u32 v26, v25, 5, v36
	s_mov_b32 s35, 0
	ds_load_b64 v[23:24], v26
.LBB27_64:                              ;   Parent Loop BB27_15 Depth=1
                                        ;     Parent Loop BB27_18 Depth=2
                                        ;       Parent Loop BB27_52 Depth=3
                                        ; =>      This Inner Loop Header: Depth=4
	s_waitcnt lgkmcnt(0)
	v_add_f64 v[27:28], v[23:24], v[21:22]
	ds_cmpstore_rtn_b64 v[27:28], v26, v[27:28], v[23:24]
	s_waitcnt lgkmcnt(0)
	v_cmp_eq_u64_e32 vcc_lo, v[27:28], v[23:24]
	v_dual_mov_b32 v23, v27 :: v_dual_mov_b32 v24, v28
	s_or_b32 s35, vcc_lo, s35
	s_delay_alu instid0(SALU_CYCLE_1)
	s_and_not1_b32 exec_lo, exec_lo, s35
	s_cbranch_execnz .LBB27_64
; %bb.65:                               ;   in Loop: Header=BB27_52 Depth=3
	s_or_b32 exec_lo, exec_lo, s35
	s_delay_alu instid0(SALU_CYCLE_1)
	s_and_not1_b32 s34, s34, exec_lo
	s_branch .LBB27_51
.LBB27_66:                              ;   in Loop: Header=BB27_18 Depth=2
	s_or_b32 exec_lo, exec_lo, s17
	v_mul_f64 v[19:20], v[8:9], v[19:20]
	s_mov_b32 s17, 0
	s_delay_alu instid0(VALU_DEP_1)
	v_fma_f64 v[17:18], v[10:11], v[17:18], v[19:20]
	s_branch .LBB27_68
.LBB27_67:                              ;   in Loop: Header=BB27_68 Depth=3
	s_or_b32 exec_lo, exec_lo, s33
	s_xor_b32 s33, s34, -1
	s_delay_alu instid0(SALU_CYCLE_1) | instskip(NEXT) | instid1(SALU_CYCLE_1)
	s_and_b32 s33, exec_lo, s33
	s_or_b32 s17, s33, s17
	s_delay_alu instid0(SALU_CYCLE_1)
	s_and_not1_b32 exec_lo, exec_lo, s17
	s_cbranch_execz .LBB27_17
.LBB27_68:                              ;   Parent Loop BB27_15 Depth=1
                                        ;     Parent Loop BB27_18 Depth=2
                                        ; =>    This Loop Header: Depth=3
                                        ;         Child Loop BB27_74 Depth 4
                                        ;         Child Loop BB27_80 Depth 4
	v_lshl_add_u32 v19, v40, 2, v30
	s_mov_b32 s33, exec_lo
                                        ; implicit-def: $sgpr34
	ds_load_b32 v20, v19
	s_waitcnt lgkmcnt(0)
	v_cmpx_ne_u32_e64 v20, v39
	s_xor_b32 s33, exec_lo, s33
	s_cbranch_execz .LBB27_78
; %bb.69:                               ;   in Loop: Header=BB27_68 Depth=3
	s_mov_b32 s35, exec_lo
                                        ; implicit-def: $sgpr34
	v_cmpx_ne_u32_e64 s2, v20
	s_xor_b32 s35, exec_lo, s35
; %bb.70:                               ;   in Loop: Header=BB27_68 Depth=3
	v_add_nc_u32_e32 v19, 1, v40
	s_mov_b32 s34, -1
	s_delay_alu instid0(VALU_DEP_1)
	v_and_b32_e32 v40, 31, v19
                                        ; implicit-def: $vgpr19
; %bb.71:                               ;   in Loop: Header=BB27_68 Depth=3
	s_and_not1_saveexec_b32 s35, s35
	s_cbranch_execz .LBB27_77
; %bb.72:                               ;   in Loop: Header=BB27_68 Depth=3
	v_mov_b32_e32 v20, s2
	s_mov_b32 s41, -1
	s_mov_b32 s40, exec_lo
	ds_cmpstore_rtn_b32 v19, v19, v39, v20
	s_waitcnt lgkmcnt(0)
	v_cmpx_eq_u32_e64 s2, v19
	s_cbranch_execz .LBB27_76
; %bb.73:                               ;   in Loop: Header=BB27_68 Depth=3
	v_lshl_add_u32 v21, v40, 5, v37
	s_mov_b32 s41, 0
	ds_load_b64 v[19:20], v21
.LBB27_74:                              ;   Parent Loop BB27_15 Depth=1
                                        ;     Parent Loop BB27_18 Depth=2
                                        ;       Parent Loop BB27_68 Depth=3
                                        ; =>      This Inner Loop Header: Depth=4
	s_waitcnt lgkmcnt(0)
	v_add_f64 v[22:23], v[19:20], v[17:18]
	ds_cmpstore_rtn_b64 v[22:23], v21, v[22:23], v[19:20]
	s_waitcnt lgkmcnt(0)
	v_cmp_eq_u64_e32 vcc_lo, v[22:23], v[19:20]
	v_dual_mov_b32 v19, v22 :: v_dual_mov_b32 v20, v23
	s_or_b32 s41, vcc_lo, s41
	s_delay_alu instid0(SALU_CYCLE_1)
	s_and_not1_b32 exec_lo, exec_lo, s41
	s_cbranch_execnz .LBB27_74
; %bb.75:                               ;   in Loop: Header=BB27_68 Depth=3
	s_or_b32 exec_lo, exec_lo, s41
	s_delay_alu instid0(SALU_CYCLE_1)
	s_xor_b32 s41, exec_lo, -1
.LBB27_76:                              ;   in Loop: Header=BB27_68 Depth=3
	s_or_b32 exec_lo, exec_lo, s40
	s_delay_alu instid0(SALU_CYCLE_1) | instskip(SKIP_1) | instid1(SALU_CYCLE_1)
	s_and_not1_b32 s34, s34, exec_lo
	s_and_b32 s40, s41, exec_lo
	s_or_b32 s34, s34, s40
.LBB27_77:                              ;   in Loop: Header=BB27_68 Depth=3
	s_or_b32 exec_lo, exec_lo, s35
	s_delay_alu instid0(SALU_CYCLE_1)
	s_and_b32 s34, s34, exec_lo
.LBB27_78:                              ;   in Loop: Header=BB27_68 Depth=3
	s_and_not1_saveexec_b32 s33, s33
	s_cbranch_execz .LBB27_67
; %bb.79:                               ;   in Loop: Header=BB27_68 Depth=3
	v_lshl_add_u32 v21, v40, 5, v37
	s_mov_b32 s35, 0
	ds_load_b64 v[19:20], v21
.LBB27_80:                              ;   Parent Loop BB27_15 Depth=1
                                        ;     Parent Loop BB27_18 Depth=2
                                        ;       Parent Loop BB27_68 Depth=3
                                        ; =>      This Inner Loop Header: Depth=4
	s_waitcnt lgkmcnt(0)
	v_add_f64 v[22:23], v[19:20], v[17:18]
	ds_cmpstore_rtn_b64 v[22:23], v21, v[22:23], v[19:20]
	s_waitcnt lgkmcnt(0)
	v_cmp_eq_u64_e32 vcc_lo, v[22:23], v[19:20]
	v_dual_mov_b32 v19, v22 :: v_dual_mov_b32 v20, v23
	s_or_b32 s35, vcc_lo, s35
	s_delay_alu instid0(SALU_CYCLE_1)
	s_and_not1_b32 exec_lo, exec_lo, s35
	s_cbranch_execnz .LBB27_80
; %bb.81:                               ;   in Loop: Header=BB27_68 Depth=3
	s_or_b32 exec_lo, exec_lo, s35
	s_delay_alu instid0(SALU_CYCLE_1)
	s_and_not1_b32 s34, s34, exec_lo
	s_branch .LBB27_67
.LBB27_82:
	s_or_b32 exec_lo, exec_lo, s1
.LBB27_83:
	s_delay_alu instid0(SALU_CYCLE_1)
	s_and_not1_b32 vcc_lo, exec_lo, s12
	buffer_gl0_inv
	s_cbranch_vccnz .LBB27_152
; %bb.84:
	v_add_co_u32 v5, vcc_lo, s4, v3
	v_add_co_ci_u32_e32 v6, vcc_lo, s5, v4, vcc_lo
	v_subrev_nc_u32_e32 v7, s27, v31
	s_mov_b32 s1, exec_lo
	global_load_b64 v[5:6], v[5:6], off
	s_waitcnt vmcnt(0)
	v_subrev_nc_u32_e32 v16, s27, v6
	v_add_nc_u32_e32 v5, v5, v7
	s_delay_alu instid0(VALU_DEP_1)
	v_cmpx_lt_i32_e64 v5, v16
	s_cbranch_execz .LBB27_151
; %bb.85:
	v_add_nc_u32_e32 v17, 8, v33
	v_add_nc_u32_e32 v18, 16, v33
	;; [unrolled: 1-line block ×3, first 2 shown]
	s_cmp_eq_u32 s0, 0
	s_mov_b32 s3, 0
	s_cselect_b32 s4, 1, 2
	s_cselect_b32 s5, 2, 1
	s_branch .LBB27_87
.LBB27_86:                              ;   in Loop: Header=BB27_87 Depth=1
	s_or_b32 exec_lo, exec_lo, s12
	v_add_nc_u32_e32 v5, 16, v5
	s_delay_alu instid0(VALU_DEP_1) | instskip(SKIP_1) | instid1(SALU_CYCLE_1)
	v_cmp_ge_i32_e32 vcc_lo, v5, v16
	s_or_b32 s3, vcc_lo, s3
	s_and_not1_b32 exec_lo, exec_lo, s3
	s_cbranch_execz .LBB27_151
.LBB27_87:                              ; =>This Loop Header: Depth=1
                                        ;     Child Loop BB27_89 Depth 2
                                        ;       Child Loop BB27_95 Depth 3
                                        ;       Child Loop BB27_101 Depth 3
                                        ;     Child Loop BB27_105 Depth 2
                                        ;       Child Loop BB27_111 Depth 3
                                        ;       Child Loop BB27_117 Depth 3
                                        ;     Child Loop BB27_121 Depth 2
                                        ;       Child Loop BB27_127 Depth 3
                                        ;       Child Loop BB27_133 Depth 3
                                        ;     Child Loop BB27_137 Depth 2
                                        ;       Child Loop BB27_143 Depth 3
                                        ;       Child Loop BB27_149 Depth 3
	v_lshlrev_b32_e32 v7, 2, v5
	v_ashrrev_i32_e32 v6, 31, v5
	s_mov_b32 s12, 0
	s_delay_alu instid0(VALU_DEP_2) | instskip(SKIP_1) | instid1(VALU_DEP_2)
	v_ashrrev_i32_e32 v8, 31, v7
	v_or_b32_e32 v10, s4, v7
	v_lshlrev_b64 v[8:9], 3, v[7:8]
	s_delay_alu instid0(VALU_DEP_2) | instskip(NEXT) | instid1(VALU_DEP_2)
	v_ashrrev_i32_e32 v11, 31, v10
	v_add_co_u32 v12, vcc_lo, s8, v8
	s_delay_alu instid0(VALU_DEP_3)
	v_add_co_ci_u32_e32 v13, vcc_lo, s9, v9, vcc_lo
	v_lshlrev_b64 v[8:9], 2, v[5:6]
	v_or_b32_e32 v6, s5, v7
	global_load_b64 v[14:15], v[12:13], off
	v_add_co_u32 v8, vcc_lo, s6, v8
	v_add_co_ci_u32_e32 v9, vcc_lo, s7, v9, vcc_lo
	v_ashrrev_i32_e32 v7, 31, v6
	global_load_b32 v20, v[8:9], off
	v_lshlrev_b64 v[8:9], 3, v[10:11]
	v_lshlrev_b64 v[6:7], 3, v[6:7]
	s_delay_alu instid0(VALU_DEP_1) | instskip(NEXT) | instid1(VALU_DEP_2)
	v_add_co_u32 v6, vcc_lo, s8, v6
	v_add_co_ci_u32_e32 v7, vcc_lo, s9, v7, vcc_lo
	s_delay_alu instid0(VALU_DEP_4)
	v_add_co_u32 v10, vcc_lo, s8, v8
	v_add_co_ci_u32_e32 v11, vcc_lo, s9, v9, vcc_lo
	s_clause 0x2
	global_load_b64 v[8:9], v[6:7], off
	global_load_b64 v[10:11], v[10:11], off
	global_load_b64 v[6:7], v[12:13], off offset:24
	s_waitcnt vmcnt(4)
	v_mul_f64 v[12:13], v[1:2], v[14:15]
	s_waitcnt vmcnt(3)
	v_subrev_nc_u32_e32 v20, s27, v20
	s_delay_alu instid0(VALU_DEP_1) | instskip(NEXT) | instid1(VALU_DEP_1)
	v_lshl_add_u32 v14, v20, 3, v20
	v_and_b32_e32 v21, 31, v14
	s_delay_alu instid0(VALU_DEP_1)
	v_mov_b32_e32 v22, v21
	s_branch .LBB27_89
.LBB27_88:                              ;   in Loop: Header=BB27_89 Depth=2
	s_or_b32 exec_lo, exec_lo, s13
	s_xor_b32 s13, s14, -1
	s_delay_alu instid0(SALU_CYCLE_1) | instskip(NEXT) | instid1(SALU_CYCLE_1)
	s_and_b32 s13, exec_lo, s13
	s_or_b32 s12, s13, s12
	s_delay_alu instid0(SALU_CYCLE_1)
	s_and_not1_b32 exec_lo, exec_lo, s12
	s_cbranch_execz .LBB27_103
.LBB27_89:                              ;   Parent Loop BB27_87 Depth=1
                                        ; =>  This Loop Header: Depth=2
                                        ;       Child Loop BB27_95 Depth 3
                                        ;       Child Loop BB27_101 Depth 3
	s_delay_alu instid0(VALU_DEP_1)
	v_lshl_add_u32 v14, v22, 2, v30
	s_mov_b32 s13, exec_lo
                                        ; implicit-def: $sgpr14
	ds_load_b32 v15, v14
	s_waitcnt lgkmcnt(0)
	v_cmpx_ne_u32_e64 v15, v20
	s_xor_b32 s13, exec_lo, s13
	s_cbranch_execz .LBB27_99
; %bb.90:                               ;   in Loop: Header=BB27_89 Depth=2
	s_mov_b32 s15, exec_lo
                                        ; implicit-def: $sgpr14
	v_cmpx_ne_u32_e64 s2, v15
	s_xor_b32 s15, exec_lo, s15
; %bb.91:                               ;   in Loop: Header=BB27_89 Depth=2
	v_add_nc_u32_e32 v14, 1, v22
	s_mov_b32 s14, -1
	s_delay_alu instid0(VALU_DEP_1)
	v_and_b32_e32 v22, 31, v14
                                        ; implicit-def: $vgpr14
; %bb.92:                               ;   in Loop: Header=BB27_89 Depth=2
	s_and_not1_saveexec_b32 s15, s15
	s_cbranch_execz .LBB27_98
; %bb.93:                               ;   in Loop: Header=BB27_89 Depth=2
	v_mov_b32_e32 v15, s2
	s_mov_b32 s17, -1
	s_mov_b32 s16, exec_lo
	ds_cmpstore_rtn_b32 v14, v14, v20, v15
	s_waitcnt lgkmcnt(0)
	v_cmpx_eq_u32_e64 s2, v14
	s_cbranch_execz .LBB27_97
; %bb.94:                               ;   in Loop: Header=BB27_89 Depth=2
	v_lshlrev_b32_e32 v14, 5, v22
	s_mov_b32 s17, 0
	s_delay_alu instid0(VALU_DEP_1)
	v_add_nc_u32_e32 v23, v33, v14
	ds_load_b64 v[14:15], v23
.LBB27_95:                              ;   Parent Loop BB27_87 Depth=1
                                        ;     Parent Loop BB27_89 Depth=2
                                        ; =>    This Inner Loop Header: Depth=3
	s_waitcnt lgkmcnt(0)
	v_add_f64 v[24:25], v[14:15], v[12:13]
	ds_cmpstore_rtn_b64 v[24:25], v23, v[24:25], v[14:15]
	s_waitcnt lgkmcnt(0)
	v_cmp_eq_u64_e32 vcc_lo, v[24:25], v[14:15]
	v_dual_mov_b32 v14, v24 :: v_dual_mov_b32 v15, v25
	s_or_b32 s17, vcc_lo, s17
	s_delay_alu instid0(SALU_CYCLE_1)
	s_and_not1_b32 exec_lo, exec_lo, s17
	s_cbranch_execnz .LBB27_95
; %bb.96:                               ;   in Loop: Header=BB27_89 Depth=2
	s_or_b32 exec_lo, exec_lo, s17
	s_delay_alu instid0(SALU_CYCLE_1)
	s_xor_b32 s17, exec_lo, -1
.LBB27_97:                              ;   in Loop: Header=BB27_89 Depth=2
	s_or_b32 exec_lo, exec_lo, s16
	s_delay_alu instid0(SALU_CYCLE_1) | instskip(SKIP_1) | instid1(SALU_CYCLE_1)
	s_and_not1_b32 s14, s14, exec_lo
	s_and_b32 s16, s17, exec_lo
	s_or_b32 s14, s14, s16
.LBB27_98:                              ;   in Loop: Header=BB27_89 Depth=2
	s_or_b32 exec_lo, exec_lo, s15
	s_delay_alu instid0(SALU_CYCLE_1)
	s_and_b32 s14, s14, exec_lo
.LBB27_99:                              ;   in Loop: Header=BB27_89 Depth=2
	s_and_not1_saveexec_b32 s13, s13
	s_cbranch_execz .LBB27_88
; %bb.100:                              ;   in Loop: Header=BB27_89 Depth=2
	v_lshlrev_b32_e32 v14, 5, v22
	s_mov_b32 s15, 0
	s_delay_alu instid0(VALU_DEP_1)
	v_add_nc_u32_e32 v23, v33, v14
	ds_load_b64 v[14:15], v23
.LBB27_101:                             ;   Parent Loop BB27_87 Depth=1
                                        ;     Parent Loop BB27_89 Depth=2
                                        ; =>    This Inner Loop Header: Depth=3
	s_waitcnt lgkmcnt(0)
	v_add_f64 v[24:25], v[14:15], v[12:13]
	ds_cmpstore_rtn_b64 v[24:25], v23, v[24:25], v[14:15]
	s_waitcnt lgkmcnt(0)
	v_cmp_eq_u64_e32 vcc_lo, v[24:25], v[14:15]
	v_dual_mov_b32 v14, v24 :: v_dual_mov_b32 v15, v25
	s_or_b32 s15, vcc_lo, s15
	s_delay_alu instid0(SALU_CYCLE_1)
	s_and_not1_b32 exec_lo, exec_lo, s15
	s_cbranch_execnz .LBB27_101
; %bb.102:                              ;   in Loop: Header=BB27_89 Depth=2
	s_or_b32 exec_lo, exec_lo, s15
	s_delay_alu instid0(SALU_CYCLE_1)
	s_and_not1_b32 s14, s14, exec_lo
	s_branch .LBB27_88
.LBB27_103:                             ;   in Loop: Header=BB27_87 Depth=1
	s_or_b32 exec_lo, exec_lo, s12
	s_waitcnt vmcnt(1)
	v_mul_f64 v[10:11], v[1:2], v[10:11]
	v_mov_b32_e32 v14, v21
	s_mov_b32 s12, 0
	s_branch .LBB27_105
.LBB27_104:                             ;   in Loop: Header=BB27_105 Depth=2
	s_or_b32 exec_lo, exec_lo, s13
	s_xor_b32 s13, s14, -1
	s_delay_alu instid0(SALU_CYCLE_1) | instskip(NEXT) | instid1(SALU_CYCLE_1)
	s_and_b32 s13, exec_lo, s13
	s_or_b32 s12, s13, s12
	s_delay_alu instid0(SALU_CYCLE_1)
	s_and_not1_b32 exec_lo, exec_lo, s12
	s_cbranch_execz .LBB27_119
.LBB27_105:                             ;   Parent Loop BB27_87 Depth=1
                                        ; =>  This Loop Header: Depth=2
                                        ;       Child Loop BB27_111 Depth 3
                                        ;       Child Loop BB27_117 Depth 3
	s_delay_alu instid0(VALU_DEP_1)
	v_lshl_add_u32 v12, v14, 2, v30
	s_mov_b32 s13, exec_lo
                                        ; implicit-def: $sgpr14
	ds_load_b32 v13, v12
	s_waitcnt lgkmcnt(0)
	v_cmpx_ne_u32_e64 v13, v20
	s_xor_b32 s13, exec_lo, s13
	s_cbranch_execz .LBB27_115
; %bb.106:                              ;   in Loop: Header=BB27_105 Depth=2
	s_mov_b32 s15, exec_lo
                                        ; implicit-def: $sgpr14
	v_cmpx_ne_u32_e64 s2, v13
	s_xor_b32 s15, exec_lo, s15
; %bb.107:                              ;   in Loop: Header=BB27_105 Depth=2
	v_add_nc_u32_e32 v12, 1, v14
	s_mov_b32 s14, -1
	s_delay_alu instid0(VALU_DEP_1)
	v_and_b32_e32 v14, 31, v12
                                        ; implicit-def: $vgpr12
; %bb.108:                              ;   in Loop: Header=BB27_105 Depth=2
	s_and_not1_saveexec_b32 s15, s15
	s_cbranch_execz .LBB27_114
; %bb.109:                              ;   in Loop: Header=BB27_105 Depth=2
	v_mov_b32_e32 v13, s2
	s_mov_b32 s17, -1
	s_mov_b32 s16, exec_lo
	ds_cmpstore_rtn_b32 v12, v12, v20, v13
	s_waitcnt lgkmcnt(0)
	v_cmpx_eq_u32_e64 s2, v12
	s_cbranch_execz .LBB27_113
; %bb.110:                              ;   in Loop: Header=BB27_105 Depth=2
	v_lshl_add_u32 v15, v14, 5, v17
	s_mov_b32 s17, 0
	ds_load_b64 v[12:13], v15
.LBB27_111:                             ;   Parent Loop BB27_87 Depth=1
                                        ;     Parent Loop BB27_105 Depth=2
                                        ; =>    This Inner Loop Header: Depth=3
	s_waitcnt lgkmcnt(0)
	v_add_f64 v[22:23], v[12:13], v[10:11]
	ds_cmpstore_rtn_b64 v[22:23], v15, v[22:23], v[12:13]
	s_waitcnt lgkmcnt(0)
	v_cmp_eq_u64_e32 vcc_lo, v[22:23], v[12:13]
	v_dual_mov_b32 v12, v22 :: v_dual_mov_b32 v13, v23
	s_or_b32 s17, vcc_lo, s17
	s_delay_alu instid0(SALU_CYCLE_1)
	s_and_not1_b32 exec_lo, exec_lo, s17
	s_cbranch_execnz .LBB27_111
; %bb.112:                              ;   in Loop: Header=BB27_105 Depth=2
	s_or_b32 exec_lo, exec_lo, s17
	s_delay_alu instid0(SALU_CYCLE_1)
	s_xor_b32 s17, exec_lo, -1
.LBB27_113:                             ;   in Loop: Header=BB27_105 Depth=2
	s_or_b32 exec_lo, exec_lo, s16
	s_delay_alu instid0(SALU_CYCLE_1) | instskip(SKIP_1) | instid1(SALU_CYCLE_1)
	s_and_not1_b32 s14, s14, exec_lo
	s_and_b32 s16, s17, exec_lo
	s_or_b32 s14, s14, s16
.LBB27_114:                             ;   in Loop: Header=BB27_105 Depth=2
	s_or_b32 exec_lo, exec_lo, s15
	s_delay_alu instid0(SALU_CYCLE_1)
	s_and_b32 s14, s14, exec_lo
.LBB27_115:                             ;   in Loop: Header=BB27_105 Depth=2
	s_and_not1_saveexec_b32 s13, s13
	s_cbranch_execz .LBB27_104
; %bb.116:                              ;   in Loop: Header=BB27_105 Depth=2
	v_lshl_add_u32 v15, v14, 5, v17
	s_mov_b32 s15, 0
	ds_load_b64 v[12:13], v15
.LBB27_117:                             ;   Parent Loop BB27_87 Depth=1
                                        ;     Parent Loop BB27_105 Depth=2
                                        ; =>    This Inner Loop Header: Depth=3
	s_waitcnt lgkmcnt(0)
	v_add_f64 v[22:23], v[12:13], v[10:11]
	ds_cmpstore_rtn_b64 v[22:23], v15, v[22:23], v[12:13]
	s_waitcnt lgkmcnt(0)
	v_cmp_eq_u64_e32 vcc_lo, v[22:23], v[12:13]
	v_dual_mov_b32 v12, v22 :: v_dual_mov_b32 v13, v23
	s_or_b32 s15, vcc_lo, s15
	s_delay_alu instid0(SALU_CYCLE_1)
	s_and_not1_b32 exec_lo, exec_lo, s15
	s_cbranch_execnz .LBB27_117
; %bb.118:                              ;   in Loop: Header=BB27_105 Depth=2
	s_or_b32 exec_lo, exec_lo, s15
	s_delay_alu instid0(SALU_CYCLE_1)
	s_and_not1_b32 s14, s14, exec_lo
	s_branch .LBB27_104
.LBB27_119:                             ;   in Loop: Header=BB27_87 Depth=1
	s_or_b32 exec_lo, exec_lo, s12
	v_mul_f64 v[8:9], v[1:2], v[8:9]
	v_mov_b32_e32 v12, v21
	s_mov_b32 s12, 0
	s_branch .LBB27_121
.LBB27_120:                             ;   in Loop: Header=BB27_121 Depth=2
	s_or_b32 exec_lo, exec_lo, s13
	s_xor_b32 s13, s14, -1
	s_delay_alu instid0(SALU_CYCLE_1) | instskip(NEXT) | instid1(SALU_CYCLE_1)
	s_and_b32 s13, exec_lo, s13
	s_or_b32 s12, s13, s12
	s_delay_alu instid0(SALU_CYCLE_1)
	s_and_not1_b32 exec_lo, exec_lo, s12
	s_cbranch_execz .LBB27_135
.LBB27_121:                             ;   Parent Loop BB27_87 Depth=1
                                        ; =>  This Loop Header: Depth=2
                                        ;       Child Loop BB27_127 Depth 3
                                        ;       Child Loop BB27_133 Depth 3
	s_delay_alu instid0(VALU_DEP_1)
	v_lshl_add_u32 v10, v12, 2, v30
	s_mov_b32 s13, exec_lo
                                        ; implicit-def: $sgpr14
	ds_load_b32 v11, v10
	s_waitcnt lgkmcnt(0)
	v_cmpx_ne_u32_e64 v11, v20
	s_xor_b32 s13, exec_lo, s13
	s_cbranch_execz .LBB27_131
; %bb.122:                              ;   in Loop: Header=BB27_121 Depth=2
	s_mov_b32 s15, exec_lo
                                        ; implicit-def: $sgpr14
	v_cmpx_ne_u32_e64 s2, v11
	s_xor_b32 s15, exec_lo, s15
; %bb.123:                              ;   in Loop: Header=BB27_121 Depth=2
	v_add_nc_u32_e32 v10, 1, v12
	s_mov_b32 s14, -1
	s_delay_alu instid0(VALU_DEP_1)
	v_and_b32_e32 v12, 31, v10
                                        ; implicit-def: $vgpr10
; %bb.124:                              ;   in Loop: Header=BB27_121 Depth=2
	s_and_not1_saveexec_b32 s15, s15
	s_cbranch_execz .LBB27_130
; %bb.125:                              ;   in Loop: Header=BB27_121 Depth=2
	v_mov_b32_e32 v11, s2
	s_mov_b32 s17, -1
	s_mov_b32 s16, exec_lo
	ds_cmpstore_rtn_b32 v10, v10, v20, v11
	s_waitcnt lgkmcnt(0)
	v_cmpx_eq_u32_e64 s2, v10
	s_cbranch_execz .LBB27_129
; %bb.126:                              ;   in Loop: Header=BB27_121 Depth=2
	v_lshl_add_u32 v13, v12, 5, v18
	s_mov_b32 s17, 0
	ds_load_b64 v[10:11], v13
.LBB27_127:                             ;   Parent Loop BB27_87 Depth=1
                                        ;     Parent Loop BB27_121 Depth=2
                                        ; =>    This Inner Loop Header: Depth=3
	s_waitcnt lgkmcnt(0)
	v_add_f64 v[14:15], v[10:11], v[8:9]
	ds_cmpstore_rtn_b64 v[14:15], v13, v[14:15], v[10:11]
	s_waitcnt lgkmcnt(0)
	v_cmp_eq_u64_e32 vcc_lo, v[14:15], v[10:11]
	v_dual_mov_b32 v10, v14 :: v_dual_mov_b32 v11, v15
	s_or_b32 s17, vcc_lo, s17
	s_delay_alu instid0(SALU_CYCLE_1)
	s_and_not1_b32 exec_lo, exec_lo, s17
	s_cbranch_execnz .LBB27_127
; %bb.128:                              ;   in Loop: Header=BB27_121 Depth=2
	s_or_b32 exec_lo, exec_lo, s17
	s_delay_alu instid0(SALU_CYCLE_1)
	s_xor_b32 s17, exec_lo, -1
.LBB27_129:                             ;   in Loop: Header=BB27_121 Depth=2
	s_or_b32 exec_lo, exec_lo, s16
	s_delay_alu instid0(SALU_CYCLE_1) | instskip(SKIP_1) | instid1(SALU_CYCLE_1)
	s_and_not1_b32 s14, s14, exec_lo
	s_and_b32 s16, s17, exec_lo
	s_or_b32 s14, s14, s16
.LBB27_130:                             ;   in Loop: Header=BB27_121 Depth=2
	s_or_b32 exec_lo, exec_lo, s15
	s_delay_alu instid0(SALU_CYCLE_1)
	s_and_b32 s14, s14, exec_lo
.LBB27_131:                             ;   in Loop: Header=BB27_121 Depth=2
	s_and_not1_saveexec_b32 s13, s13
	s_cbranch_execz .LBB27_120
; %bb.132:                              ;   in Loop: Header=BB27_121 Depth=2
	v_lshl_add_u32 v13, v12, 5, v18
	s_mov_b32 s15, 0
	ds_load_b64 v[10:11], v13
.LBB27_133:                             ;   Parent Loop BB27_87 Depth=1
                                        ;     Parent Loop BB27_121 Depth=2
                                        ; =>    This Inner Loop Header: Depth=3
	s_waitcnt lgkmcnt(0)
	v_add_f64 v[14:15], v[10:11], v[8:9]
	ds_cmpstore_rtn_b64 v[14:15], v13, v[14:15], v[10:11]
	s_waitcnt lgkmcnt(0)
	v_cmp_eq_u64_e32 vcc_lo, v[14:15], v[10:11]
	v_dual_mov_b32 v10, v14 :: v_dual_mov_b32 v11, v15
	s_or_b32 s15, vcc_lo, s15
	s_delay_alu instid0(SALU_CYCLE_1)
	s_and_not1_b32 exec_lo, exec_lo, s15
	s_cbranch_execnz .LBB27_133
; %bb.134:                              ;   in Loop: Header=BB27_121 Depth=2
	s_or_b32 exec_lo, exec_lo, s15
	s_delay_alu instid0(SALU_CYCLE_1)
	s_and_not1_b32 s14, s14, exec_lo
	s_branch .LBB27_120
.LBB27_135:                             ;   in Loop: Header=BB27_87 Depth=1
	s_or_b32 exec_lo, exec_lo, s12
	s_waitcnt vmcnt(0)
	v_mul_f64 v[6:7], v[1:2], v[6:7]
	s_mov_b32 s12, 0
	s_branch .LBB27_137
.LBB27_136:                             ;   in Loop: Header=BB27_137 Depth=2
	s_or_b32 exec_lo, exec_lo, s13
	s_xor_b32 s13, s14, -1
	s_delay_alu instid0(SALU_CYCLE_1) | instskip(NEXT) | instid1(SALU_CYCLE_1)
	s_and_b32 s13, exec_lo, s13
	s_or_b32 s12, s13, s12
	s_delay_alu instid0(SALU_CYCLE_1)
	s_and_not1_b32 exec_lo, exec_lo, s12
	s_cbranch_execz .LBB27_86
.LBB27_137:                             ;   Parent Loop BB27_87 Depth=1
                                        ; =>  This Loop Header: Depth=2
                                        ;       Child Loop BB27_143 Depth 3
                                        ;       Child Loop BB27_149 Depth 3
	v_lshl_add_u32 v8, v21, 2, v30
	s_mov_b32 s13, exec_lo
                                        ; implicit-def: $sgpr14
	ds_load_b32 v9, v8
	s_waitcnt lgkmcnt(0)
	v_cmpx_ne_u32_e64 v9, v20
	s_xor_b32 s13, exec_lo, s13
	s_cbranch_execz .LBB27_147
; %bb.138:                              ;   in Loop: Header=BB27_137 Depth=2
	s_mov_b32 s15, exec_lo
                                        ; implicit-def: $sgpr14
	v_cmpx_ne_u32_e64 s2, v9
	s_xor_b32 s15, exec_lo, s15
; %bb.139:                              ;   in Loop: Header=BB27_137 Depth=2
	v_add_nc_u32_e32 v8, 1, v21
	s_mov_b32 s14, -1
	s_delay_alu instid0(VALU_DEP_1)
	v_and_b32_e32 v21, 31, v8
                                        ; implicit-def: $vgpr8
; %bb.140:                              ;   in Loop: Header=BB27_137 Depth=2
	s_and_not1_saveexec_b32 s15, s15
	s_cbranch_execz .LBB27_146
; %bb.141:                              ;   in Loop: Header=BB27_137 Depth=2
	v_mov_b32_e32 v9, s2
	s_mov_b32 s17, -1
	s_mov_b32 s16, exec_lo
	ds_cmpstore_rtn_b32 v8, v8, v20, v9
	s_waitcnt lgkmcnt(0)
	v_cmpx_eq_u32_e64 s2, v8
	s_cbranch_execz .LBB27_145
; %bb.142:                              ;   in Loop: Header=BB27_137 Depth=2
	v_lshl_add_u32 v10, v21, 5, v19
	s_mov_b32 s17, 0
	ds_load_b64 v[8:9], v10
.LBB27_143:                             ;   Parent Loop BB27_87 Depth=1
                                        ;     Parent Loop BB27_137 Depth=2
                                        ; =>    This Inner Loop Header: Depth=3
	s_waitcnt lgkmcnt(0)
	v_add_f64 v[11:12], v[8:9], v[6:7]
	ds_cmpstore_rtn_b64 v[11:12], v10, v[11:12], v[8:9]
	s_waitcnt lgkmcnt(0)
	v_cmp_eq_u64_e32 vcc_lo, v[11:12], v[8:9]
	v_dual_mov_b32 v8, v11 :: v_dual_mov_b32 v9, v12
	s_or_b32 s17, vcc_lo, s17
	s_delay_alu instid0(SALU_CYCLE_1)
	s_and_not1_b32 exec_lo, exec_lo, s17
	s_cbranch_execnz .LBB27_143
; %bb.144:                              ;   in Loop: Header=BB27_137 Depth=2
	s_or_b32 exec_lo, exec_lo, s17
	s_delay_alu instid0(SALU_CYCLE_1)
	s_xor_b32 s17, exec_lo, -1
.LBB27_145:                             ;   in Loop: Header=BB27_137 Depth=2
	s_or_b32 exec_lo, exec_lo, s16
	s_delay_alu instid0(SALU_CYCLE_1) | instskip(SKIP_1) | instid1(SALU_CYCLE_1)
	s_and_not1_b32 s14, s14, exec_lo
	s_and_b32 s16, s17, exec_lo
	s_or_b32 s14, s14, s16
.LBB27_146:                             ;   in Loop: Header=BB27_137 Depth=2
	s_or_b32 exec_lo, exec_lo, s15
	s_delay_alu instid0(SALU_CYCLE_1)
	s_and_b32 s14, s14, exec_lo
.LBB27_147:                             ;   in Loop: Header=BB27_137 Depth=2
	s_and_not1_saveexec_b32 s13, s13
	s_cbranch_execz .LBB27_136
; %bb.148:                              ;   in Loop: Header=BB27_137 Depth=2
	v_lshl_add_u32 v10, v21, 5, v19
	s_mov_b32 s15, 0
	ds_load_b64 v[8:9], v10
.LBB27_149:                             ;   Parent Loop BB27_87 Depth=1
                                        ;     Parent Loop BB27_137 Depth=2
                                        ; =>    This Inner Loop Header: Depth=3
	s_waitcnt lgkmcnt(0)
	v_add_f64 v[11:12], v[8:9], v[6:7]
	ds_cmpstore_rtn_b64 v[11:12], v10, v[11:12], v[8:9]
	s_waitcnt lgkmcnt(0)
	v_cmp_eq_u64_e32 vcc_lo, v[11:12], v[8:9]
	v_dual_mov_b32 v8, v11 :: v_dual_mov_b32 v9, v12
	s_or_b32 s15, vcc_lo, s15
	s_delay_alu instid0(SALU_CYCLE_1)
	s_and_not1_b32 exec_lo, exec_lo, s15
	s_cbranch_execnz .LBB27_149
; %bb.150:                              ;   in Loop: Header=BB27_137 Depth=2
	s_or_b32 exec_lo, exec_lo, s15
	s_delay_alu instid0(SALU_CYCLE_1)
	s_and_not1_b32 s14, s14, exec_lo
	s_branch .LBB27_136
.LBB27_151:
	s_or_b32 exec_lo, exec_lo, s1
.LBB27_152:
	v_add_co_u32 v1, vcc_lo, s10, v3
	v_add_co_ci_u32_e32 v2, vcc_lo, s11, v4, vcc_lo
	buffer_gl0_inv
	s_cmp_eq_u32 s0, 0
	s_mov_b32 s0, 0
	global_load_b32 v1, v[1:2], off
	v_lshl_add_u32 v2, v31, 5, v32
	s_cselect_b32 s1, 8, 16
	s_cselect_b32 s3, 16, 8
	s_waitcnt vmcnt(0)
	v_subrev_nc_u32_e32 v1, s26, v1
	s_branch .LBB27_154
.LBB27_153:                             ;   in Loop: Header=BB27_154 Depth=1
	s_or_b32 exec_lo, exec_lo, s4
	v_add_co_u32 v29, s4, v29, 16
	s_delay_alu instid0(VALU_DEP_1) | instskip(SKIP_3) | instid1(SALU_CYCLE_1)
	s_xor_b32 s4, s4, -1
	v_add_nc_u32_e32 v2, 0x200, v2
	v_add_nc_u32_e32 v0, 64, v0
	s_and_b32 s4, exec_lo, s4
	s_or_b32 s0, s4, s0
	s_delay_alu instid0(SALU_CYCLE_1)
	s_and_not1_b32 exec_lo, exec_lo, s0
	s_cbranch_execz .LBB27_156
.LBB27_154:                             ; =>This Inner Loop Header: Depth=1
	ds_load_b32 v3, v0
	s_mov_b32 s4, exec_lo
	s_waitcnt lgkmcnt(0)
	v_cmpx_gt_i32_e64 s2, v3
	s_cbranch_execz .LBB27_153
; %bb.155:                              ;   in Loop: Header=BB27_154 Depth=1
	ds_load_b128 v[4:7], v30
	ds_load_b128 v[8:11], v30 offset:16
	ds_load_b128 v[12:15], v30 offset:32
	;; [unrolled: 1-line block ×7, first 2 shown]
	ds_load_2addr_b64 v[39:42], v2 offset1:3
	s_waitcnt lgkmcnt(8)
	v_cmp_gt_i32_e32 vcc_lo, v3, v4
	v_cndmask_b32_e64 v4, 0, 1, vcc_lo
	v_cmp_gt_i32_e32 vcc_lo, v3, v6
	v_cndmask_b32_e64 v6, 0, 1, vcc_lo
	v_cmp_gt_i32_e32 vcc_lo, v3, v5
	s_delay_alu instid0(VALU_DEP_4)
	v_add_co_ci_u32_e32 v4, vcc_lo, v1, v4, vcc_lo
	s_waitcnt lgkmcnt(7)
	v_cmp_gt_i32_e32 vcc_lo, v3, v8
	v_cndmask_b32_e64 v5, 0, 1, vcc_lo
	v_cmp_gt_i32_e32 vcc_lo, v3, v7
	v_add_co_ci_u32_e32 v4, vcc_lo, v4, v6, vcc_lo
	v_cmp_gt_i32_e32 vcc_lo, v3, v10
	v_cndmask_b32_e64 v6, 0, 1, vcc_lo
	v_cmp_gt_i32_e32 vcc_lo, v3, v9
	s_delay_alu instid0(VALU_DEP_4)
	v_add_co_ci_u32_e32 v4, vcc_lo, v4, v5, vcc_lo
	s_waitcnt lgkmcnt(6)
	v_cmp_gt_i32_e32 vcc_lo, v3, v12
	v_cndmask_b32_e64 v5, 0, 1, vcc_lo
	v_cmp_gt_i32_e32 vcc_lo, v3, v11
	v_add_nc_u32_e32 v11, s3, v2
	v_add_co_ci_u32_e32 v4, vcc_lo, v4, v6, vcc_lo
	v_cmp_gt_i32_e32 vcc_lo, v3, v14
	v_cndmask_b32_e64 v6, 0, 1, vcc_lo
	v_cmp_gt_i32_e32 vcc_lo, v3, v13
	s_delay_alu instid0(VALU_DEP_4)
	v_add_co_ci_u32_e32 v4, vcc_lo, v4, v5, vcc_lo
	s_waitcnt lgkmcnt(5)
	v_cmp_gt_i32_e32 vcc_lo, v3, v16
	v_cndmask_b32_e64 v5, 0, 1, vcc_lo
	v_cmp_gt_i32_e32 vcc_lo, v3, v15
	v_add_co_ci_u32_e32 v4, vcc_lo, v4, v6, vcc_lo
	v_cmp_gt_i32_e32 vcc_lo, v3, v18
	v_cndmask_b32_e64 v6, 0, 1, vcc_lo
	v_cmp_gt_i32_e32 vcc_lo, v3, v17
	s_delay_alu instid0(VALU_DEP_4)
	v_add_co_ci_u32_e32 v4, vcc_lo, v4, v5, vcc_lo
	s_waitcnt lgkmcnt(4)
	v_cmp_gt_i32_e32 vcc_lo, v3, v20
	v_cndmask_b32_e64 v5, 0, 1, vcc_lo
	v_cmp_gt_i32_e32 vcc_lo, v3, v19
	;; [unrolled: 10-line block ×5, first 2 shown]
	v_add_co_ci_u32_e32 v4, vcc_lo, v4, v6, vcc_lo
	v_cmp_gt_i32_e32 vcc_lo, v3, v37
	v_cndmask_b32_e64 v6, 0, 1, vcc_lo
	v_cmp_gt_i32_e32 vcc_lo, v3, v36
	s_delay_alu instid0(VALU_DEP_4)
	v_add_co_ci_u32_e32 v4, vcc_lo, v4, v5, vcc_lo
	v_cmp_gt_i32_e32 vcc_lo, v3, v38
	s_waitcnt lgkmcnt(0)
	v_mov_b32_e32 v5, v40
	v_add_nc_u32_e32 v3, s26, v3
	v_add_co_ci_u32_e32 v8, vcc_lo, v4, v6, vcc_lo
	v_mov_b32_e32 v4, v39
	v_add_nc_u32_e32 v6, s1, v2
	ds_load_b64 v[6:7], v6
	ds_load_b64 v[39:40], v11
	v_lshlrev_b32_e32 v10, 2, v8
	v_ashrrev_i32_e32 v9, 31, v8
	s_delay_alu instid0(VALU_DEP_2) | instskip(NEXT) | instid1(VALU_DEP_2)
	v_ashrrev_i32_e32 v11, 31, v10
	v_lshlrev_b64 v[8:9], 2, v[8:9]
	s_delay_alu instid0(VALU_DEP_2) | instskip(NEXT) | instid1(VALU_DEP_2)
	v_lshlrev_b64 v[10:11], 3, v[10:11]
	v_add_co_u32 v8, vcc_lo, s28, v8
	s_delay_alu instid0(VALU_DEP_3) | instskip(NEXT) | instid1(VALU_DEP_3)
	v_add_co_ci_u32_e32 v9, vcc_lo, s29, v9, vcc_lo
	v_add_co_u32 v10, vcc_lo, s30, v10
	s_delay_alu instid0(VALU_DEP_4)
	v_add_co_ci_u32_e32 v11, vcc_lo, s31, v11, vcc_lo
	global_store_b32 v[8:9], v3, off
	s_waitcnt lgkmcnt(1)
	global_store_b128 v[10:11], v[4:7], off
	s_waitcnt lgkmcnt(0)
	global_store_b128 v[10:11], v[39:42], off offset:16
	s_branch .LBB27_153
.LBB27_156:
	s_nop 0
	s_sendmsg sendmsg(MSG_DEALLOC_VGPRS)
	s_endpgm
	.section	.rodata,"a",@progbits
	.p2align	6, 0x0
	.amdhsa_kernel _ZN9rocsparseL27bsrgemm_fill_wf_per_row_2x2ILj256ELj16ELj32ELj137EiidEEv20rocsparse_direction_T4_S2_PKS2_S4_NS_24const_host_device_scalarIT5_EEPKT3_S4_PKS6_SA_S4_SC_S7_SA_S4_SC_SA_PS2_PS6_21rocsparse_index_base_SF_SF_SF_bbb
		.amdhsa_group_segment_fixed_size 18432
		.amdhsa_private_segment_fixed_size 0
		.amdhsa_kernarg_size 164
		.amdhsa_user_sgpr_count 15
		.amdhsa_user_sgpr_dispatch_ptr 0
		.amdhsa_user_sgpr_queue_ptr 0
		.amdhsa_user_sgpr_kernarg_segment_ptr 1
		.amdhsa_user_sgpr_dispatch_id 0
		.amdhsa_user_sgpr_private_segment_size 0
		.amdhsa_wavefront_size32 1
		.amdhsa_uses_dynamic_stack 0
		.amdhsa_enable_private_segment 0
		.amdhsa_system_sgpr_workgroup_id_x 1
		.amdhsa_system_sgpr_workgroup_id_y 0
		.amdhsa_system_sgpr_workgroup_id_z 0
		.amdhsa_system_sgpr_workgroup_info 0
		.amdhsa_system_vgpr_workitem_id 0
		.amdhsa_next_free_vgpr 45
		.amdhsa_next_free_sgpr 44
		.amdhsa_reserve_vcc 1
		.amdhsa_float_round_mode_32 0
		.amdhsa_float_round_mode_16_64 0
		.amdhsa_float_denorm_mode_32 3
		.amdhsa_float_denorm_mode_16_64 3
		.amdhsa_dx10_clamp 1
		.amdhsa_ieee_mode 1
		.amdhsa_fp16_overflow 0
		.amdhsa_workgroup_processor_mode 1
		.amdhsa_memory_ordered 1
		.amdhsa_forward_progress 0
		.amdhsa_shared_vgpr_count 0
		.amdhsa_exception_fp_ieee_invalid_op 0
		.amdhsa_exception_fp_denorm_src 0
		.amdhsa_exception_fp_ieee_div_zero 0
		.amdhsa_exception_fp_ieee_overflow 0
		.amdhsa_exception_fp_ieee_underflow 0
		.amdhsa_exception_fp_ieee_inexact 0
		.amdhsa_exception_int_div_zero 0
	.end_amdhsa_kernel
	.section	.text._ZN9rocsparseL27bsrgemm_fill_wf_per_row_2x2ILj256ELj16ELj32ELj137EiidEEv20rocsparse_direction_T4_S2_PKS2_S4_NS_24const_host_device_scalarIT5_EEPKT3_S4_PKS6_SA_S4_SC_S7_SA_S4_SC_SA_PS2_PS6_21rocsparse_index_base_SF_SF_SF_bbb,"axG",@progbits,_ZN9rocsparseL27bsrgemm_fill_wf_per_row_2x2ILj256ELj16ELj32ELj137EiidEEv20rocsparse_direction_T4_S2_PKS2_S4_NS_24const_host_device_scalarIT5_EEPKT3_S4_PKS6_SA_S4_SC_S7_SA_S4_SC_SA_PS2_PS6_21rocsparse_index_base_SF_SF_SF_bbb,comdat
.Lfunc_end27:
	.size	_ZN9rocsparseL27bsrgemm_fill_wf_per_row_2x2ILj256ELj16ELj32ELj137EiidEEv20rocsparse_direction_T4_S2_PKS2_S4_NS_24const_host_device_scalarIT5_EEPKT3_S4_PKS6_SA_S4_SC_S7_SA_S4_SC_SA_PS2_PS6_21rocsparse_index_base_SF_SF_SF_bbb, .Lfunc_end27-_ZN9rocsparseL27bsrgemm_fill_wf_per_row_2x2ILj256ELj16ELj32ELj137EiidEEv20rocsparse_direction_T4_S2_PKS2_S4_NS_24const_host_device_scalarIT5_EEPKT3_S4_PKS6_SA_S4_SC_S7_SA_S4_SC_SA_PS2_PS6_21rocsparse_index_base_SF_SF_SF_bbb
                                        ; -- End function
	.section	.AMDGPU.csdata,"",@progbits
; Kernel info:
; codeLenInByte = 5496
; NumSgprs: 46
; NumVgprs: 45
; ScratchSize: 0
; MemoryBound: 0
; FloatMode: 240
; IeeeMode: 1
; LDSByteSize: 18432 bytes/workgroup (compile time only)
; SGPRBlocks: 5
; VGPRBlocks: 5
; NumSGPRsForWavesPerEU: 46
; NumVGPRsForWavesPerEU: 45
; Occupancy: 14
; WaveLimiterHint : 1
; COMPUTE_PGM_RSRC2:SCRATCH_EN: 0
; COMPUTE_PGM_RSRC2:USER_SGPR: 15
; COMPUTE_PGM_RSRC2:TRAP_HANDLER: 0
; COMPUTE_PGM_RSRC2:TGID_X_EN: 1
; COMPUTE_PGM_RSRC2:TGID_Y_EN: 0
; COMPUTE_PGM_RSRC2:TGID_Z_EN: 0
; COMPUTE_PGM_RSRC2:TIDIG_COMP_CNT: 0
	.section	.text._ZN9rocsparseL30bsrgemm_fill_block_per_row_2x2ILj256ELj16ELj64ELj137EiidEEv20rocsparse_direction_T4_S2_PKS2_S4_NS_24const_host_device_scalarIT5_EEPKT3_S4_PKS6_SA_S4_SC_S7_SA_S4_SC_SA_PS2_PS6_21rocsparse_index_base_SF_SF_SF_bbb,"axG",@progbits,_ZN9rocsparseL30bsrgemm_fill_block_per_row_2x2ILj256ELj16ELj64ELj137EiidEEv20rocsparse_direction_T4_S2_PKS2_S4_NS_24const_host_device_scalarIT5_EEPKT3_S4_PKS6_SA_S4_SC_S7_SA_S4_SC_SA_PS2_PS6_21rocsparse_index_base_SF_SF_SF_bbb,comdat
	.globl	_ZN9rocsparseL30bsrgemm_fill_block_per_row_2x2ILj256ELj16ELj64ELj137EiidEEv20rocsparse_direction_T4_S2_PKS2_S4_NS_24const_host_device_scalarIT5_EEPKT3_S4_PKS6_SA_S4_SC_S7_SA_S4_SC_SA_PS2_PS6_21rocsparse_index_base_SF_SF_SF_bbb ; -- Begin function _ZN9rocsparseL30bsrgemm_fill_block_per_row_2x2ILj256ELj16ELj64ELj137EiidEEv20rocsparse_direction_T4_S2_PKS2_S4_NS_24const_host_device_scalarIT5_EEPKT3_S4_PKS6_SA_S4_SC_S7_SA_S4_SC_SA_PS2_PS6_21rocsparse_index_base_SF_SF_SF_bbb
	.p2align	8
	.type	_ZN9rocsparseL30bsrgemm_fill_block_per_row_2x2ILj256ELj16ELj64ELj137EiidEEv20rocsparse_direction_T4_S2_PKS2_S4_NS_24const_host_device_scalarIT5_EEPKT3_S4_PKS6_SA_S4_SC_S7_SA_S4_SC_SA_PS2_PS6_21rocsparse_index_base_SF_SF_SF_bbb,@function
_ZN9rocsparseL30bsrgemm_fill_block_per_row_2x2ILj256ELj16ELj64ELj137EiidEEv20rocsparse_direction_T4_S2_PKS2_S4_NS_24const_host_device_scalarIT5_EEPKT3_S4_PKS6_SA_S4_SC_S7_SA_S4_SC_SA_PS2_PS6_21rocsparse_index_base_SF_SF_SF_bbb: ; @_ZN9rocsparseL30bsrgemm_fill_block_per_row_2x2ILj256ELj16ELj64ELj137EiidEEv20rocsparse_direction_T4_S2_PKS2_S4_NS_24const_host_device_scalarIT5_EEPKT3_S4_PKS6_SA_S4_SC_S7_SA_S4_SC_SA_PS2_PS6_21rocsparse_index_base_SF_SF_SF_bbb
; %bb.0:
	s_clause 0x2
	s_load_b32 s7, s[0:1], 0xa0
	s_load_b64 s[4:5], s[0:1], 0x20
	s_load_b64 s[2:3], s[0:1], 0x58
	s_mov_b32 s16, s15
	s_waitcnt lgkmcnt(0)
	s_and_b32 s6, 1, s7
	s_bitcmp1_b32 s7, 16
	s_cselect_b32 s8, -1, 0
	s_cmp_eq_u32 s6, 1
	s_cselect_b32 s6, -1, 0
	s_delay_alu instid0(SALU_CYCLE_1)
	s_and_b32 s9, s6, exec_lo
	s_cselect_b32 s11, s5, 0
	s_cselect_b32 s10, s4, 0
	s_xor_b32 s9, s6, -1
	v_dual_mov_b32 v3, s10 :: v_dual_mov_b32 v4, s11
	s_or_b32 s9, s9, s8
	s_delay_alu instid0(SALU_CYCLE_1)
	s_and_b32 vcc_lo, exec_lo, s9
	s_cbranch_vccnz .LBB28_2
; %bb.1:
	v_dual_mov_b32 v1, s4 :: v_dual_mov_b32 v2, s5
	flat_load_b64 v[3:4], v[1:2]
.LBB28_2:
	s_bitcmp1_b32 s7, 8
	s_cselect_b32 s21, -1, 0
	s_delay_alu instid0(SALU_CYCLE_1)
	s_and_b32 s4, s21, exec_lo
	s_cselect_b32 s5, s3, 0
	s_cselect_b32 s4, s2, 0
	s_xor_b32 s7, s21, -1
	v_dual_mov_b32 v1, s4 :: v_dual_mov_b32 v2, s5
	s_or_b32 s7, s7, s8
	s_delay_alu instid0(SALU_CYCLE_1)
	s_and_b32 vcc_lo, exec_lo, s7
	s_cbranch_vccnz .LBB28_4
; %bb.3:
	v_dual_mov_b32 v1, s2 :: v_dual_mov_b32 v2, s3
	flat_load_b64 v[1:2], v[1:2]
.LBB28_4:
	s_load_b32 s20, s[0:1], 0x8
	v_cmp_gt_u32_e64 s2, 64, v0
	v_lshl_add_u32 v28, v0, 2, 0
	s_delay_alu instid0(VALU_DEP_2)
	s_and_saveexec_b32 s3, s2
	s_cbranch_execz .LBB28_6
; %bb.5:
	s_waitcnt lgkmcnt(0)
	v_mov_b32_e32 v5, s20
	ds_store_b32 v28, v5
.LBB28_6:
	s_or_b32 exec_lo, exec_lo, s3
	s_clause 0x1
	s_load_b128 s[12:15], s[0:1], 0x90
	s_load_b64 s[4:5], s[0:1], 0x18
	s_mov_b32 s3, exec_lo
	v_cmpx_gt_u32_e32 0x100, v0
	s_cbranch_execz .LBB28_8
; %bb.7:
	v_mov_b32_e32 v5, 0
	v_lshl_add_u32 v7, v0, 3, 0
	s_delay_alu instid0(VALU_DEP_2)
	v_mov_b32_e32 v6, v5
	ds_store_b64 v7, v[5:6] offset:256
.LBB28_8:
	s_or_b32 exec_lo, exec_lo, s3
	s_waitcnt lgkmcnt(0)
	s_cmp_eq_u64 s[4:5], 0
	s_waitcnt vmcnt(0)
	s_barrier
	buffer_gl0_inv
	s_cbranch_scc1 .LBB28_10
; %bb.9:
	s_load_b64 s[8:9], s[0:1], 0x10
	s_waitcnt lgkmcnt(0)
	s_load_b32 s3, s[8:9], 0x0
	s_mov_b32 s9, 0
	s_waitcnt lgkmcnt(0)
	s_add_i32 s8, s3, s16
	s_delay_alu instid0(SALU_CYCLE_1) | instskip(NEXT) | instid1(SALU_CYCLE_1)
	s_lshl_b64 s[8:9], s[8:9], 2
	s_add_u32 s4, s4, s8
	s_addc_u32 s5, s5, s9
	s_load_b32 s16, s[4:5], 0x0
.LBB28_10:
	s_load_b32 s3, s[0:1], 0x0
	s_and_not1_b32 vcc_lo, exec_lo, s6
	s_waitcnt lgkmcnt(0)
	s_ashr_i32 s17, s16, 31
	s_cbranch_vccnz .LBB28_82
; %bb.11:
	s_load_b64 s[4:5], s[0:1], 0x28
	s_lshl_b64 s[6:7], s[16:17], 2
	v_lshrrev_b32_e32 v5, 4, v0
	s_mov_b32 s23, exec_lo
	s_delay_alu instid0(VALU_DEP_1)
	v_subrev_nc_u32_e32 v5, s12, v5
	s_waitcnt lgkmcnt(0)
	s_add_u32 s4, s4, s6
	s_addc_u32 s5, s5, s7
	s_load_b64 s[4:5], s[4:5], 0x0
	s_waitcnt lgkmcnt(0)
	v_add_nc_u32_e32 v5, s4, v5
	s_sub_i32 s22, s5, s12
	s_delay_alu instid0(VALU_DEP_1) | instid1(SALU_CYCLE_1)
	v_cmpx_gt_i32_e64 s22, v5
	s_cbranch_execz .LBB28_81
; %bb.12:
	s_clause 0x1
	s_load_b64 s[18:19], s[0:1], 0x50
	s_load_b256 s[4:11], s[0:1], 0x30
	v_and_b32_e32 v6, 15, v0
	s_cmp_eq_u32 s3, 0
	s_mov_b32 s24, 0
	s_cselect_b32 s25, 1, 2
	s_cselect_b32 s26, 2, 1
	v_subrev_nc_u32_e32 v29, s13, v6
	s_branch .LBB28_14
.LBB28_13:                              ;   in Loop: Header=BB28_14 Depth=1
	s_or_b32 exec_lo, exec_lo, s27
	v_add_nc_u32_e32 v5, 16, v5
	s_delay_alu instid0(VALU_DEP_1) | instskip(SKIP_1) | instid1(SALU_CYCLE_1)
	v_cmp_le_i32_e32 vcc_lo, s22, v5
	s_or_b32 s24, vcc_lo, s24
	s_and_not1_b32 exec_lo, exec_lo, s24
	s_cbranch_execz .LBB28_81
.LBB28_14:                              ; =>This Loop Header: Depth=1
                                        ;     Child Loop BB28_17 Depth 2
                                        ;       Child Loop BB28_19 Depth 3
                                        ;         Child Loop BB28_25 Depth 4
                                        ;         Child Loop BB28_31 Depth 4
                                        ;       Child Loop BB28_35 Depth 3
                                        ;         Child Loop BB28_41 Depth 4
                                        ;         Child Loop BB28_47 Depth 4
	;; [unrolled: 3-line block ×4, first 2 shown]
	v_ashrrev_i32_e32 v6, 31, v5
	s_mov_b32 s27, exec_lo
	s_delay_alu instid0(VALU_DEP_1) | instskip(SKIP_1) | instid1(VALU_DEP_1)
	v_lshlrev_b64 v[6:7], 2, v[5:6]
	s_waitcnt lgkmcnt(0)
	v_add_co_u32 v6, vcc_lo, s4, v6
	s_delay_alu instid0(VALU_DEP_2) | instskip(SKIP_3) | instid1(VALU_DEP_1)
	v_add_co_ci_u32_e32 v7, vcc_lo, s5, v7, vcc_lo
	global_load_b32 v6, v[6:7], off
	s_waitcnt vmcnt(0)
	v_subrev_nc_u32_e32 v6, s12, v6
	v_ashrrev_i32_e32 v7, 31, v6
	s_delay_alu instid0(VALU_DEP_1) | instskip(NEXT) | instid1(VALU_DEP_1)
	v_lshlrev_b64 v[6:7], 2, v[6:7]
	v_add_co_u32 v6, vcc_lo, s8, v6
	s_delay_alu instid0(VALU_DEP_2) | instskip(SKIP_4) | instid1(VALU_DEP_1)
	v_add_co_ci_u32_e32 v7, vcc_lo, s9, v7, vcc_lo
	global_load_b64 v[6:7], v[6:7], off
	s_waitcnt vmcnt(0)
	v_subrev_nc_u32_e32 v30, s13, v7
	v_add_nc_u32_e32 v6, v6, v29
	v_cmpx_lt_i32_e64 v6, v30
	s_cbranch_execz .LBB28_13
; %bb.15:                               ;   in Loop: Header=BB28_14 Depth=1
	v_lshlrev_b32_e32 v7, 2, v5
	s_mov_b32 s28, 0
	s_delay_alu instid0(VALU_DEP_1) | instskip(SKIP_2) | instid1(VALU_DEP_3)
	v_or_b32_e32 v9, s26, v7
	v_ashrrev_i32_e32 v8, 31, v7
	v_or_b32_e32 v11, s25, v7
	v_ashrrev_i32_e32 v10, 31, v9
	s_delay_alu instid0(VALU_DEP_3) | instskip(NEXT) | instid1(VALU_DEP_3)
	v_lshlrev_b64 v[7:8], 3, v[7:8]
	v_ashrrev_i32_e32 v12, 31, v11
	s_delay_alu instid0(VALU_DEP_3) | instskip(NEXT) | instid1(VALU_DEP_2)
	v_lshlrev_b64 v[9:10], 3, v[9:10]
	v_lshlrev_b64 v[11:12], 3, v[11:12]
	s_delay_alu instid0(VALU_DEP_4) | instskip(SKIP_1) | instid1(VALU_DEP_4)
	v_add_co_u32 v7, vcc_lo, s6, v7
	v_add_co_ci_u32_e32 v8, vcc_lo, s7, v8, vcc_lo
	v_add_co_u32 v9, vcc_lo, s6, v9
	v_add_co_ci_u32_e32 v10, vcc_lo, s7, v10, vcc_lo
	;; [unrolled: 2-line block ×3, first 2 shown]
	s_clause 0x3
	global_load_b64 v[13:14], v[7:8], off offset:24
	global_load_b64 v[15:16], v[9:10], off
	global_load_b64 v[17:18], v[11:12], off
	;; [unrolled: 1-line block ×3, first 2 shown]
	s_waitcnt vmcnt(3)
	v_mul_f64 v[8:9], v[3:4], v[13:14]
	s_waitcnt vmcnt(2)
	v_mul_f64 v[10:11], v[3:4], v[15:16]
	s_waitcnt vmcnt(1)
	v_mul_f64 v[12:13], v[3:4], v[17:18]
	s_waitcnt vmcnt(0)
	v_mul_f64 v[14:15], v[3:4], v[19:20]
	s_branch .LBB28_17
.LBB28_16:                              ;   in Loop: Header=BB28_17 Depth=2
	s_or_b32 exec_lo, exec_lo, s29
	v_add_nc_u32_e32 v6, 16, v6
	s_delay_alu instid0(VALU_DEP_1) | instskip(SKIP_1) | instid1(SALU_CYCLE_1)
	v_cmp_ge_i32_e32 vcc_lo, v6, v30
	s_or_b32 s28, vcc_lo, s28
	s_and_not1_b32 exec_lo, exec_lo, s28
	s_cbranch_execz .LBB28_13
.LBB28_17:                              ;   Parent Loop BB28_14 Depth=1
                                        ; =>  This Loop Header: Depth=2
                                        ;       Child Loop BB28_19 Depth 3
                                        ;         Child Loop BB28_25 Depth 4
                                        ;         Child Loop BB28_31 Depth 4
                                        ;       Child Loop BB28_35 Depth 3
                                        ;         Child Loop BB28_41 Depth 4
                                        ;         Child Loop BB28_47 Depth 4
	;; [unrolled: 3-line block ×4, first 2 shown]
	v_lshlrev_b32_e32 v16, 2, v6
	v_ashrrev_i32_e32 v7, 31, v6
	s_mov_b32 s29, 0
	s_delay_alu instid0(VALU_DEP_2) | instskip(NEXT) | instid1(VALU_DEP_1)
	v_or_b32_e32 v17, s26, v16
	v_ashrrev_i32_e32 v18, 31, v17
	s_delay_alu instid0(VALU_DEP_1) | instskip(NEXT) | instid1(VALU_DEP_1)
	v_lshlrev_b64 v[17:18], 3, v[17:18]
	v_add_co_u32 v17, vcc_lo, s18, v17
	s_delay_alu instid0(VALU_DEP_2) | instskip(SKIP_2) | instid1(VALU_DEP_1)
	v_add_co_ci_u32_e32 v18, vcc_lo, s19, v18, vcc_lo
	global_load_b64 v[20:21], v[17:18], off
	v_ashrrev_i32_e32 v17, 31, v16
	v_lshlrev_b64 v[17:18], 3, v[16:17]
	v_or_b32_e32 v16, s25, v16
	s_delay_alu instid0(VALU_DEP_2) | instskip(NEXT) | instid1(VALU_DEP_3)
	v_add_co_u32 v24, vcc_lo, s18, v17
	v_add_co_ci_u32_e32 v25, vcc_lo, s19, v18, vcc_lo
	v_lshlrev_b64 v[17:18], 2, v[6:7]
	global_load_b64 v[22:23], v[24:25], off
	v_add_co_u32 v17, vcc_lo, s10, v17
	v_add_co_ci_u32_e32 v18, vcc_lo, s11, v18, vcc_lo
	global_load_b32 v7, v[17:18], off
	v_ashrrev_i32_e32 v17, 31, v16
	s_delay_alu instid0(VALU_DEP_1) | instskip(NEXT) | instid1(VALU_DEP_1)
	v_lshlrev_b64 v[16:17], 3, v[16:17]
	v_add_co_u32 v16, vcc_lo, s18, v16
	s_delay_alu instid0(VALU_DEP_2)
	v_add_co_ci_u32_e32 v17, vcc_lo, s19, v17, vcc_lo
	s_clause 0x1
	global_load_b64 v[16:17], v[16:17], off
	global_load_b64 v[18:19], v[24:25], off offset:24
	s_waitcnt vmcnt(4)
	v_mul_f64 v[24:25], v[12:13], v[20:21]
	s_waitcnt vmcnt(2)
	v_subrev_nc_u32_e32 v7, s13, v7
	s_delay_alu instid0(VALU_DEP_1) | instskip(NEXT) | instid1(VALU_DEP_3)
	v_lshl_add_u32 v26, v7, 3, v7
	v_fma_f64 v[24:25], v[14:15], v[22:23], v[24:25]
	s_delay_alu instid0(VALU_DEP_2) | instskip(NEXT) | instid1(VALU_DEP_1)
	v_and_b32_e32 v31, 63, v26
	v_mov_b32_e32 v32, v31
	s_branch .LBB28_19
.LBB28_18:                              ;   in Loop: Header=BB28_19 Depth=3
	s_or_b32 exec_lo, exec_lo, s30
	s_xor_b32 s30, s31, -1
	s_delay_alu instid0(SALU_CYCLE_1) | instskip(NEXT) | instid1(SALU_CYCLE_1)
	s_and_b32 s30, exec_lo, s30
	s_or_b32 s29, s30, s29
	s_delay_alu instid0(SALU_CYCLE_1)
	s_and_not1_b32 exec_lo, exec_lo, s29
	s_cbranch_execz .LBB28_33
.LBB28_19:                              ;   Parent Loop BB28_14 Depth=1
                                        ;     Parent Loop BB28_17 Depth=2
                                        ; =>    This Loop Header: Depth=3
                                        ;         Child Loop BB28_25 Depth 4
                                        ;         Child Loop BB28_31 Depth 4
	s_delay_alu instid0(VALU_DEP_1)
	v_lshl_add_u32 v26, v32, 2, 0
	s_mov_b32 s30, exec_lo
                                        ; implicit-def: $sgpr31
	ds_load_b32 v27, v26
	s_waitcnt lgkmcnt(0)
	v_cmpx_ne_u32_e64 v27, v7
	s_xor_b32 s30, exec_lo, s30
	s_cbranch_execz .LBB28_29
; %bb.20:                               ;   in Loop: Header=BB28_19 Depth=3
	s_mov_b32 s33, exec_lo
                                        ; implicit-def: $sgpr31
	v_cmpx_ne_u32_e64 s20, v27
	s_xor_b32 s33, exec_lo, s33
; %bb.21:                               ;   in Loop: Header=BB28_19 Depth=3
	v_add_nc_u32_e32 v26, 1, v32
	s_mov_b32 s31, -1
	s_delay_alu instid0(VALU_DEP_1)
	v_and_b32_e32 v32, 63, v26
                                        ; implicit-def: $vgpr26
; %bb.22:                               ;   in Loop: Header=BB28_19 Depth=3
	s_and_not1_saveexec_b32 s33, s33
	s_cbranch_execz .LBB28_28
; %bb.23:                               ;   in Loop: Header=BB28_19 Depth=3
	v_mov_b32_e32 v27, s20
	s_mov_b32 s35, -1
	s_mov_b32 s34, exec_lo
	ds_cmpstore_rtn_b32 v27, v26, v7, v27
	s_waitcnt lgkmcnt(0)
	v_cmpx_eq_u32_e64 s20, v27
	s_cbranch_execz .LBB28_27
; %bb.24:                               ;   in Loop: Header=BB28_19 Depth=3
	v_mul_lo_u32 v27, v32, 28
	s_mov_b32 s35, 0
	s_delay_alu instid0(VALU_DEP_1)
	v_add_nc_u32_e32 v33, v26, v27
	ds_load_b64 v[26:27], v33 offset:256
.LBB28_25:                              ;   Parent Loop BB28_14 Depth=1
                                        ;     Parent Loop BB28_17 Depth=2
                                        ;       Parent Loop BB28_19 Depth=3
                                        ; =>      This Inner Loop Header: Depth=4
	s_waitcnt lgkmcnt(0)
	v_add_f64 v[34:35], v[26:27], v[24:25]
	ds_cmpstore_rtn_b64 v[34:35], v33, v[34:35], v[26:27] offset:256
	s_waitcnt lgkmcnt(0)
	v_cmp_eq_u64_e32 vcc_lo, v[34:35], v[26:27]
	v_dual_mov_b32 v26, v34 :: v_dual_mov_b32 v27, v35
	s_or_b32 s35, vcc_lo, s35
	s_delay_alu instid0(SALU_CYCLE_1)
	s_and_not1_b32 exec_lo, exec_lo, s35
	s_cbranch_execnz .LBB28_25
; %bb.26:                               ;   in Loop: Header=BB28_19 Depth=3
	s_or_b32 exec_lo, exec_lo, s35
	s_delay_alu instid0(SALU_CYCLE_1)
	s_xor_b32 s35, exec_lo, -1
.LBB28_27:                              ;   in Loop: Header=BB28_19 Depth=3
	s_or_b32 exec_lo, exec_lo, s34
	s_delay_alu instid0(SALU_CYCLE_1) | instskip(SKIP_1) | instid1(SALU_CYCLE_1)
	s_and_not1_b32 s31, s31, exec_lo
	s_and_b32 s34, s35, exec_lo
	s_or_b32 s31, s31, s34
.LBB28_28:                              ;   in Loop: Header=BB28_19 Depth=3
	s_or_b32 exec_lo, exec_lo, s33
	s_delay_alu instid0(SALU_CYCLE_1)
	s_and_b32 s31, s31, exec_lo
                                        ; implicit-def: $vgpr26
.LBB28_29:                              ;   in Loop: Header=BB28_19 Depth=3
	s_and_not1_saveexec_b32 s30, s30
	s_cbranch_execz .LBB28_18
; %bb.30:                               ;   in Loop: Header=BB28_19 Depth=3
	v_mul_lo_u32 v27, v32, 28
	s_mov_b32 s33, 0
	s_delay_alu instid0(VALU_DEP_1)
	v_add_nc_u32_e32 v33, v26, v27
	ds_load_b64 v[26:27], v33 offset:256
.LBB28_31:                              ;   Parent Loop BB28_14 Depth=1
                                        ;     Parent Loop BB28_17 Depth=2
                                        ;       Parent Loop BB28_19 Depth=3
                                        ; =>      This Inner Loop Header: Depth=4
	s_waitcnt lgkmcnt(0)
	v_add_f64 v[34:35], v[26:27], v[24:25]
	ds_cmpstore_rtn_b64 v[34:35], v33, v[34:35], v[26:27] offset:256
	s_waitcnt lgkmcnt(0)
	v_cmp_eq_u64_e32 vcc_lo, v[34:35], v[26:27]
	v_dual_mov_b32 v26, v34 :: v_dual_mov_b32 v27, v35
	s_or_b32 s33, vcc_lo, s33
	s_delay_alu instid0(SALU_CYCLE_1)
	s_and_not1_b32 exec_lo, exec_lo, s33
	s_cbranch_execnz .LBB28_31
; %bb.32:                               ;   in Loop: Header=BB28_19 Depth=3
	s_or_b32 exec_lo, exec_lo, s33
	s_delay_alu instid0(SALU_CYCLE_1)
	s_and_not1_b32 s31, s31, exec_lo
	s_branch .LBB28_18
.LBB28_33:                              ;   in Loop: Header=BB28_17 Depth=2
	s_or_b32 exec_lo, exec_lo, s29
	s_waitcnt vmcnt(0)
	v_mul_f64 v[24:25], v[12:13], v[18:19]
	v_mov_b32_e32 v32, v31
	s_mov_b32 s29, 0
	s_delay_alu instid0(VALU_DEP_2)
	v_fma_f64 v[24:25], v[14:15], v[16:17], v[24:25]
	s_branch .LBB28_35
.LBB28_34:                              ;   in Loop: Header=BB28_35 Depth=3
	s_or_b32 exec_lo, exec_lo, s30
	s_xor_b32 s30, s31, -1
	s_delay_alu instid0(SALU_CYCLE_1) | instskip(NEXT) | instid1(SALU_CYCLE_1)
	s_and_b32 s30, exec_lo, s30
	s_or_b32 s29, s30, s29
	s_delay_alu instid0(SALU_CYCLE_1)
	s_and_not1_b32 exec_lo, exec_lo, s29
	s_cbranch_execz .LBB28_49
.LBB28_35:                              ;   Parent Loop BB28_14 Depth=1
                                        ;     Parent Loop BB28_17 Depth=2
                                        ; =>    This Loop Header: Depth=3
                                        ;         Child Loop BB28_41 Depth 4
                                        ;         Child Loop BB28_47 Depth 4
	s_delay_alu instid0(VALU_DEP_2)
	v_lshl_add_u32 v26, v32, 2, 0
	s_mov_b32 s30, exec_lo
                                        ; implicit-def: $sgpr31
	ds_load_b32 v27, v26
	s_waitcnt lgkmcnt(0)
	v_cmpx_ne_u32_e64 v27, v7
	s_xor_b32 s30, exec_lo, s30
	s_cbranch_execz .LBB28_45
; %bb.36:                               ;   in Loop: Header=BB28_35 Depth=3
	s_mov_b32 s33, exec_lo
                                        ; implicit-def: $sgpr31
	v_cmpx_ne_u32_e64 s20, v27
	s_xor_b32 s33, exec_lo, s33
; %bb.37:                               ;   in Loop: Header=BB28_35 Depth=3
	v_add_nc_u32_e32 v26, 1, v32
	s_mov_b32 s31, -1
	s_delay_alu instid0(VALU_DEP_1)
	v_and_b32_e32 v32, 63, v26
                                        ; implicit-def: $vgpr26
; %bb.38:                               ;   in Loop: Header=BB28_35 Depth=3
	s_and_not1_saveexec_b32 s33, s33
	s_cbranch_execz .LBB28_44
; %bb.39:                               ;   in Loop: Header=BB28_35 Depth=3
	v_mov_b32_e32 v27, s20
	s_mov_b32 s35, -1
	s_mov_b32 s34, exec_lo
	ds_cmpstore_rtn_b32 v27, v26, v7, v27
	s_waitcnt lgkmcnt(0)
	v_cmpx_eq_u32_e64 s20, v27
	s_cbranch_execz .LBB28_43
; %bb.40:                               ;   in Loop: Header=BB28_35 Depth=3
	v_mul_lo_u32 v27, v32, 28
	s_mov_b32 s35, 0
	s_delay_alu instid0(VALU_DEP_1)
	v_add_nc_u32_e32 v33, v26, v27
	ds_load_b64 v[26:27], v33 offset:264
.LBB28_41:                              ;   Parent Loop BB28_14 Depth=1
                                        ;     Parent Loop BB28_17 Depth=2
                                        ;       Parent Loop BB28_35 Depth=3
                                        ; =>      This Inner Loop Header: Depth=4
	s_waitcnt lgkmcnt(0)
	v_add_f64 v[34:35], v[26:27], v[24:25]
	ds_cmpstore_rtn_b64 v[34:35], v33, v[34:35], v[26:27] offset:264
	s_waitcnt lgkmcnt(0)
	v_cmp_eq_u64_e32 vcc_lo, v[34:35], v[26:27]
	v_dual_mov_b32 v26, v34 :: v_dual_mov_b32 v27, v35
	s_or_b32 s35, vcc_lo, s35
	s_delay_alu instid0(SALU_CYCLE_1)
	s_and_not1_b32 exec_lo, exec_lo, s35
	s_cbranch_execnz .LBB28_41
; %bb.42:                               ;   in Loop: Header=BB28_35 Depth=3
	s_or_b32 exec_lo, exec_lo, s35
	s_delay_alu instid0(SALU_CYCLE_1)
	s_xor_b32 s35, exec_lo, -1
.LBB28_43:                              ;   in Loop: Header=BB28_35 Depth=3
	s_or_b32 exec_lo, exec_lo, s34
	s_delay_alu instid0(SALU_CYCLE_1) | instskip(SKIP_1) | instid1(SALU_CYCLE_1)
	s_and_not1_b32 s31, s31, exec_lo
	s_and_b32 s34, s35, exec_lo
	s_or_b32 s31, s31, s34
.LBB28_44:                              ;   in Loop: Header=BB28_35 Depth=3
	s_or_b32 exec_lo, exec_lo, s33
	s_delay_alu instid0(SALU_CYCLE_1)
	s_and_b32 s31, s31, exec_lo
                                        ; implicit-def: $vgpr26
.LBB28_45:                              ;   in Loop: Header=BB28_35 Depth=3
	s_and_not1_saveexec_b32 s30, s30
	s_cbranch_execz .LBB28_34
; %bb.46:                               ;   in Loop: Header=BB28_35 Depth=3
	v_mul_lo_u32 v27, v32, 28
	s_mov_b32 s33, 0
	s_delay_alu instid0(VALU_DEP_1)
	v_add_nc_u32_e32 v33, v26, v27
	ds_load_b64 v[26:27], v33 offset:264
.LBB28_47:                              ;   Parent Loop BB28_14 Depth=1
                                        ;     Parent Loop BB28_17 Depth=2
                                        ;       Parent Loop BB28_35 Depth=3
                                        ; =>      This Inner Loop Header: Depth=4
	s_waitcnt lgkmcnt(0)
	v_add_f64 v[34:35], v[26:27], v[24:25]
	ds_cmpstore_rtn_b64 v[34:35], v33, v[34:35], v[26:27] offset:264
	s_waitcnt lgkmcnt(0)
	v_cmp_eq_u64_e32 vcc_lo, v[34:35], v[26:27]
	v_dual_mov_b32 v26, v34 :: v_dual_mov_b32 v27, v35
	s_or_b32 s33, vcc_lo, s33
	s_delay_alu instid0(SALU_CYCLE_1)
	s_and_not1_b32 exec_lo, exec_lo, s33
	s_cbranch_execnz .LBB28_47
; %bb.48:                               ;   in Loop: Header=BB28_35 Depth=3
	s_or_b32 exec_lo, exec_lo, s33
	s_delay_alu instid0(SALU_CYCLE_1)
	s_and_not1_b32 s31, s31, exec_lo
	s_branch .LBB28_34
.LBB28_49:                              ;   in Loop: Header=BB28_17 Depth=2
	s_or_b32 exec_lo, exec_lo, s29
	v_mul_f64 v[20:21], v[8:9], v[20:21]
	v_mov_b32_e32 v24, v31
	s_mov_b32 s29, 0
	s_delay_alu instid0(VALU_DEP_2)
	v_fma_f64 v[20:21], v[10:11], v[22:23], v[20:21]
	s_branch .LBB28_51
.LBB28_50:                              ;   in Loop: Header=BB28_51 Depth=3
	s_or_b32 exec_lo, exec_lo, s30
	s_xor_b32 s30, s31, -1
	s_delay_alu instid0(SALU_CYCLE_1) | instskip(NEXT) | instid1(SALU_CYCLE_1)
	s_and_b32 s30, exec_lo, s30
	s_or_b32 s29, s30, s29
	s_delay_alu instid0(SALU_CYCLE_1)
	s_and_not1_b32 exec_lo, exec_lo, s29
	s_cbranch_execz .LBB28_65
.LBB28_51:                              ;   Parent Loop BB28_14 Depth=1
                                        ;     Parent Loop BB28_17 Depth=2
                                        ; =>    This Loop Header: Depth=3
                                        ;         Child Loop BB28_57 Depth 4
                                        ;         Child Loop BB28_63 Depth 4
	s_delay_alu instid0(VALU_DEP_2)
	v_lshl_add_u32 v22, v24, 2, 0
	s_mov_b32 s30, exec_lo
                                        ; implicit-def: $sgpr31
	ds_load_b32 v23, v22
	s_waitcnt lgkmcnt(0)
	v_cmpx_ne_u32_e64 v23, v7
	s_xor_b32 s30, exec_lo, s30
	s_cbranch_execz .LBB28_61
; %bb.52:                               ;   in Loop: Header=BB28_51 Depth=3
	s_mov_b32 s33, exec_lo
                                        ; implicit-def: $sgpr31
	v_cmpx_ne_u32_e64 s20, v23
	s_xor_b32 s33, exec_lo, s33
; %bb.53:                               ;   in Loop: Header=BB28_51 Depth=3
	v_add_nc_u32_e32 v22, 1, v24
	s_mov_b32 s31, -1
	s_delay_alu instid0(VALU_DEP_1)
	v_and_b32_e32 v24, 63, v22
                                        ; implicit-def: $vgpr22
; %bb.54:                               ;   in Loop: Header=BB28_51 Depth=3
	s_and_not1_saveexec_b32 s33, s33
	s_cbranch_execz .LBB28_60
; %bb.55:                               ;   in Loop: Header=BB28_51 Depth=3
	v_mov_b32_e32 v23, s20
	s_mov_b32 s35, -1
	s_mov_b32 s34, exec_lo
	ds_cmpstore_rtn_b32 v23, v22, v7, v23
	s_waitcnt lgkmcnt(0)
	v_cmpx_eq_u32_e64 s20, v23
	s_cbranch_execz .LBB28_59
; %bb.56:                               ;   in Loop: Header=BB28_51 Depth=3
	v_mul_lo_u32 v23, v24, 28
	s_mov_b32 s35, 0
	s_delay_alu instid0(VALU_DEP_1)
	v_add_nc_u32_e32 v25, v22, v23
	ds_load_b64 v[22:23], v25 offset:272
.LBB28_57:                              ;   Parent Loop BB28_14 Depth=1
                                        ;     Parent Loop BB28_17 Depth=2
                                        ;       Parent Loop BB28_51 Depth=3
                                        ; =>      This Inner Loop Header: Depth=4
	s_waitcnt lgkmcnt(0)
	v_add_f64 v[26:27], v[22:23], v[20:21]
	ds_cmpstore_rtn_b64 v[26:27], v25, v[26:27], v[22:23] offset:272
	s_waitcnt lgkmcnt(0)
	v_cmp_eq_u64_e32 vcc_lo, v[26:27], v[22:23]
	v_dual_mov_b32 v22, v26 :: v_dual_mov_b32 v23, v27
	s_or_b32 s35, vcc_lo, s35
	s_delay_alu instid0(SALU_CYCLE_1)
	s_and_not1_b32 exec_lo, exec_lo, s35
	s_cbranch_execnz .LBB28_57
; %bb.58:                               ;   in Loop: Header=BB28_51 Depth=3
	s_or_b32 exec_lo, exec_lo, s35
	s_delay_alu instid0(SALU_CYCLE_1)
	s_xor_b32 s35, exec_lo, -1
.LBB28_59:                              ;   in Loop: Header=BB28_51 Depth=3
	s_or_b32 exec_lo, exec_lo, s34
	s_delay_alu instid0(SALU_CYCLE_1) | instskip(SKIP_1) | instid1(SALU_CYCLE_1)
	s_and_not1_b32 s31, s31, exec_lo
	s_and_b32 s34, s35, exec_lo
	s_or_b32 s31, s31, s34
.LBB28_60:                              ;   in Loop: Header=BB28_51 Depth=3
	s_or_b32 exec_lo, exec_lo, s33
	s_delay_alu instid0(SALU_CYCLE_1)
	s_and_b32 s31, s31, exec_lo
                                        ; implicit-def: $vgpr22
.LBB28_61:                              ;   in Loop: Header=BB28_51 Depth=3
	s_and_not1_saveexec_b32 s30, s30
	s_cbranch_execz .LBB28_50
; %bb.62:                               ;   in Loop: Header=BB28_51 Depth=3
	v_mul_lo_u32 v23, v24, 28
	s_mov_b32 s33, 0
	s_delay_alu instid0(VALU_DEP_1)
	v_add_nc_u32_e32 v25, v22, v23
	ds_load_b64 v[22:23], v25 offset:272
.LBB28_63:                              ;   Parent Loop BB28_14 Depth=1
                                        ;     Parent Loop BB28_17 Depth=2
                                        ;       Parent Loop BB28_51 Depth=3
                                        ; =>      This Inner Loop Header: Depth=4
	s_waitcnt lgkmcnt(0)
	v_add_f64 v[26:27], v[22:23], v[20:21]
	ds_cmpstore_rtn_b64 v[26:27], v25, v[26:27], v[22:23] offset:272
	s_waitcnt lgkmcnt(0)
	v_cmp_eq_u64_e32 vcc_lo, v[26:27], v[22:23]
	v_dual_mov_b32 v22, v26 :: v_dual_mov_b32 v23, v27
	s_or_b32 s33, vcc_lo, s33
	s_delay_alu instid0(SALU_CYCLE_1)
	s_and_not1_b32 exec_lo, exec_lo, s33
	s_cbranch_execnz .LBB28_63
; %bb.64:                               ;   in Loop: Header=BB28_51 Depth=3
	s_or_b32 exec_lo, exec_lo, s33
	s_delay_alu instid0(SALU_CYCLE_1)
	s_and_not1_b32 s31, s31, exec_lo
	s_branch .LBB28_50
.LBB28_65:                              ;   in Loop: Header=BB28_17 Depth=2
	s_or_b32 exec_lo, exec_lo, s29
	v_mul_f64 v[18:19], v[8:9], v[18:19]
	s_mov_b32 s29, 0
	s_delay_alu instid0(VALU_DEP_1)
	v_fma_f64 v[16:17], v[10:11], v[16:17], v[18:19]
	s_branch .LBB28_67
.LBB28_66:                              ;   in Loop: Header=BB28_67 Depth=3
	s_or_b32 exec_lo, exec_lo, s30
	s_xor_b32 s30, s31, -1
	s_delay_alu instid0(SALU_CYCLE_1) | instskip(NEXT) | instid1(SALU_CYCLE_1)
	s_and_b32 s30, exec_lo, s30
	s_or_b32 s29, s30, s29
	s_delay_alu instid0(SALU_CYCLE_1)
	s_and_not1_b32 exec_lo, exec_lo, s29
	s_cbranch_execz .LBB28_16
.LBB28_67:                              ;   Parent Loop BB28_14 Depth=1
                                        ;     Parent Loop BB28_17 Depth=2
                                        ; =>    This Loop Header: Depth=3
                                        ;         Child Loop BB28_73 Depth 4
                                        ;         Child Loop BB28_79 Depth 4
	v_lshl_add_u32 v18, v31, 2, 0
	s_mov_b32 s30, exec_lo
                                        ; implicit-def: $sgpr31
	ds_load_b32 v19, v18
	s_waitcnt lgkmcnt(0)
	v_cmpx_ne_u32_e64 v19, v7
	s_xor_b32 s30, exec_lo, s30
	s_cbranch_execz .LBB28_77
; %bb.68:                               ;   in Loop: Header=BB28_67 Depth=3
	s_mov_b32 s33, exec_lo
                                        ; implicit-def: $sgpr31
	v_cmpx_ne_u32_e64 s20, v19
	s_xor_b32 s33, exec_lo, s33
; %bb.69:                               ;   in Loop: Header=BB28_67 Depth=3
	v_add_nc_u32_e32 v18, 1, v31
	s_mov_b32 s31, -1
	s_delay_alu instid0(VALU_DEP_1)
	v_and_b32_e32 v31, 63, v18
                                        ; implicit-def: $vgpr18
; %bb.70:                               ;   in Loop: Header=BB28_67 Depth=3
	s_and_not1_saveexec_b32 s33, s33
	s_cbranch_execz .LBB28_76
; %bb.71:                               ;   in Loop: Header=BB28_67 Depth=3
	v_mov_b32_e32 v19, s20
	s_mov_b32 s35, -1
	s_mov_b32 s34, exec_lo
	ds_cmpstore_rtn_b32 v19, v18, v7, v19
	s_waitcnt lgkmcnt(0)
	v_cmpx_eq_u32_e64 s20, v19
	s_cbranch_execz .LBB28_75
; %bb.72:                               ;   in Loop: Header=BB28_67 Depth=3
	v_mul_lo_u32 v19, v31, 28
	s_mov_b32 s35, 0
	s_delay_alu instid0(VALU_DEP_1)
	v_add_nc_u32_e32 v20, v18, v19
	ds_load_b64 v[18:19], v20 offset:280
.LBB28_73:                              ;   Parent Loop BB28_14 Depth=1
                                        ;     Parent Loop BB28_17 Depth=2
                                        ;       Parent Loop BB28_67 Depth=3
                                        ; =>      This Inner Loop Header: Depth=4
	s_waitcnt lgkmcnt(0)
	v_add_f64 v[21:22], v[18:19], v[16:17]
	ds_cmpstore_rtn_b64 v[21:22], v20, v[21:22], v[18:19] offset:280
	s_waitcnt lgkmcnt(0)
	v_cmp_eq_u64_e32 vcc_lo, v[21:22], v[18:19]
	v_dual_mov_b32 v18, v21 :: v_dual_mov_b32 v19, v22
	s_or_b32 s35, vcc_lo, s35
	s_delay_alu instid0(SALU_CYCLE_1)
	s_and_not1_b32 exec_lo, exec_lo, s35
	s_cbranch_execnz .LBB28_73
; %bb.74:                               ;   in Loop: Header=BB28_67 Depth=3
	s_or_b32 exec_lo, exec_lo, s35
	s_delay_alu instid0(SALU_CYCLE_1)
	s_xor_b32 s35, exec_lo, -1
.LBB28_75:                              ;   in Loop: Header=BB28_67 Depth=3
	s_or_b32 exec_lo, exec_lo, s34
	s_delay_alu instid0(SALU_CYCLE_1) | instskip(SKIP_1) | instid1(SALU_CYCLE_1)
	s_and_not1_b32 s31, s31, exec_lo
	s_and_b32 s34, s35, exec_lo
	s_or_b32 s31, s31, s34
.LBB28_76:                              ;   in Loop: Header=BB28_67 Depth=3
	s_or_b32 exec_lo, exec_lo, s33
	s_delay_alu instid0(SALU_CYCLE_1)
	s_and_b32 s31, s31, exec_lo
                                        ; implicit-def: $vgpr18
.LBB28_77:                              ;   in Loop: Header=BB28_67 Depth=3
	s_and_not1_saveexec_b32 s30, s30
	s_cbranch_execz .LBB28_66
; %bb.78:                               ;   in Loop: Header=BB28_67 Depth=3
	v_mul_lo_u32 v19, v31, 28
	s_mov_b32 s33, 0
	s_delay_alu instid0(VALU_DEP_1)
	v_add_nc_u32_e32 v20, v18, v19
	ds_load_b64 v[18:19], v20 offset:280
.LBB28_79:                              ;   Parent Loop BB28_14 Depth=1
                                        ;     Parent Loop BB28_17 Depth=2
                                        ;       Parent Loop BB28_67 Depth=3
                                        ; =>      This Inner Loop Header: Depth=4
	s_waitcnt lgkmcnt(0)
	v_add_f64 v[21:22], v[18:19], v[16:17]
	ds_cmpstore_rtn_b64 v[21:22], v20, v[21:22], v[18:19] offset:280
	s_waitcnt lgkmcnt(0)
	v_cmp_eq_u64_e32 vcc_lo, v[21:22], v[18:19]
	v_dual_mov_b32 v18, v21 :: v_dual_mov_b32 v19, v22
	s_or_b32 s33, vcc_lo, s33
	s_delay_alu instid0(SALU_CYCLE_1)
	s_and_not1_b32 exec_lo, exec_lo, s33
	s_cbranch_execnz .LBB28_79
; %bb.80:                               ;   in Loop: Header=BB28_67 Depth=3
	s_or_b32 exec_lo, exec_lo, s33
	s_delay_alu instid0(SALU_CYCLE_1)
	s_and_not1_b32 s31, s31, exec_lo
	s_branch .LBB28_66
.LBB28_81:
	s_or_b32 exec_lo, exec_lo, s23
.LBB28_82:
	s_delay_alu instid0(SALU_CYCLE_1)
	s_and_not1_b32 vcc_lo, exec_lo, s21
	s_barrier
	buffer_gl0_inv
	s_cbranch_vccnz .LBB28_151
; %bb.83:
	s_load_b64 s[4:5], s[0:1], 0x60
	s_lshl_b64 s[6:7], s[16:17], 2
	v_subrev_nc_u32_e32 v3, s15, v0
	s_mov_b32 s9, exec_lo
	s_waitcnt lgkmcnt(0)
	s_add_u32 s4, s4, s6
	s_addc_u32 s5, s5, s7
	s_load_b64 s[4:5], s[4:5], 0x0
	s_waitcnt lgkmcnt(0)
	v_add_nc_u32_e32 v3, s4, v3
	s_sub_i32 s8, s5, s15
	s_delay_alu instid0(VALU_DEP_1) | instid1(SALU_CYCLE_1)
	v_cmpx_gt_i32_e64 s8, v3
	s_cbranch_execz .LBB28_150
; %bb.84:
	s_load_b128 s[4:7], s[0:1], 0x68
	s_cmp_eq_u32 s3, 0
	s_mov_b32 s10, 0
	s_cselect_b32 s11, 1, 2
	s_cselect_b32 s12, 2, 1
	s_branch .LBB28_86
.LBB28_85:                              ;   in Loop: Header=BB28_86 Depth=1
	s_or_b32 exec_lo, exec_lo, s13
	v_add_nc_u32_e32 v3, 0x100, v3
	s_delay_alu instid0(VALU_DEP_1) | instskip(SKIP_1) | instid1(SALU_CYCLE_1)
	v_cmp_le_i32_e32 vcc_lo, s8, v3
	s_or_b32 s10, vcc_lo, s10
	s_and_not1_b32 exec_lo, exec_lo, s10
	s_cbranch_execz .LBB28_150
.LBB28_86:                              ; =>This Loop Header: Depth=1
                                        ;     Child Loop BB28_88 Depth 2
                                        ;       Child Loop BB28_94 Depth 3
                                        ;       Child Loop BB28_100 Depth 3
                                        ;     Child Loop BB28_104 Depth 2
                                        ;       Child Loop BB28_110 Depth 3
                                        ;       Child Loop BB28_116 Depth 3
	;; [unrolled: 3-line block ×4, first 2 shown]
	v_lshlrev_b32_e32 v5, 2, v3
	v_ashrrev_i32_e32 v4, 31, v3
	s_mov_b32 s13, 0
	s_delay_alu instid0(VALU_DEP_2) | instskip(SKIP_1) | instid1(VALU_DEP_2)
	v_ashrrev_i32_e32 v6, 31, v5
	v_or_b32_e32 v8, s11, v5
	v_lshlrev_b64 v[6:7], 3, v[5:6]
	s_delay_alu instid0(VALU_DEP_2) | instskip(SKIP_1) | instid1(VALU_DEP_2)
	v_ashrrev_i32_e32 v9, 31, v8
	s_waitcnt lgkmcnt(0)
	v_add_co_u32 v10, vcc_lo, s6, v6
	s_delay_alu instid0(VALU_DEP_3)
	v_add_co_ci_u32_e32 v11, vcc_lo, s7, v7, vcc_lo
	v_lshlrev_b64 v[6:7], 2, v[3:4]
	v_or_b32_e32 v4, s12, v5
	global_load_b64 v[12:13], v[10:11], off
	v_add_co_u32 v6, vcc_lo, s4, v6
	v_add_co_ci_u32_e32 v7, vcc_lo, s5, v7, vcc_lo
	v_ashrrev_i32_e32 v5, 31, v4
	global_load_b32 v14, v[6:7], off
	v_lshlrev_b64 v[6:7], 3, v[8:9]
	v_lshlrev_b64 v[4:5], 3, v[4:5]
	s_delay_alu instid0(VALU_DEP_1) | instskip(NEXT) | instid1(VALU_DEP_2)
	v_add_co_u32 v4, vcc_lo, s6, v4
	v_add_co_ci_u32_e32 v5, vcc_lo, s7, v5, vcc_lo
	s_delay_alu instid0(VALU_DEP_4)
	v_add_co_u32 v8, vcc_lo, s6, v6
	v_add_co_ci_u32_e32 v9, vcc_lo, s7, v7, vcc_lo
	s_clause 0x2
	global_load_b64 v[6:7], v[4:5], off
	global_load_b64 v[8:9], v[8:9], off
	global_load_b64 v[4:5], v[10:11], off offset:24
	s_waitcnt vmcnt(4)
	v_mul_f64 v[10:11], v[1:2], v[12:13]
	s_waitcnt vmcnt(3)
	v_subrev_nc_u32_e32 v14, s15, v14
	s_delay_alu instid0(VALU_DEP_1) | instskip(NEXT) | instid1(VALU_DEP_1)
	v_lshl_add_u32 v12, v14, 3, v14
	v_and_b32_e32 v15, 63, v12
	s_delay_alu instid0(VALU_DEP_1)
	v_mov_b32_e32 v16, v15
	s_branch .LBB28_88
.LBB28_87:                              ;   in Loop: Header=BB28_88 Depth=2
	s_or_b32 exec_lo, exec_lo, s18
	s_xor_b32 s18, s19, -1
	s_delay_alu instid0(SALU_CYCLE_1) | instskip(NEXT) | instid1(SALU_CYCLE_1)
	s_and_b32 s18, exec_lo, s18
	s_or_b32 s13, s18, s13
	s_delay_alu instid0(SALU_CYCLE_1)
	s_and_not1_b32 exec_lo, exec_lo, s13
	s_cbranch_execz .LBB28_102
.LBB28_88:                              ;   Parent Loop BB28_86 Depth=1
                                        ; =>  This Loop Header: Depth=2
                                        ;       Child Loop BB28_94 Depth 3
                                        ;       Child Loop BB28_100 Depth 3
	s_delay_alu instid0(VALU_DEP_1)
	v_lshl_add_u32 v12, v16, 2, 0
	s_mov_b32 s18, exec_lo
                                        ; implicit-def: $sgpr19
	ds_load_b32 v13, v12
	s_waitcnt lgkmcnt(0)
	v_cmpx_ne_u32_e64 v13, v14
	s_xor_b32 s18, exec_lo, s18
	s_cbranch_execz .LBB28_98
; %bb.89:                               ;   in Loop: Header=BB28_88 Depth=2
	s_mov_b32 s21, exec_lo
                                        ; implicit-def: $sgpr19
	v_cmpx_ne_u32_e64 s20, v13
	s_xor_b32 s21, exec_lo, s21
; %bb.90:                               ;   in Loop: Header=BB28_88 Depth=2
	v_add_nc_u32_e32 v12, 1, v16
	s_mov_b32 s19, -1
	s_delay_alu instid0(VALU_DEP_1)
	v_and_b32_e32 v16, 63, v12
                                        ; implicit-def: $vgpr12
; %bb.91:                               ;   in Loop: Header=BB28_88 Depth=2
	s_and_not1_saveexec_b32 s21, s21
	s_cbranch_execz .LBB28_97
; %bb.92:                               ;   in Loop: Header=BB28_88 Depth=2
	v_mov_b32_e32 v13, s20
	s_mov_b32 s23, -1
	s_mov_b32 s22, exec_lo
	ds_cmpstore_rtn_b32 v13, v12, v14, v13
	s_waitcnt lgkmcnt(0)
	v_cmpx_eq_u32_e64 s20, v13
	s_cbranch_execz .LBB28_96
; %bb.93:                               ;   in Loop: Header=BB28_88 Depth=2
	v_mul_lo_u32 v13, v16, 28
	s_mov_b32 s23, 0
	s_delay_alu instid0(VALU_DEP_1)
	v_add_nc_u32_e32 v17, v12, v13
	ds_load_b64 v[12:13], v17 offset:256
.LBB28_94:                              ;   Parent Loop BB28_86 Depth=1
                                        ;     Parent Loop BB28_88 Depth=2
                                        ; =>    This Inner Loop Header: Depth=3
	s_waitcnt lgkmcnt(0)
	v_add_f64 v[18:19], v[12:13], v[10:11]
	ds_cmpstore_rtn_b64 v[18:19], v17, v[18:19], v[12:13] offset:256
	s_waitcnt lgkmcnt(0)
	v_cmp_eq_u64_e32 vcc_lo, v[18:19], v[12:13]
	v_dual_mov_b32 v12, v18 :: v_dual_mov_b32 v13, v19
	s_or_b32 s23, vcc_lo, s23
	s_delay_alu instid0(SALU_CYCLE_1)
	s_and_not1_b32 exec_lo, exec_lo, s23
	s_cbranch_execnz .LBB28_94
; %bb.95:                               ;   in Loop: Header=BB28_88 Depth=2
	s_or_b32 exec_lo, exec_lo, s23
	s_delay_alu instid0(SALU_CYCLE_1)
	s_xor_b32 s23, exec_lo, -1
.LBB28_96:                              ;   in Loop: Header=BB28_88 Depth=2
	s_or_b32 exec_lo, exec_lo, s22
	s_delay_alu instid0(SALU_CYCLE_1) | instskip(SKIP_1) | instid1(SALU_CYCLE_1)
	s_and_not1_b32 s19, s19, exec_lo
	s_and_b32 s22, s23, exec_lo
	s_or_b32 s19, s19, s22
.LBB28_97:                              ;   in Loop: Header=BB28_88 Depth=2
	s_or_b32 exec_lo, exec_lo, s21
	s_delay_alu instid0(SALU_CYCLE_1)
	s_and_b32 s19, s19, exec_lo
                                        ; implicit-def: $vgpr12
.LBB28_98:                              ;   in Loop: Header=BB28_88 Depth=2
	s_and_not1_saveexec_b32 s18, s18
	s_cbranch_execz .LBB28_87
; %bb.99:                               ;   in Loop: Header=BB28_88 Depth=2
	v_mul_lo_u32 v13, v16, 28
	s_mov_b32 s21, 0
	s_delay_alu instid0(VALU_DEP_1)
	v_add_nc_u32_e32 v17, v12, v13
	ds_load_b64 v[12:13], v17 offset:256
.LBB28_100:                             ;   Parent Loop BB28_86 Depth=1
                                        ;     Parent Loop BB28_88 Depth=2
                                        ; =>    This Inner Loop Header: Depth=3
	s_waitcnt lgkmcnt(0)
	v_add_f64 v[18:19], v[12:13], v[10:11]
	ds_cmpstore_rtn_b64 v[18:19], v17, v[18:19], v[12:13] offset:256
	s_waitcnt lgkmcnt(0)
	v_cmp_eq_u64_e32 vcc_lo, v[18:19], v[12:13]
	v_dual_mov_b32 v12, v18 :: v_dual_mov_b32 v13, v19
	s_or_b32 s21, vcc_lo, s21
	s_delay_alu instid0(SALU_CYCLE_1)
	s_and_not1_b32 exec_lo, exec_lo, s21
	s_cbranch_execnz .LBB28_100
; %bb.101:                              ;   in Loop: Header=BB28_88 Depth=2
	s_or_b32 exec_lo, exec_lo, s21
	s_delay_alu instid0(SALU_CYCLE_1)
	s_and_not1_b32 s19, s19, exec_lo
	s_branch .LBB28_87
.LBB28_102:                             ;   in Loop: Header=BB28_86 Depth=1
	s_or_b32 exec_lo, exec_lo, s13
	s_waitcnt vmcnt(1)
	v_mul_f64 v[8:9], v[1:2], v[8:9]
	v_mov_b32_e32 v12, v15
	s_mov_b32 s13, 0
	s_branch .LBB28_104
.LBB28_103:                             ;   in Loop: Header=BB28_104 Depth=2
	s_or_b32 exec_lo, exec_lo, s18
	s_xor_b32 s18, s19, -1
	s_delay_alu instid0(SALU_CYCLE_1) | instskip(NEXT) | instid1(SALU_CYCLE_1)
	s_and_b32 s18, exec_lo, s18
	s_or_b32 s13, s18, s13
	s_delay_alu instid0(SALU_CYCLE_1)
	s_and_not1_b32 exec_lo, exec_lo, s13
	s_cbranch_execz .LBB28_118
.LBB28_104:                             ;   Parent Loop BB28_86 Depth=1
                                        ; =>  This Loop Header: Depth=2
                                        ;       Child Loop BB28_110 Depth 3
                                        ;       Child Loop BB28_116 Depth 3
	s_delay_alu instid0(VALU_DEP_1)
	v_lshl_add_u32 v10, v12, 2, 0
	s_mov_b32 s18, exec_lo
                                        ; implicit-def: $sgpr19
	ds_load_b32 v11, v10
	s_waitcnt lgkmcnt(0)
	v_cmpx_ne_u32_e64 v11, v14
	s_xor_b32 s18, exec_lo, s18
	s_cbranch_execz .LBB28_114
; %bb.105:                              ;   in Loop: Header=BB28_104 Depth=2
	s_mov_b32 s21, exec_lo
                                        ; implicit-def: $sgpr19
	v_cmpx_ne_u32_e64 s20, v11
	s_xor_b32 s21, exec_lo, s21
; %bb.106:                              ;   in Loop: Header=BB28_104 Depth=2
	v_add_nc_u32_e32 v10, 1, v12
	s_mov_b32 s19, -1
	s_delay_alu instid0(VALU_DEP_1)
	v_and_b32_e32 v12, 63, v10
                                        ; implicit-def: $vgpr10
; %bb.107:                              ;   in Loop: Header=BB28_104 Depth=2
	s_and_not1_saveexec_b32 s21, s21
	s_cbranch_execz .LBB28_113
; %bb.108:                              ;   in Loop: Header=BB28_104 Depth=2
	v_mov_b32_e32 v11, s20
	s_mov_b32 s23, -1
	s_mov_b32 s22, exec_lo
	ds_cmpstore_rtn_b32 v11, v10, v14, v11
	s_waitcnt lgkmcnt(0)
	v_cmpx_eq_u32_e64 s20, v11
	s_cbranch_execz .LBB28_112
; %bb.109:                              ;   in Loop: Header=BB28_104 Depth=2
	v_mul_lo_u32 v11, v12, 28
	s_mov_b32 s23, 0
	s_delay_alu instid0(VALU_DEP_1)
	v_add_nc_u32_e32 v13, v10, v11
	ds_load_b64 v[10:11], v13 offset:264
.LBB28_110:                             ;   Parent Loop BB28_86 Depth=1
                                        ;     Parent Loop BB28_104 Depth=2
                                        ; =>    This Inner Loop Header: Depth=3
	s_waitcnt lgkmcnt(0)
	v_add_f64 v[16:17], v[10:11], v[8:9]
	ds_cmpstore_rtn_b64 v[16:17], v13, v[16:17], v[10:11] offset:264
	s_waitcnt lgkmcnt(0)
	v_cmp_eq_u64_e32 vcc_lo, v[16:17], v[10:11]
	v_dual_mov_b32 v10, v16 :: v_dual_mov_b32 v11, v17
	s_or_b32 s23, vcc_lo, s23
	s_delay_alu instid0(SALU_CYCLE_1)
	s_and_not1_b32 exec_lo, exec_lo, s23
	s_cbranch_execnz .LBB28_110
; %bb.111:                              ;   in Loop: Header=BB28_104 Depth=2
	s_or_b32 exec_lo, exec_lo, s23
	s_delay_alu instid0(SALU_CYCLE_1)
	s_xor_b32 s23, exec_lo, -1
.LBB28_112:                             ;   in Loop: Header=BB28_104 Depth=2
	s_or_b32 exec_lo, exec_lo, s22
	s_delay_alu instid0(SALU_CYCLE_1) | instskip(SKIP_1) | instid1(SALU_CYCLE_1)
	s_and_not1_b32 s19, s19, exec_lo
	s_and_b32 s22, s23, exec_lo
	s_or_b32 s19, s19, s22
.LBB28_113:                             ;   in Loop: Header=BB28_104 Depth=2
	s_or_b32 exec_lo, exec_lo, s21
	s_delay_alu instid0(SALU_CYCLE_1)
	s_and_b32 s19, s19, exec_lo
                                        ; implicit-def: $vgpr10
.LBB28_114:                             ;   in Loop: Header=BB28_104 Depth=2
	s_and_not1_saveexec_b32 s18, s18
	s_cbranch_execz .LBB28_103
; %bb.115:                              ;   in Loop: Header=BB28_104 Depth=2
	v_mul_lo_u32 v11, v12, 28
	s_mov_b32 s21, 0
	s_delay_alu instid0(VALU_DEP_1)
	v_add_nc_u32_e32 v13, v10, v11
	ds_load_b64 v[10:11], v13 offset:264
.LBB28_116:                             ;   Parent Loop BB28_86 Depth=1
                                        ;     Parent Loop BB28_104 Depth=2
                                        ; =>    This Inner Loop Header: Depth=3
	s_waitcnt lgkmcnt(0)
	v_add_f64 v[16:17], v[10:11], v[8:9]
	ds_cmpstore_rtn_b64 v[16:17], v13, v[16:17], v[10:11] offset:264
	s_waitcnt lgkmcnt(0)
	v_cmp_eq_u64_e32 vcc_lo, v[16:17], v[10:11]
	v_dual_mov_b32 v10, v16 :: v_dual_mov_b32 v11, v17
	s_or_b32 s21, vcc_lo, s21
	s_delay_alu instid0(SALU_CYCLE_1)
	s_and_not1_b32 exec_lo, exec_lo, s21
	s_cbranch_execnz .LBB28_116
; %bb.117:                              ;   in Loop: Header=BB28_104 Depth=2
	s_or_b32 exec_lo, exec_lo, s21
	s_delay_alu instid0(SALU_CYCLE_1)
	s_and_not1_b32 s19, s19, exec_lo
	s_branch .LBB28_103
.LBB28_118:                             ;   in Loop: Header=BB28_86 Depth=1
	s_or_b32 exec_lo, exec_lo, s13
	v_mul_f64 v[6:7], v[1:2], v[6:7]
	v_mov_b32_e32 v10, v15
	s_mov_b32 s13, 0
	s_branch .LBB28_120
.LBB28_119:                             ;   in Loop: Header=BB28_120 Depth=2
	s_or_b32 exec_lo, exec_lo, s18
	s_xor_b32 s18, s19, -1
	s_delay_alu instid0(SALU_CYCLE_1) | instskip(NEXT) | instid1(SALU_CYCLE_1)
	s_and_b32 s18, exec_lo, s18
	s_or_b32 s13, s18, s13
	s_delay_alu instid0(SALU_CYCLE_1)
	s_and_not1_b32 exec_lo, exec_lo, s13
	s_cbranch_execz .LBB28_134
.LBB28_120:                             ;   Parent Loop BB28_86 Depth=1
                                        ; =>  This Loop Header: Depth=2
                                        ;       Child Loop BB28_126 Depth 3
                                        ;       Child Loop BB28_132 Depth 3
	s_delay_alu instid0(VALU_DEP_1)
	v_lshl_add_u32 v8, v10, 2, 0
	s_mov_b32 s18, exec_lo
                                        ; implicit-def: $sgpr19
	ds_load_b32 v9, v8
	s_waitcnt lgkmcnt(0)
	v_cmpx_ne_u32_e64 v9, v14
	s_xor_b32 s18, exec_lo, s18
	s_cbranch_execz .LBB28_130
; %bb.121:                              ;   in Loop: Header=BB28_120 Depth=2
	s_mov_b32 s21, exec_lo
                                        ; implicit-def: $sgpr19
	v_cmpx_ne_u32_e64 s20, v9
	s_xor_b32 s21, exec_lo, s21
; %bb.122:                              ;   in Loop: Header=BB28_120 Depth=2
	v_add_nc_u32_e32 v8, 1, v10
	s_mov_b32 s19, -1
	s_delay_alu instid0(VALU_DEP_1)
	v_and_b32_e32 v10, 63, v8
                                        ; implicit-def: $vgpr8
; %bb.123:                              ;   in Loop: Header=BB28_120 Depth=2
	s_and_not1_saveexec_b32 s21, s21
	s_cbranch_execz .LBB28_129
; %bb.124:                              ;   in Loop: Header=BB28_120 Depth=2
	v_mov_b32_e32 v9, s20
	s_mov_b32 s23, -1
	s_mov_b32 s22, exec_lo
	ds_cmpstore_rtn_b32 v9, v8, v14, v9
	s_waitcnt lgkmcnt(0)
	v_cmpx_eq_u32_e64 s20, v9
	s_cbranch_execz .LBB28_128
; %bb.125:                              ;   in Loop: Header=BB28_120 Depth=2
	v_mul_lo_u32 v9, v10, 28
	s_mov_b32 s23, 0
	s_delay_alu instid0(VALU_DEP_1)
	v_add_nc_u32_e32 v11, v8, v9
	ds_load_b64 v[8:9], v11 offset:272
.LBB28_126:                             ;   Parent Loop BB28_86 Depth=1
                                        ;     Parent Loop BB28_120 Depth=2
                                        ; =>    This Inner Loop Header: Depth=3
	s_waitcnt lgkmcnt(0)
	v_add_f64 v[12:13], v[8:9], v[6:7]
	ds_cmpstore_rtn_b64 v[12:13], v11, v[12:13], v[8:9] offset:272
	s_waitcnt lgkmcnt(0)
	v_cmp_eq_u64_e32 vcc_lo, v[12:13], v[8:9]
	v_dual_mov_b32 v8, v12 :: v_dual_mov_b32 v9, v13
	s_or_b32 s23, vcc_lo, s23
	s_delay_alu instid0(SALU_CYCLE_1)
	s_and_not1_b32 exec_lo, exec_lo, s23
	s_cbranch_execnz .LBB28_126
; %bb.127:                              ;   in Loop: Header=BB28_120 Depth=2
	s_or_b32 exec_lo, exec_lo, s23
	s_delay_alu instid0(SALU_CYCLE_1)
	s_xor_b32 s23, exec_lo, -1
.LBB28_128:                             ;   in Loop: Header=BB28_120 Depth=2
	s_or_b32 exec_lo, exec_lo, s22
	s_delay_alu instid0(SALU_CYCLE_1) | instskip(SKIP_1) | instid1(SALU_CYCLE_1)
	s_and_not1_b32 s19, s19, exec_lo
	s_and_b32 s22, s23, exec_lo
	s_or_b32 s19, s19, s22
.LBB28_129:                             ;   in Loop: Header=BB28_120 Depth=2
	s_or_b32 exec_lo, exec_lo, s21
	s_delay_alu instid0(SALU_CYCLE_1)
	s_and_b32 s19, s19, exec_lo
                                        ; implicit-def: $vgpr8
.LBB28_130:                             ;   in Loop: Header=BB28_120 Depth=2
	s_and_not1_saveexec_b32 s18, s18
	s_cbranch_execz .LBB28_119
; %bb.131:                              ;   in Loop: Header=BB28_120 Depth=2
	v_mul_lo_u32 v9, v10, 28
	s_mov_b32 s21, 0
	s_delay_alu instid0(VALU_DEP_1)
	v_add_nc_u32_e32 v11, v8, v9
	ds_load_b64 v[8:9], v11 offset:272
.LBB28_132:                             ;   Parent Loop BB28_86 Depth=1
                                        ;     Parent Loop BB28_120 Depth=2
                                        ; =>    This Inner Loop Header: Depth=3
	s_waitcnt lgkmcnt(0)
	v_add_f64 v[12:13], v[8:9], v[6:7]
	ds_cmpstore_rtn_b64 v[12:13], v11, v[12:13], v[8:9] offset:272
	s_waitcnt lgkmcnt(0)
	v_cmp_eq_u64_e32 vcc_lo, v[12:13], v[8:9]
	v_dual_mov_b32 v8, v12 :: v_dual_mov_b32 v9, v13
	s_or_b32 s21, vcc_lo, s21
	s_delay_alu instid0(SALU_CYCLE_1)
	s_and_not1_b32 exec_lo, exec_lo, s21
	s_cbranch_execnz .LBB28_132
; %bb.133:                              ;   in Loop: Header=BB28_120 Depth=2
	s_or_b32 exec_lo, exec_lo, s21
	s_delay_alu instid0(SALU_CYCLE_1)
	s_and_not1_b32 s19, s19, exec_lo
	s_branch .LBB28_119
.LBB28_134:                             ;   in Loop: Header=BB28_86 Depth=1
	s_or_b32 exec_lo, exec_lo, s13
	s_waitcnt vmcnt(0)
	v_mul_f64 v[4:5], v[1:2], v[4:5]
	s_mov_b32 s13, 0
	s_branch .LBB28_136
.LBB28_135:                             ;   in Loop: Header=BB28_136 Depth=2
	s_or_b32 exec_lo, exec_lo, s18
	s_xor_b32 s18, s19, -1
	s_delay_alu instid0(SALU_CYCLE_1) | instskip(NEXT) | instid1(SALU_CYCLE_1)
	s_and_b32 s18, exec_lo, s18
	s_or_b32 s13, s18, s13
	s_delay_alu instid0(SALU_CYCLE_1)
	s_and_not1_b32 exec_lo, exec_lo, s13
	s_cbranch_execz .LBB28_85
.LBB28_136:                             ;   Parent Loop BB28_86 Depth=1
                                        ; =>  This Loop Header: Depth=2
                                        ;       Child Loop BB28_142 Depth 3
                                        ;       Child Loop BB28_148 Depth 3
	v_lshl_add_u32 v6, v15, 2, 0
	s_mov_b32 s18, exec_lo
                                        ; implicit-def: $sgpr19
	ds_load_b32 v7, v6
	s_waitcnt lgkmcnt(0)
	v_cmpx_ne_u32_e64 v7, v14
	s_xor_b32 s18, exec_lo, s18
	s_cbranch_execz .LBB28_146
; %bb.137:                              ;   in Loop: Header=BB28_136 Depth=2
	s_mov_b32 s21, exec_lo
                                        ; implicit-def: $sgpr19
	v_cmpx_ne_u32_e64 s20, v7
	s_xor_b32 s21, exec_lo, s21
; %bb.138:                              ;   in Loop: Header=BB28_136 Depth=2
	v_add_nc_u32_e32 v6, 1, v15
	s_mov_b32 s19, -1
	s_delay_alu instid0(VALU_DEP_1)
	v_and_b32_e32 v15, 63, v6
                                        ; implicit-def: $vgpr6
; %bb.139:                              ;   in Loop: Header=BB28_136 Depth=2
	s_and_not1_saveexec_b32 s21, s21
	s_cbranch_execz .LBB28_145
; %bb.140:                              ;   in Loop: Header=BB28_136 Depth=2
	v_mov_b32_e32 v7, s20
	s_mov_b32 s23, -1
	s_mov_b32 s22, exec_lo
	ds_cmpstore_rtn_b32 v7, v6, v14, v7
	s_waitcnt lgkmcnt(0)
	v_cmpx_eq_u32_e64 s20, v7
	s_cbranch_execz .LBB28_144
; %bb.141:                              ;   in Loop: Header=BB28_136 Depth=2
	v_mul_lo_u32 v7, v15, 28
	s_mov_b32 s23, 0
	s_delay_alu instid0(VALU_DEP_1)
	v_add_nc_u32_e32 v8, v6, v7
	ds_load_b64 v[6:7], v8 offset:280
.LBB28_142:                             ;   Parent Loop BB28_86 Depth=1
                                        ;     Parent Loop BB28_136 Depth=2
                                        ; =>    This Inner Loop Header: Depth=3
	s_waitcnt lgkmcnt(0)
	v_add_f64 v[9:10], v[6:7], v[4:5]
	ds_cmpstore_rtn_b64 v[9:10], v8, v[9:10], v[6:7] offset:280
	s_waitcnt lgkmcnt(0)
	v_cmp_eq_u64_e32 vcc_lo, v[9:10], v[6:7]
	v_dual_mov_b32 v6, v9 :: v_dual_mov_b32 v7, v10
	s_or_b32 s23, vcc_lo, s23
	s_delay_alu instid0(SALU_CYCLE_1)
	s_and_not1_b32 exec_lo, exec_lo, s23
	s_cbranch_execnz .LBB28_142
; %bb.143:                              ;   in Loop: Header=BB28_136 Depth=2
	s_or_b32 exec_lo, exec_lo, s23
	s_delay_alu instid0(SALU_CYCLE_1)
	s_xor_b32 s23, exec_lo, -1
.LBB28_144:                             ;   in Loop: Header=BB28_136 Depth=2
	s_or_b32 exec_lo, exec_lo, s22
	s_delay_alu instid0(SALU_CYCLE_1) | instskip(SKIP_1) | instid1(SALU_CYCLE_1)
	s_and_not1_b32 s19, s19, exec_lo
	s_and_b32 s22, s23, exec_lo
	s_or_b32 s19, s19, s22
.LBB28_145:                             ;   in Loop: Header=BB28_136 Depth=2
	s_or_b32 exec_lo, exec_lo, s21
	s_delay_alu instid0(SALU_CYCLE_1)
	s_and_b32 s19, s19, exec_lo
                                        ; implicit-def: $vgpr6
.LBB28_146:                             ;   in Loop: Header=BB28_136 Depth=2
	s_and_not1_saveexec_b32 s18, s18
	s_cbranch_execz .LBB28_135
; %bb.147:                              ;   in Loop: Header=BB28_136 Depth=2
	v_mul_lo_u32 v7, v15, 28
	s_mov_b32 s21, 0
	s_delay_alu instid0(VALU_DEP_1)
	v_add_nc_u32_e32 v8, v6, v7
	ds_load_b64 v[6:7], v8 offset:280
.LBB28_148:                             ;   Parent Loop BB28_86 Depth=1
                                        ;     Parent Loop BB28_136 Depth=2
                                        ; =>    This Inner Loop Header: Depth=3
	s_waitcnt lgkmcnt(0)
	v_add_f64 v[9:10], v[6:7], v[4:5]
	ds_cmpstore_rtn_b64 v[9:10], v8, v[9:10], v[6:7] offset:280
	s_waitcnt lgkmcnt(0)
	v_cmp_eq_u64_e32 vcc_lo, v[9:10], v[6:7]
	v_dual_mov_b32 v6, v9 :: v_dual_mov_b32 v7, v10
	s_or_b32 s21, vcc_lo, s21
	s_delay_alu instid0(SALU_CYCLE_1)
	s_and_not1_b32 exec_lo, exec_lo, s21
	s_cbranch_execnz .LBB28_148
; %bb.149:                              ;   in Loop: Header=BB28_136 Depth=2
	s_or_b32 exec_lo, exec_lo, s21
	s_delay_alu instid0(SALU_CYCLE_1)
	s_and_not1_b32 s19, s19, exec_lo
	s_branch .LBB28_135
.LBB28_150:
	s_or_b32 exec_lo, exec_lo, s9
.LBB28_151:
	s_barrier
	buffer_gl0_inv
	s_and_saveexec_b32 s4, s2
	s_cbranch_execz .LBB28_154
; %bb.152:
	ds_load_b32 v1, v28
	s_waitcnt lgkmcnt(0)
	v_cmp_gt_i32_e32 vcc_lo, s20, v1
	s_and_b32 exec_lo, exec_lo, vcc_lo
	s_cbranch_execz .LBB28_154
; %bb.153:
	s_load_b128 s[4:7], s[0:1], 0x78
	v_mov_b32_e32 v64, 0
	s_lshl_b64 s[8:9], s[16:17], 2
	s_load_b64 s[0:1], s[0:1], 0x88
	ds_load_2addr_b32 v[2:3], v64 offset1:1
	ds_load_2addr_b32 v[4:5], v64 offset0:2 offset1:3
	ds_load_2addr_b32 v[6:7], v64 offset0:4 offset1:5
	;; [unrolled: 1-line block ×15, first 2 shown]
	s_waitcnt lgkmcnt(0)
	v_cmp_gt_i32_e32 vcc_lo, v1, v2
	v_cndmask_b32_e64 v2, 0, 1, vcc_lo
	s_add_u32 s4, s4, s8
	s_addc_u32 s5, s5, s9
	v_cmp_gt_i32_e32 vcc_lo, v1, v4
	s_load_b32 s2, s[4:5], 0x0
	ds_load_2addr_b32 v[34:35], v64 offset0:32 offset1:33
	ds_load_2addr_b32 v[36:37], v64 offset0:34 offset1:35
	;; [unrolled: 1-line block ×16, first 2 shown]
	v_cndmask_b32_e64 v4, 0, 1, vcc_lo
	v_cmp_gt_i32_e32 vcc_lo, v1, v3
	s_waitcnt lgkmcnt(0)
	s_sub_i32 s2, s2, s14
	s_cmp_eq_u32 s3, 0
	v_add_co_ci_u32_e32 v2, vcc_lo, s2, v2, vcc_lo
	v_cmp_gt_i32_e32 vcc_lo, v1, v6
	s_cselect_b32 s2, 2, 1
	s_cselect_b32 s3, 1, 2
	v_cndmask_b32_e64 v3, 0, 1, vcc_lo
	v_cmp_gt_i32_e32 vcc_lo, v1, v5
	v_add_co_ci_u32_e32 v2, vcc_lo, v2, v4, vcc_lo
	v_cmp_gt_i32_e32 vcc_lo, v1, v8
	v_cndmask_b32_e64 v4, 0, 1, vcc_lo
	v_cmp_gt_i32_e32 vcc_lo, v1, v7
	s_delay_alu instid0(VALU_DEP_4) | instskip(SKIP_3) | instid1(VALU_DEP_4)
	v_add_co_ci_u32_e32 v2, vcc_lo, v2, v3, vcc_lo
	v_cmp_gt_i32_e32 vcc_lo, v1, v10
	v_cndmask_b32_e64 v3, 0, 1, vcc_lo
	v_cmp_gt_i32_e32 vcc_lo, v1, v9
	v_add_co_ci_u32_e32 v2, vcc_lo, v2, v4, vcc_lo
	v_cmp_gt_i32_e32 vcc_lo, v1, v12
	v_cndmask_b32_e64 v4, 0, 1, vcc_lo
	v_cmp_gt_i32_e32 vcc_lo, v1, v11
	s_delay_alu instid0(VALU_DEP_4)
	v_add_co_ci_u32_e32 v2, vcc_lo, v2, v3, vcc_lo
	v_cmp_gt_i32_e32 vcc_lo, v1, v14
	v_add_nc_u32_e32 v14, s14, v1
	v_cndmask_b32_e64 v3, 0, 1, vcc_lo
	v_cmp_gt_i32_e32 vcc_lo, v1, v13
	v_add_co_ci_u32_e32 v2, vcc_lo, v2, v4, vcc_lo
	v_cmp_gt_i32_e32 vcc_lo, v1, v16
	v_cndmask_b32_e64 v4, 0, 1, vcc_lo
	v_cmp_gt_i32_e32 vcc_lo, v1, v15
	s_delay_alu instid0(VALU_DEP_4) | instskip(SKIP_3) | instid1(VALU_DEP_4)
	v_add_co_ci_u32_e32 v2, vcc_lo, v2, v3, vcc_lo
	v_cmp_gt_i32_e32 vcc_lo, v1, v18
	v_cndmask_b32_e64 v3, 0, 1, vcc_lo
	v_cmp_gt_i32_e32 vcc_lo, v1, v17
	v_add_co_ci_u32_e32 v2, vcc_lo, v2, v4, vcc_lo
	v_cmp_gt_i32_e32 vcc_lo, v1, v20
	v_cndmask_b32_e64 v4, 0, 1, vcc_lo
	v_cmp_gt_i32_e32 vcc_lo, v1, v19
	s_delay_alu instid0(VALU_DEP_4) | instskip(SKIP_3) | instid1(VALU_DEP_4)
	v_add_co_ci_u32_e32 v2, vcc_lo, v2, v3, vcc_lo
	v_cmp_gt_i32_e32 vcc_lo, v1, v22
	;; [unrolled: 9-line block ×12, first 2 shown]
	v_cndmask_b32_e64 v3, 0, 1, vcc_lo
	v_cmp_gt_i32_e32 vcc_lo, v1, v61
	v_add_co_ci_u32_e32 v2, vcc_lo, v2, v4, vcc_lo
	v_cmp_gt_i32_e32 vcc_lo, v1, v64
	v_cndmask_b32_e64 v4, 0, 1, vcc_lo
	v_cmp_gt_i32_e32 vcc_lo, v1, v63
	s_delay_alu instid0(VALU_DEP_4) | instskip(SKIP_3) | instid1(VALU_DEP_4)
	v_add_co_ci_u32_e32 v2, vcc_lo, v2, v3, vcc_lo
	v_lshlrev_b32_e32 v3, 2, v0
	v_cmp_gt_i32_e32 vcc_lo, v1, v65
	v_lshlrev_b32_e32 v0, 5, v0
	v_add_co_ci_u32_e32 v10, vcc_lo, v2, v4, vcc_lo
	s_delay_alu instid0(VALU_DEP_4) | instskip(SKIP_1) | instid1(VALU_DEP_4)
	v_or_b32_e32 v2, s2, v3
	v_or_b32_e32 v3, s3, v3
	v_add_nc_u32_e32 v4, 0, v0
	v_add3_u32 v0, 0, 0x100, v0
	v_lshlrev_b32_e32 v12, 2, v10
	v_lshl_add_u32 v5, v2, 3, 0
	v_lshl_add_u32 v8, v3, 3, 0
	v_ashrrev_i32_e32 v11, 31, v10
	ds_load_b64 v[2:3], v4 offset:256
	ds_load_b64 v[6:7], v5 offset:256
	;; [unrolled: 1-line block ×4, first 2 shown]
	v_ashrrev_i32_e32 v13, 31, v12
	v_lshlrev_b64 v[10:11], 2, v[10:11]
	s_delay_alu instid0(VALU_DEP_2) | instskip(NEXT) | instid1(VALU_DEP_2)
	v_lshlrev_b64 v[0:1], 3, v[12:13]
	v_add_co_u32 v10, vcc_lo, s6, v10
	s_delay_alu instid0(VALU_DEP_3) | instskip(NEXT) | instid1(VALU_DEP_3)
	v_add_co_ci_u32_e32 v11, vcc_lo, s7, v11, vcc_lo
	v_add_co_u32 v0, vcc_lo, s0, v0
	s_delay_alu instid0(VALU_DEP_4)
	v_add_co_ci_u32_e32 v1, vcc_lo, s1, v1, vcc_lo
	global_store_b32 v[10:11], v14, off
	s_waitcnt lgkmcnt(1)
	global_store_b128 v[0:1], v[2:5], off
	s_waitcnt lgkmcnt(0)
	global_store_b128 v[0:1], v[6:9], off offset:16
.LBB28_154:
	s_nop 0
	s_sendmsg sendmsg(MSG_DEALLOC_VGPRS)
	s_endpgm
	.section	.rodata,"a",@progbits
	.p2align	6, 0x0
	.amdhsa_kernel _ZN9rocsparseL30bsrgemm_fill_block_per_row_2x2ILj256ELj16ELj64ELj137EiidEEv20rocsparse_direction_T4_S2_PKS2_S4_NS_24const_host_device_scalarIT5_EEPKT3_S4_PKS6_SA_S4_SC_S7_SA_S4_SC_SA_PS2_PS6_21rocsparse_index_base_SF_SF_SF_bbb
		.amdhsa_group_segment_fixed_size 0
		.amdhsa_private_segment_fixed_size 0
		.amdhsa_kernarg_size 164
		.amdhsa_user_sgpr_count 15
		.amdhsa_user_sgpr_dispatch_ptr 0
		.amdhsa_user_sgpr_queue_ptr 0
		.amdhsa_user_sgpr_kernarg_segment_ptr 1
		.amdhsa_user_sgpr_dispatch_id 0
		.amdhsa_user_sgpr_private_segment_size 0
		.amdhsa_wavefront_size32 1
		.amdhsa_uses_dynamic_stack 0
		.amdhsa_enable_private_segment 0
		.amdhsa_system_sgpr_workgroup_id_x 1
		.amdhsa_system_sgpr_workgroup_id_y 0
		.amdhsa_system_sgpr_workgroup_id_z 0
		.amdhsa_system_sgpr_workgroup_info 0
		.amdhsa_system_vgpr_workitem_id 0
		.amdhsa_next_free_vgpr 66
		.amdhsa_next_free_sgpr 36
		.amdhsa_reserve_vcc 1
		.amdhsa_float_round_mode_32 0
		.amdhsa_float_round_mode_16_64 0
		.amdhsa_float_denorm_mode_32 3
		.amdhsa_float_denorm_mode_16_64 3
		.amdhsa_dx10_clamp 1
		.amdhsa_ieee_mode 1
		.amdhsa_fp16_overflow 0
		.amdhsa_workgroup_processor_mode 1
		.amdhsa_memory_ordered 1
		.amdhsa_forward_progress 0
		.amdhsa_shared_vgpr_count 0
		.amdhsa_exception_fp_ieee_invalid_op 0
		.amdhsa_exception_fp_denorm_src 0
		.amdhsa_exception_fp_ieee_div_zero 0
		.amdhsa_exception_fp_ieee_overflow 0
		.amdhsa_exception_fp_ieee_underflow 0
		.amdhsa_exception_fp_ieee_inexact 0
		.amdhsa_exception_int_div_zero 0
	.end_amdhsa_kernel
	.section	.text._ZN9rocsparseL30bsrgemm_fill_block_per_row_2x2ILj256ELj16ELj64ELj137EiidEEv20rocsparse_direction_T4_S2_PKS2_S4_NS_24const_host_device_scalarIT5_EEPKT3_S4_PKS6_SA_S4_SC_S7_SA_S4_SC_SA_PS2_PS6_21rocsparse_index_base_SF_SF_SF_bbb,"axG",@progbits,_ZN9rocsparseL30bsrgemm_fill_block_per_row_2x2ILj256ELj16ELj64ELj137EiidEEv20rocsparse_direction_T4_S2_PKS2_S4_NS_24const_host_device_scalarIT5_EEPKT3_S4_PKS6_SA_S4_SC_S7_SA_S4_SC_SA_PS2_PS6_21rocsparse_index_base_SF_SF_SF_bbb,comdat
.Lfunc_end28:
	.size	_ZN9rocsparseL30bsrgemm_fill_block_per_row_2x2ILj256ELj16ELj64ELj137EiidEEv20rocsparse_direction_T4_S2_PKS2_S4_NS_24const_host_device_scalarIT5_EEPKT3_S4_PKS6_SA_S4_SC_S7_SA_S4_SC_SA_PS2_PS6_21rocsparse_index_base_SF_SF_SF_bbb, .Lfunc_end28-_ZN9rocsparseL30bsrgemm_fill_block_per_row_2x2ILj256ELj16ELj64ELj137EiidEEv20rocsparse_direction_T4_S2_PKS2_S4_NS_24const_host_device_scalarIT5_EEPKT3_S4_PKS6_SA_S4_SC_S7_SA_S4_SC_SA_PS2_PS6_21rocsparse_index_base_SF_SF_SF_bbb
                                        ; -- End function
	.section	.AMDGPU.csdata,"",@progbits
; Kernel info:
; codeLenInByte = 6008
; NumSgprs: 38
; NumVgprs: 66
; ScratchSize: 0
; MemoryBound: 0
; FloatMode: 240
; IeeeMode: 1
; LDSByteSize: 0 bytes/workgroup (compile time only)
; SGPRBlocks: 4
; VGPRBlocks: 8
; NumSGPRsForWavesPerEU: 38
; NumVGPRsForWavesPerEU: 66
; Occupancy: 16
; WaveLimiterHint : 1
; COMPUTE_PGM_RSRC2:SCRATCH_EN: 0
; COMPUTE_PGM_RSRC2:USER_SGPR: 15
; COMPUTE_PGM_RSRC2:TRAP_HANDLER: 0
; COMPUTE_PGM_RSRC2:TGID_X_EN: 1
; COMPUTE_PGM_RSRC2:TGID_Y_EN: 0
; COMPUTE_PGM_RSRC2:TGID_Z_EN: 0
; COMPUTE_PGM_RSRC2:TIDIG_COMP_CNT: 0
	.section	.text._ZN9rocsparseL30bsrgemm_fill_block_per_row_2x2ILj256ELj16ELj128ELj137EiidEEv20rocsparse_direction_T4_S2_PKS2_S4_NS_24const_host_device_scalarIT5_EEPKT3_S4_PKS6_SA_S4_SC_S7_SA_S4_SC_SA_PS2_PS6_21rocsparse_index_base_SF_SF_SF_bbb,"axG",@progbits,_ZN9rocsparseL30bsrgemm_fill_block_per_row_2x2ILj256ELj16ELj128ELj137EiidEEv20rocsparse_direction_T4_S2_PKS2_S4_NS_24const_host_device_scalarIT5_EEPKT3_S4_PKS6_SA_S4_SC_S7_SA_S4_SC_SA_PS2_PS6_21rocsparse_index_base_SF_SF_SF_bbb,comdat
	.globl	_ZN9rocsparseL30bsrgemm_fill_block_per_row_2x2ILj256ELj16ELj128ELj137EiidEEv20rocsparse_direction_T4_S2_PKS2_S4_NS_24const_host_device_scalarIT5_EEPKT3_S4_PKS6_SA_S4_SC_S7_SA_S4_SC_SA_PS2_PS6_21rocsparse_index_base_SF_SF_SF_bbb ; -- Begin function _ZN9rocsparseL30bsrgemm_fill_block_per_row_2x2ILj256ELj16ELj128ELj137EiidEEv20rocsparse_direction_T4_S2_PKS2_S4_NS_24const_host_device_scalarIT5_EEPKT3_S4_PKS6_SA_S4_SC_S7_SA_S4_SC_SA_PS2_PS6_21rocsparse_index_base_SF_SF_SF_bbb
	.p2align	8
	.type	_ZN9rocsparseL30bsrgemm_fill_block_per_row_2x2ILj256ELj16ELj128ELj137EiidEEv20rocsparse_direction_T4_S2_PKS2_S4_NS_24const_host_device_scalarIT5_EEPKT3_S4_PKS6_SA_S4_SC_S7_SA_S4_SC_SA_PS2_PS6_21rocsparse_index_base_SF_SF_SF_bbb,@function
_ZN9rocsparseL30bsrgemm_fill_block_per_row_2x2ILj256ELj16ELj128ELj137EiidEEv20rocsparse_direction_T4_S2_PKS2_S4_NS_24const_host_device_scalarIT5_EEPKT3_S4_PKS6_SA_S4_SC_S7_SA_S4_SC_SA_PS2_PS6_21rocsparse_index_base_SF_SF_SF_bbb: ; @_ZN9rocsparseL30bsrgemm_fill_block_per_row_2x2ILj256ELj16ELj128ELj137EiidEEv20rocsparse_direction_T4_S2_PKS2_S4_NS_24const_host_device_scalarIT5_EEPKT3_S4_PKS6_SA_S4_SC_S7_SA_S4_SC_SA_PS2_PS6_21rocsparse_index_base_SF_SF_SF_bbb
; %bb.0:
	s_clause 0x2
	s_load_b32 s6, s[0:1], 0xa0
	s_load_b64 s[4:5], s[0:1], 0x20
	s_load_b64 s[2:3], s[0:1], 0x58
	s_mov_b32 s34, s15
	s_waitcnt lgkmcnt(0)
	s_and_b32 s8, 1, s6
	s_bitcmp1_b32 s6, 16
	s_cselect_b32 s7, -1, 0
	s_cmp_eq_u32 s8, 1
	s_cselect_b32 s35, -1, 0
	s_delay_alu instid0(SALU_CYCLE_1)
	s_and_b32 s8, s35, exec_lo
	s_cselect_b32 s9, s5, 0
	s_cselect_b32 s8, s4, 0
	s_xor_b32 s10, s35, -1
	v_dual_mov_b32 v3, s8 :: v_dual_mov_b32 v4, s9
	s_or_b32 s10, s10, s7
	s_delay_alu instid0(SALU_CYCLE_1)
	s_and_b32 vcc_lo, exec_lo, s10
	s_cbranch_vccnz .LBB29_2
; %bb.1:
	v_dual_mov_b32 v1, s4 :: v_dual_mov_b32 v2, s5
	flat_load_b64 v[3:4], v[1:2]
.LBB29_2:
	s_bitcmp1_b32 s6, 8
	s_cselect_b32 s33, -1, 0
	s_delay_alu instid0(SALU_CYCLE_1)
	s_and_b32 s4, s33, exec_lo
	s_cselect_b32 s5, s3, 0
	s_cselect_b32 s4, s2, 0
	s_xor_b32 s6, s33, -1
	v_dual_mov_b32 v1, s4 :: v_dual_mov_b32 v2, s5
	s_or_b32 s6, s6, s7
	s_delay_alu instid0(SALU_CYCLE_1)
	s_and_b32 vcc_lo, exec_lo, s6
	s_cbranch_vccnz .LBB29_4
; %bb.3:
	v_dual_mov_b32 v1, s2 :: v_dual_mov_b32 v2, s3
	flat_load_b64 v[1:2], v[1:2]
.LBB29_4:
	s_clause 0x1
	s_load_b128 s[20:23], s[0:1], 0x90
	s_load_b32 s3, s[0:1], 0x8
	v_cmp_gt_u32_e64 s2, 0x80, v0
	v_lshl_add_u32 v28, v0, 2, 0
	s_delay_alu instid0(VALU_DEP_2)
	s_and_saveexec_b32 s4, s2
	s_cbranch_execz .LBB29_6
; %bb.5:
	s_waitcnt lgkmcnt(0)
	v_mov_b32_e32 v5, s3
	ds_store_b32 v28, v5
.LBB29_6:
	s_or_b32 exec_lo, exec_lo, s4
	s_clause 0x4
	s_load_b128 s[24:27], s[0:1], 0x80
	s_load_b256 s[4:11], s[0:1], 0x60
	s_load_b128 s[28:31], s[0:1], 0x48
	s_load_b128 s[36:39], s[0:1], 0x10
	s_load_b256 s[12:19], s[0:1], 0x28
	s_mov_b32 s40, exec_lo
	v_cmpx_gt_u32_e32 0x200, v0
	s_cbranch_execz .LBB29_9
; %bb.7:
	v_dual_mov_b32 v5, 0 :: v_dual_lshlrev_b32 v6, 3, v0
	v_or_b32_e32 v7, 0xffffff00, v0
	s_mov_b32 s41, 0
	s_delay_alu instid0(VALU_DEP_2) | instskip(NEXT) | instid1(VALU_DEP_3)
	v_add3_u32 v8, v6, 0, 0x200
	v_mov_b32_e32 v6, v5
.LBB29_8:                               ; =>This Inner Loop Header: Depth=1
	s_delay_alu instid0(VALU_DEP_3) | instskip(NEXT) | instid1(VALU_DEP_1)
	v_add_co_u32 v7, s42, 0x100, v7
	s_xor_b32 s42, s42, -1
	ds_store_b64 v8, v[5:6]
	v_add_nc_u32_e32 v8, 0x800, v8
	s_and_b32 s42, exec_lo, s42
	s_delay_alu instid0(SALU_CYCLE_1) | instskip(NEXT) | instid1(SALU_CYCLE_1)
	s_or_b32 s41, s42, s41
	s_and_not1_b32 exec_lo, exec_lo, s41
	s_cbranch_execnz .LBB29_8
.LBB29_9:
	s_or_b32 exec_lo, exec_lo, s40
	s_waitcnt lgkmcnt(0)
	s_cmp_lg_u64 s[38:39], 0
	s_waitcnt vmcnt(0)
	s_barrier
	buffer_gl0_inv
	s_cbranch_scc0 .LBB29_11
; %bb.10:
	s_load_b32 s36, s[36:37], 0x0
	s_mov_b32 s37, 0
	s_waitcnt lgkmcnt(0)
	s_add_i32 s36, s36, s34
	s_delay_alu instid0(SALU_CYCLE_1) | instskip(NEXT) | instid1(SALU_CYCLE_1)
	s_lshl_b64 s[36:37], s[36:37], 2
	s_add_u32 s36, s38, s36
	s_addc_u32 s37, s39, s37
	s_load_b32 s34, s[36:37], 0x0
.LBB29_11:
	s_load_b32 s0, s[0:1], 0x0
	s_and_not1_b32 vcc_lo, exec_lo, s35
	s_waitcnt lgkmcnt(0)
	s_ashr_i32 s35, s34, 31
	s_cbranch_vccnz .LBB29_83
; %bb.12:
	s_lshl_b64 s[36:37], s[34:35], 2
	v_lshrrev_b32_e32 v5, 4, v0
	s_add_u32 s12, s12, s36
	s_addc_u32 s13, s13, s37
	s_load_b64 s[12:13], s[12:13], 0x0
	s_delay_alu instid0(VALU_DEP_1) | instskip(SKIP_1) | instid1(VALU_DEP_1)
	v_subrev_nc_u32_e32 v5, s20, v5
	s_waitcnt lgkmcnt(0)
	v_add_nc_u32_e32 v5, s12, v5
	s_sub_i32 s1, s13, s20
	s_mov_b32 s12, exec_lo
	s_delay_alu instid0(VALU_DEP_1)
	v_cmpx_gt_i32_e64 s1, v5
	s_cbranch_execz .LBB29_82
; %bb.13:
	v_and_b32_e32 v6, 15, v0
	s_cmp_eq_u32 s0, 0
	s_mov_b32 s13, 0
	s_cselect_b32 s36, 1, 2
	s_cselect_b32 s37, 2, 1
	v_subrev_nc_u32_e32 v29, s21, v6
	s_branch .LBB29_15
.LBB29_14:                              ;   in Loop: Header=BB29_15 Depth=1
	s_or_b32 exec_lo, exec_lo, s38
	v_add_nc_u32_e32 v5, 16, v5
	s_delay_alu instid0(VALU_DEP_1) | instskip(SKIP_1) | instid1(SALU_CYCLE_1)
	v_cmp_le_i32_e32 vcc_lo, s1, v5
	s_or_b32 s13, vcc_lo, s13
	s_and_not1_b32 exec_lo, exec_lo, s13
	s_cbranch_execz .LBB29_82
.LBB29_15:                              ; =>This Loop Header: Depth=1
                                        ;     Child Loop BB29_18 Depth 2
                                        ;       Child Loop BB29_20 Depth 3
                                        ;         Child Loop BB29_26 Depth 4
                                        ;         Child Loop BB29_32 Depth 4
                                        ;       Child Loop BB29_36 Depth 3
                                        ;         Child Loop BB29_42 Depth 4
                                        ;         Child Loop BB29_48 Depth 4
	;; [unrolled: 3-line block ×4, first 2 shown]
	v_ashrrev_i32_e32 v6, 31, v5
	s_mov_b32 s38, exec_lo
	s_delay_alu instid0(VALU_DEP_1) | instskip(NEXT) | instid1(VALU_DEP_1)
	v_lshlrev_b64 v[6:7], 2, v[5:6]
	v_add_co_u32 v6, vcc_lo, s14, v6
	s_delay_alu instid0(VALU_DEP_2) | instskip(SKIP_3) | instid1(VALU_DEP_1)
	v_add_co_ci_u32_e32 v7, vcc_lo, s15, v7, vcc_lo
	global_load_b32 v6, v[6:7], off
	s_waitcnt vmcnt(0)
	v_subrev_nc_u32_e32 v6, s20, v6
	v_ashrrev_i32_e32 v7, 31, v6
	s_delay_alu instid0(VALU_DEP_1) | instskip(NEXT) | instid1(VALU_DEP_1)
	v_lshlrev_b64 v[6:7], 2, v[6:7]
	v_add_co_u32 v6, vcc_lo, s18, v6
	s_delay_alu instid0(VALU_DEP_2) | instskip(SKIP_4) | instid1(VALU_DEP_1)
	v_add_co_ci_u32_e32 v7, vcc_lo, s19, v7, vcc_lo
	global_load_b64 v[6:7], v[6:7], off
	s_waitcnt vmcnt(0)
	v_subrev_nc_u32_e32 v30, s21, v7
	v_add_nc_u32_e32 v6, v6, v29
	v_cmpx_lt_i32_e64 v6, v30
	s_cbranch_execz .LBB29_14
; %bb.16:                               ;   in Loop: Header=BB29_15 Depth=1
	v_lshlrev_b32_e32 v7, 2, v5
	s_mov_b32 s39, 0
	s_delay_alu instid0(VALU_DEP_1) | instskip(SKIP_2) | instid1(VALU_DEP_3)
	v_or_b32_e32 v9, s37, v7
	v_ashrrev_i32_e32 v8, 31, v7
	v_or_b32_e32 v11, s36, v7
	v_ashrrev_i32_e32 v10, 31, v9
	s_delay_alu instid0(VALU_DEP_3) | instskip(NEXT) | instid1(VALU_DEP_3)
	v_lshlrev_b64 v[7:8], 3, v[7:8]
	v_ashrrev_i32_e32 v12, 31, v11
	s_delay_alu instid0(VALU_DEP_3) | instskip(NEXT) | instid1(VALU_DEP_2)
	v_lshlrev_b64 v[9:10], 3, v[9:10]
	v_lshlrev_b64 v[11:12], 3, v[11:12]
	s_delay_alu instid0(VALU_DEP_4) | instskip(SKIP_1) | instid1(VALU_DEP_4)
	v_add_co_u32 v7, vcc_lo, s16, v7
	v_add_co_ci_u32_e32 v8, vcc_lo, s17, v8, vcc_lo
	v_add_co_u32 v9, vcc_lo, s16, v9
	v_add_co_ci_u32_e32 v10, vcc_lo, s17, v10, vcc_lo
	;; [unrolled: 2-line block ×3, first 2 shown]
	s_clause 0x3
	global_load_b64 v[13:14], v[7:8], off offset:24
	global_load_b64 v[15:16], v[9:10], off
	global_load_b64 v[17:18], v[11:12], off
	;; [unrolled: 1-line block ×3, first 2 shown]
	s_waitcnt vmcnt(3)
	v_mul_f64 v[8:9], v[3:4], v[13:14]
	s_waitcnt vmcnt(2)
	v_mul_f64 v[10:11], v[3:4], v[15:16]
	;; [unrolled: 2-line block ×4, first 2 shown]
	s_branch .LBB29_18
.LBB29_17:                              ;   in Loop: Header=BB29_18 Depth=2
	s_or_b32 exec_lo, exec_lo, s40
	v_add_nc_u32_e32 v6, 16, v6
	s_delay_alu instid0(VALU_DEP_1) | instskip(SKIP_1) | instid1(SALU_CYCLE_1)
	v_cmp_ge_i32_e32 vcc_lo, v6, v30
	s_or_b32 s39, vcc_lo, s39
	s_and_not1_b32 exec_lo, exec_lo, s39
	s_cbranch_execz .LBB29_14
.LBB29_18:                              ;   Parent Loop BB29_15 Depth=1
                                        ; =>  This Loop Header: Depth=2
                                        ;       Child Loop BB29_20 Depth 3
                                        ;         Child Loop BB29_26 Depth 4
                                        ;         Child Loop BB29_32 Depth 4
                                        ;       Child Loop BB29_36 Depth 3
                                        ;         Child Loop BB29_42 Depth 4
                                        ;         Child Loop BB29_48 Depth 4
	;; [unrolled: 3-line block ×4, first 2 shown]
	v_lshlrev_b32_e32 v16, 2, v6
	v_ashrrev_i32_e32 v7, 31, v6
	s_mov_b32 s40, 0
	s_delay_alu instid0(VALU_DEP_2) | instskip(NEXT) | instid1(VALU_DEP_1)
	v_or_b32_e32 v17, s37, v16
	v_ashrrev_i32_e32 v18, 31, v17
	s_delay_alu instid0(VALU_DEP_1) | instskip(NEXT) | instid1(VALU_DEP_1)
	v_lshlrev_b64 v[17:18], 3, v[17:18]
	v_add_co_u32 v17, vcc_lo, s30, v17
	s_delay_alu instid0(VALU_DEP_2) | instskip(SKIP_2) | instid1(VALU_DEP_1)
	v_add_co_ci_u32_e32 v18, vcc_lo, s31, v18, vcc_lo
	global_load_b64 v[20:21], v[17:18], off
	v_ashrrev_i32_e32 v17, 31, v16
	v_lshlrev_b64 v[17:18], 3, v[16:17]
	v_or_b32_e32 v16, s36, v16
	s_delay_alu instid0(VALU_DEP_2) | instskip(NEXT) | instid1(VALU_DEP_3)
	v_add_co_u32 v24, vcc_lo, s30, v17
	v_add_co_ci_u32_e32 v25, vcc_lo, s31, v18, vcc_lo
	v_lshlrev_b64 v[17:18], 2, v[6:7]
	global_load_b64 v[22:23], v[24:25], off
	v_add_co_u32 v17, vcc_lo, s28, v17
	v_add_co_ci_u32_e32 v18, vcc_lo, s29, v18, vcc_lo
	global_load_b32 v7, v[17:18], off
	v_ashrrev_i32_e32 v17, 31, v16
	s_delay_alu instid0(VALU_DEP_1) | instskip(NEXT) | instid1(VALU_DEP_1)
	v_lshlrev_b64 v[16:17], 3, v[16:17]
	v_add_co_u32 v16, vcc_lo, s30, v16
	s_delay_alu instid0(VALU_DEP_2)
	v_add_co_ci_u32_e32 v17, vcc_lo, s31, v17, vcc_lo
	s_clause 0x1
	global_load_b64 v[16:17], v[16:17], off
	global_load_b64 v[18:19], v[24:25], off offset:24
	s_waitcnt vmcnt(4)
	v_mul_f64 v[24:25], v[12:13], v[20:21]
	s_waitcnt vmcnt(2)
	v_subrev_nc_u32_e32 v7, s21, v7
	s_delay_alu instid0(VALU_DEP_1) | instskip(NEXT) | instid1(VALU_DEP_3)
	v_lshl_add_u32 v26, v7, 3, v7
	v_fma_f64 v[24:25], v[14:15], v[22:23], v[24:25]
	s_delay_alu instid0(VALU_DEP_2) | instskip(NEXT) | instid1(VALU_DEP_1)
	v_and_b32_e32 v31, 0x7f, v26
	v_mov_b32_e32 v32, v31
	s_branch .LBB29_20
.LBB29_19:                              ;   in Loop: Header=BB29_20 Depth=3
	s_or_b32 exec_lo, exec_lo, s41
	s_xor_b32 s41, s42, -1
	s_delay_alu instid0(SALU_CYCLE_1) | instskip(NEXT) | instid1(SALU_CYCLE_1)
	s_and_b32 s41, exec_lo, s41
	s_or_b32 s40, s41, s40
	s_delay_alu instid0(SALU_CYCLE_1)
	s_and_not1_b32 exec_lo, exec_lo, s40
	s_cbranch_execz .LBB29_34
.LBB29_20:                              ;   Parent Loop BB29_15 Depth=1
                                        ;     Parent Loop BB29_18 Depth=2
                                        ; =>    This Loop Header: Depth=3
                                        ;         Child Loop BB29_26 Depth 4
                                        ;         Child Loop BB29_32 Depth 4
	s_delay_alu instid0(VALU_DEP_1)
	v_lshl_add_u32 v26, v32, 2, 0
	s_mov_b32 s41, exec_lo
                                        ; implicit-def: $sgpr42
	ds_load_b32 v27, v26
	s_waitcnt lgkmcnt(0)
	v_cmpx_ne_u32_e64 v27, v7
	s_xor_b32 s41, exec_lo, s41
	s_cbranch_execz .LBB29_30
; %bb.21:                               ;   in Loop: Header=BB29_20 Depth=3
	s_mov_b32 s43, exec_lo
                                        ; implicit-def: $sgpr42
	v_cmpx_ne_u32_e64 s3, v27
	s_xor_b32 s43, exec_lo, s43
; %bb.22:                               ;   in Loop: Header=BB29_20 Depth=3
	v_add_nc_u32_e32 v26, 1, v32
	s_mov_b32 s42, -1
	s_delay_alu instid0(VALU_DEP_1)
	v_and_b32_e32 v32, 0x7f, v26
                                        ; implicit-def: $vgpr26
; %bb.23:                               ;   in Loop: Header=BB29_20 Depth=3
	s_and_not1_saveexec_b32 s43, s43
	s_cbranch_execz .LBB29_29
; %bb.24:                               ;   in Loop: Header=BB29_20 Depth=3
	v_mov_b32_e32 v27, s3
	s_mov_b32 s45, -1
	s_mov_b32 s44, exec_lo
	ds_cmpstore_rtn_b32 v27, v26, v7, v27
	s_waitcnt lgkmcnt(0)
	v_cmpx_eq_u32_e64 s3, v27
	s_cbranch_execz .LBB29_28
; %bb.25:                               ;   in Loop: Header=BB29_20 Depth=3
	v_mul_lo_u32 v27, v32, 28
	s_mov_b32 s45, 0
	s_delay_alu instid0(VALU_DEP_1)
	v_add_nc_u32_e32 v33, v26, v27
	ds_load_b64 v[26:27], v33 offset:512
.LBB29_26:                              ;   Parent Loop BB29_15 Depth=1
                                        ;     Parent Loop BB29_18 Depth=2
                                        ;       Parent Loop BB29_20 Depth=3
                                        ; =>      This Inner Loop Header: Depth=4
	s_waitcnt lgkmcnt(0)
	v_add_f64 v[34:35], v[26:27], v[24:25]
	ds_cmpstore_rtn_b64 v[34:35], v33, v[34:35], v[26:27] offset:512
	s_waitcnt lgkmcnt(0)
	v_cmp_eq_u64_e32 vcc_lo, v[34:35], v[26:27]
	v_dual_mov_b32 v26, v34 :: v_dual_mov_b32 v27, v35
	s_or_b32 s45, vcc_lo, s45
	s_delay_alu instid0(SALU_CYCLE_1)
	s_and_not1_b32 exec_lo, exec_lo, s45
	s_cbranch_execnz .LBB29_26
; %bb.27:                               ;   in Loop: Header=BB29_20 Depth=3
	s_or_b32 exec_lo, exec_lo, s45
	s_delay_alu instid0(SALU_CYCLE_1)
	s_xor_b32 s45, exec_lo, -1
.LBB29_28:                              ;   in Loop: Header=BB29_20 Depth=3
	s_or_b32 exec_lo, exec_lo, s44
	s_delay_alu instid0(SALU_CYCLE_1) | instskip(SKIP_1) | instid1(SALU_CYCLE_1)
	s_and_not1_b32 s42, s42, exec_lo
	s_and_b32 s44, s45, exec_lo
	s_or_b32 s42, s42, s44
.LBB29_29:                              ;   in Loop: Header=BB29_20 Depth=3
	s_or_b32 exec_lo, exec_lo, s43
	s_delay_alu instid0(SALU_CYCLE_1)
	s_and_b32 s42, s42, exec_lo
                                        ; implicit-def: $vgpr26
.LBB29_30:                              ;   in Loop: Header=BB29_20 Depth=3
	s_and_not1_saveexec_b32 s41, s41
	s_cbranch_execz .LBB29_19
; %bb.31:                               ;   in Loop: Header=BB29_20 Depth=3
	v_mul_lo_u32 v27, v32, 28
	s_mov_b32 s43, 0
	s_delay_alu instid0(VALU_DEP_1)
	v_add_nc_u32_e32 v33, v26, v27
	ds_load_b64 v[26:27], v33 offset:512
.LBB29_32:                              ;   Parent Loop BB29_15 Depth=1
                                        ;     Parent Loop BB29_18 Depth=2
                                        ;       Parent Loop BB29_20 Depth=3
                                        ; =>      This Inner Loop Header: Depth=4
	s_waitcnt lgkmcnt(0)
	v_add_f64 v[34:35], v[26:27], v[24:25]
	ds_cmpstore_rtn_b64 v[34:35], v33, v[34:35], v[26:27] offset:512
	s_waitcnt lgkmcnt(0)
	v_cmp_eq_u64_e32 vcc_lo, v[34:35], v[26:27]
	v_dual_mov_b32 v26, v34 :: v_dual_mov_b32 v27, v35
	s_or_b32 s43, vcc_lo, s43
	s_delay_alu instid0(SALU_CYCLE_1)
	s_and_not1_b32 exec_lo, exec_lo, s43
	s_cbranch_execnz .LBB29_32
; %bb.33:                               ;   in Loop: Header=BB29_20 Depth=3
	s_or_b32 exec_lo, exec_lo, s43
	s_delay_alu instid0(SALU_CYCLE_1)
	s_and_not1_b32 s42, s42, exec_lo
	s_branch .LBB29_19
.LBB29_34:                              ;   in Loop: Header=BB29_18 Depth=2
	s_or_b32 exec_lo, exec_lo, s40
	s_waitcnt vmcnt(0)
	v_mul_f64 v[24:25], v[12:13], v[18:19]
	v_mov_b32_e32 v32, v31
	s_mov_b32 s40, 0
	s_delay_alu instid0(VALU_DEP_2)
	v_fma_f64 v[24:25], v[14:15], v[16:17], v[24:25]
	s_branch .LBB29_36
.LBB29_35:                              ;   in Loop: Header=BB29_36 Depth=3
	s_or_b32 exec_lo, exec_lo, s41
	s_xor_b32 s41, s42, -1
	s_delay_alu instid0(SALU_CYCLE_1) | instskip(NEXT) | instid1(SALU_CYCLE_1)
	s_and_b32 s41, exec_lo, s41
	s_or_b32 s40, s41, s40
	s_delay_alu instid0(SALU_CYCLE_1)
	s_and_not1_b32 exec_lo, exec_lo, s40
	s_cbranch_execz .LBB29_50
.LBB29_36:                              ;   Parent Loop BB29_15 Depth=1
                                        ;     Parent Loop BB29_18 Depth=2
                                        ; =>    This Loop Header: Depth=3
                                        ;         Child Loop BB29_42 Depth 4
                                        ;         Child Loop BB29_48 Depth 4
	s_delay_alu instid0(VALU_DEP_2)
	v_lshl_add_u32 v26, v32, 2, 0
	s_mov_b32 s41, exec_lo
                                        ; implicit-def: $sgpr42
	ds_load_b32 v27, v26
	s_waitcnt lgkmcnt(0)
	v_cmpx_ne_u32_e64 v27, v7
	s_xor_b32 s41, exec_lo, s41
	s_cbranch_execz .LBB29_46
; %bb.37:                               ;   in Loop: Header=BB29_36 Depth=3
	s_mov_b32 s43, exec_lo
                                        ; implicit-def: $sgpr42
	v_cmpx_ne_u32_e64 s3, v27
	s_xor_b32 s43, exec_lo, s43
; %bb.38:                               ;   in Loop: Header=BB29_36 Depth=3
	v_add_nc_u32_e32 v26, 1, v32
	s_mov_b32 s42, -1
	s_delay_alu instid0(VALU_DEP_1)
	v_and_b32_e32 v32, 0x7f, v26
                                        ; implicit-def: $vgpr26
; %bb.39:                               ;   in Loop: Header=BB29_36 Depth=3
	s_and_not1_saveexec_b32 s43, s43
	s_cbranch_execz .LBB29_45
; %bb.40:                               ;   in Loop: Header=BB29_36 Depth=3
	v_mov_b32_e32 v27, s3
	s_mov_b32 s45, -1
	s_mov_b32 s44, exec_lo
	ds_cmpstore_rtn_b32 v27, v26, v7, v27
	s_waitcnt lgkmcnt(0)
	v_cmpx_eq_u32_e64 s3, v27
	s_cbranch_execz .LBB29_44
; %bb.41:                               ;   in Loop: Header=BB29_36 Depth=3
	v_mul_lo_u32 v27, v32, 28
	s_mov_b32 s45, 0
	s_delay_alu instid0(VALU_DEP_1)
	v_add_nc_u32_e32 v33, v26, v27
	ds_load_b64 v[26:27], v33 offset:520
.LBB29_42:                              ;   Parent Loop BB29_15 Depth=1
                                        ;     Parent Loop BB29_18 Depth=2
                                        ;       Parent Loop BB29_36 Depth=3
                                        ; =>      This Inner Loop Header: Depth=4
	s_waitcnt lgkmcnt(0)
	v_add_f64 v[34:35], v[26:27], v[24:25]
	ds_cmpstore_rtn_b64 v[34:35], v33, v[34:35], v[26:27] offset:520
	s_waitcnt lgkmcnt(0)
	v_cmp_eq_u64_e32 vcc_lo, v[34:35], v[26:27]
	v_dual_mov_b32 v26, v34 :: v_dual_mov_b32 v27, v35
	s_or_b32 s45, vcc_lo, s45
	s_delay_alu instid0(SALU_CYCLE_1)
	s_and_not1_b32 exec_lo, exec_lo, s45
	s_cbranch_execnz .LBB29_42
; %bb.43:                               ;   in Loop: Header=BB29_36 Depth=3
	s_or_b32 exec_lo, exec_lo, s45
	s_delay_alu instid0(SALU_CYCLE_1)
	s_xor_b32 s45, exec_lo, -1
.LBB29_44:                              ;   in Loop: Header=BB29_36 Depth=3
	s_or_b32 exec_lo, exec_lo, s44
	s_delay_alu instid0(SALU_CYCLE_1) | instskip(SKIP_1) | instid1(SALU_CYCLE_1)
	s_and_not1_b32 s42, s42, exec_lo
	s_and_b32 s44, s45, exec_lo
	s_or_b32 s42, s42, s44
.LBB29_45:                              ;   in Loop: Header=BB29_36 Depth=3
	s_or_b32 exec_lo, exec_lo, s43
	s_delay_alu instid0(SALU_CYCLE_1)
	s_and_b32 s42, s42, exec_lo
                                        ; implicit-def: $vgpr26
.LBB29_46:                              ;   in Loop: Header=BB29_36 Depth=3
	s_and_not1_saveexec_b32 s41, s41
	s_cbranch_execz .LBB29_35
; %bb.47:                               ;   in Loop: Header=BB29_36 Depth=3
	v_mul_lo_u32 v27, v32, 28
	s_mov_b32 s43, 0
	s_delay_alu instid0(VALU_DEP_1)
	v_add_nc_u32_e32 v33, v26, v27
	ds_load_b64 v[26:27], v33 offset:520
.LBB29_48:                              ;   Parent Loop BB29_15 Depth=1
                                        ;     Parent Loop BB29_18 Depth=2
                                        ;       Parent Loop BB29_36 Depth=3
                                        ; =>      This Inner Loop Header: Depth=4
	s_waitcnt lgkmcnt(0)
	v_add_f64 v[34:35], v[26:27], v[24:25]
	ds_cmpstore_rtn_b64 v[34:35], v33, v[34:35], v[26:27] offset:520
	s_waitcnt lgkmcnt(0)
	v_cmp_eq_u64_e32 vcc_lo, v[34:35], v[26:27]
	v_dual_mov_b32 v26, v34 :: v_dual_mov_b32 v27, v35
	s_or_b32 s43, vcc_lo, s43
	s_delay_alu instid0(SALU_CYCLE_1)
	s_and_not1_b32 exec_lo, exec_lo, s43
	s_cbranch_execnz .LBB29_48
; %bb.49:                               ;   in Loop: Header=BB29_36 Depth=3
	s_or_b32 exec_lo, exec_lo, s43
	s_delay_alu instid0(SALU_CYCLE_1)
	s_and_not1_b32 s42, s42, exec_lo
	s_branch .LBB29_35
.LBB29_50:                              ;   in Loop: Header=BB29_18 Depth=2
	s_or_b32 exec_lo, exec_lo, s40
	v_mul_f64 v[20:21], v[8:9], v[20:21]
	v_mov_b32_e32 v24, v31
	s_mov_b32 s40, 0
	s_delay_alu instid0(VALU_DEP_2)
	v_fma_f64 v[20:21], v[10:11], v[22:23], v[20:21]
	s_branch .LBB29_52
.LBB29_51:                              ;   in Loop: Header=BB29_52 Depth=3
	s_or_b32 exec_lo, exec_lo, s41
	s_xor_b32 s41, s42, -1
	s_delay_alu instid0(SALU_CYCLE_1) | instskip(NEXT) | instid1(SALU_CYCLE_1)
	s_and_b32 s41, exec_lo, s41
	s_or_b32 s40, s41, s40
	s_delay_alu instid0(SALU_CYCLE_1)
	s_and_not1_b32 exec_lo, exec_lo, s40
	s_cbranch_execz .LBB29_66
.LBB29_52:                              ;   Parent Loop BB29_15 Depth=1
                                        ;     Parent Loop BB29_18 Depth=2
                                        ; =>    This Loop Header: Depth=3
                                        ;         Child Loop BB29_58 Depth 4
                                        ;         Child Loop BB29_64 Depth 4
	s_delay_alu instid0(VALU_DEP_2)
	v_lshl_add_u32 v22, v24, 2, 0
	s_mov_b32 s41, exec_lo
                                        ; implicit-def: $sgpr42
	ds_load_b32 v23, v22
	s_waitcnt lgkmcnt(0)
	v_cmpx_ne_u32_e64 v23, v7
	s_xor_b32 s41, exec_lo, s41
	s_cbranch_execz .LBB29_62
; %bb.53:                               ;   in Loop: Header=BB29_52 Depth=3
	s_mov_b32 s43, exec_lo
                                        ; implicit-def: $sgpr42
	v_cmpx_ne_u32_e64 s3, v23
	s_xor_b32 s43, exec_lo, s43
; %bb.54:                               ;   in Loop: Header=BB29_52 Depth=3
	v_add_nc_u32_e32 v22, 1, v24
	s_mov_b32 s42, -1
	s_delay_alu instid0(VALU_DEP_1)
	v_and_b32_e32 v24, 0x7f, v22
                                        ; implicit-def: $vgpr22
; %bb.55:                               ;   in Loop: Header=BB29_52 Depth=3
	s_and_not1_saveexec_b32 s43, s43
	s_cbranch_execz .LBB29_61
; %bb.56:                               ;   in Loop: Header=BB29_52 Depth=3
	v_mov_b32_e32 v23, s3
	s_mov_b32 s45, -1
	s_mov_b32 s44, exec_lo
	ds_cmpstore_rtn_b32 v23, v22, v7, v23
	s_waitcnt lgkmcnt(0)
	v_cmpx_eq_u32_e64 s3, v23
	s_cbranch_execz .LBB29_60
; %bb.57:                               ;   in Loop: Header=BB29_52 Depth=3
	v_mul_lo_u32 v23, v24, 28
	s_mov_b32 s45, 0
	s_delay_alu instid0(VALU_DEP_1)
	v_add_nc_u32_e32 v25, v22, v23
	ds_load_b64 v[22:23], v25 offset:528
.LBB29_58:                              ;   Parent Loop BB29_15 Depth=1
                                        ;     Parent Loop BB29_18 Depth=2
                                        ;       Parent Loop BB29_52 Depth=3
                                        ; =>      This Inner Loop Header: Depth=4
	s_waitcnt lgkmcnt(0)
	v_add_f64 v[26:27], v[22:23], v[20:21]
	ds_cmpstore_rtn_b64 v[26:27], v25, v[26:27], v[22:23] offset:528
	s_waitcnt lgkmcnt(0)
	v_cmp_eq_u64_e32 vcc_lo, v[26:27], v[22:23]
	v_dual_mov_b32 v22, v26 :: v_dual_mov_b32 v23, v27
	s_or_b32 s45, vcc_lo, s45
	s_delay_alu instid0(SALU_CYCLE_1)
	s_and_not1_b32 exec_lo, exec_lo, s45
	s_cbranch_execnz .LBB29_58
; %bb.59:                               ;   in Loop: Header=BB29_52 Depth=3
	s_or_b32 exec_lo, exec_lo, s45
	s_delay_alu instid0(SALU_CYCLE_1)
	s_xor_b32 s45, exec_lo, -1
.LBB29_60:                              ;   in Loop: Header=BB29_52 Depth=3
	s_or_b32 exec_lo, exec_lo, s44
	s_delay_alu instid0(SALU_CYCLE_1) | instskip(SKIP_1) | instid1(SALU_CYCLE_1)
	s_and_not1_b32 s42, s42, exec_lo
	s_and_b32 s44, s45, exec_lo
	s_or_b32 s42, s42, s44
.LBB29_61:                              ;   in Loop: Header=BB29_52 Depth=3
	s_or_b32 exec_lo, exec_lo, s43
	s_delay_alu instid0(SALU_CYCLE_1)
	s_and_b32 s42, s42, exec_lo
                                        ; implicit-def: $vgpr22
.LBB29_62:                              ;   in Loop: Header=BB29_52 Depth=3
	s_and_not1_saveexec_b32 s41, s41
	s_cbranch_execz .LBB29_51
; %bb.63:                               ;   in Loop: Header=BB29_52 Depth=3
	v_mul_lo_u32 v23, v24, 28
	s_mov_b32 s43, 0
	s_delay_alu instid0(VALU_DEP_1)
	v_add_nc_u32_e32 v25, v22, v23
	ds_load_b64 v[22:23], v25 offset:528
.LBB29_64:                              ;   Parent Loop BB29_15 Depth=1
                                        ;     Parent Loop BB29_18 Depth=2
                                        ;       Parent Loop BB29_52 Depth=3
                                        ; =>      This Inner Loop Header: Depth=4
	s_waitcnt lgkmcnt(0)
	v_add_f64 v[26:27], v[22:23], v[20:21]
	ds_cmpstore_rtn_b64 v[26:27], v25, v[26:27], v[22:23] offset:528
	s_waitcnt lgkmcnt(0)
	v_cmp_eq_u64_e32 vcc_lo, v[26:27], v[22:23]
	v_dual_mov_b32 v22, v26 :: v_dual_mov_b32 v23, v27
	s_or_b32 s43, vcc_lo, s43
	s_delay_alu instid0(SALU_CYCLE_1)
	s_and_not1_b32 exec_lo, exec_lo, s43
	s_cbranch_execnz .LBB29_64
; %bb.65:                               ;   in Loop: Header=BB29_52 Depth=3
	s_or_b32 exec_lo, exec_lo, s43
	s_delay_alu instid0(SALU_CYCLE_1)
	s_and_not1_b32 s42, s42, exec_lo
	s_branch .LBB29_51
.LBB29_66:                              ;   in Loop: Header=BB29_18 Depth=2
	s_or_b32 exec_lo, exec_lo, s40
	v_mul_f64 v[18:19], v[8:9], v[18:19]
	s_mov_b32 s40, 0
	s_delay_alu instid0(VALU_DEP_1)
	v_fma_f64 v[16:17], v[10:11], v[16:17], v[18:19]
	s_branch .LBB29_68
.LBB29_67:                              ;   in Loop: Header=BB29_68 Depth=3
	s_or_b32 exec_lo, exec_lo, s41
	s_xor_b32 s41, s42, -1
	s_delay_alu instid0(SALU_CYCLE_1) | instskip(NEXT) | instid1(SALU_CYCLE_1)
	s_and_b32 s41, exec_lo, s41
	s_or_b32 s40, s41, s40
	s_delay_alu instid0(SALU_CYCLE_1)
	s_and_not1_b32 exec_lo, exec_lo, s40
	s_cbranch_execz .LBB29_17
.LBB29_68:                              ;   Parent Loop BB29_15 Depth=1
                                        ;     Parent Loop BB29_18 Depth=2
                                        ; =>    This Loop Header: Depth=3
                                        ;         Child Loop BB29_74 Depth 4
                                        ;         Child Loop BB29_80 Depth 4
	v_lshl_add_u32 v18, v31, 2, 0
	s_mov_b32 s41, exec_lo
                                        ; implicit-def: $sgpr42
	ds_load_b32 v19, v18
	s_waitcnt lgkmcnt(0)
	v_cmpx_ne_u32_e64 v19, v7
	s_xor_b32 s41, exec_lo, s41
	s_cbranch_execz .LBB29_78
; %bb.69:                               ;   in Loop: Header=BB29_68 Depth=3
	s_mov_b32 s43, exec_lo
                                        ; implicit-def: $sgpr42
	v_cmpx_ne_u32_e64 s3, v19
	s_xor_b32 s43, exec_lo, s43
; %bb.70:                               ;   in Loop: Header=BB29_68 Depth=3
	v_add_nc_u32_e32 v18, 1, v31
	s_mov_b32 s42, -1
	s_delay_alu instid0(VALU_DEP_1)
	v_and_b32_e32 v31, 0x7f, v18
                                        ; implicit-def: $vgpr18
; %bb.71:                               ;   in Loop: Header=BB29_68 Depth=3
	s_and_not1_saveexec_b32 s43, s43
	s_cbranch_execz .LBB29_77
; %bb.72:                               ;   in Loop: Header=BB29_68 Depth=3
	v_mov_b32_e32 v19, s3
	s_mov_b32 s45, -1
	s_mov_b32 s44, exec_lo
	ds_cmpstore_rtn_b32 v19, v18, v7, v19
	s_waitcnt lgkmcnt(0)
	v_cmpx_eq_u32_e64 s3, v19
	s_cbranch_execz .LBB29_76
; %bb.73:                               ;   in Loop: Header=BB29_68 Depth=3
	v_mul_lo_u32 v19, v31, 28
	s_mov_b32 s45, 0
	s_delay_alu instid0(VALU_DEP_1)
	v_add_nc_u32_e32 v20, v18, v19
	ds_load_b64 v[18:19], v20 offset:536
.LBB29_74:                              ;   Parent Loop BB29_15 Depth=1
                                        ;     Parent Loop BB29_18 Depth=2
                                        ;       Parent Loop BB29_68 Depth=3
                                        ; =>      This Inner Loop Header: Depth=4
	s_waitcnt lgkmcnt(0)
	v_add_f64 v[21:22], v[18:19], v[16:17]
	ds_cmpstore_rtn_b64 v[21:22], v20, v[21:22], v[18:19] offset:536
	s_waitcnt lgkmcnt(0)
	v_cmp_eq_u64_e32 vcc_lo, v[21:22], v[18:19]
	v_dual_mov_b32 v18, v21 :: v_dual_mov_b32 v19, v22
	s_or_b32 s45, vcc_lo, s45
	s_delay_alu instid0(SALU_CYCLE_1)
	s_and_not1_b32 exec_lo, exec_lo, s45
	s_cbranch_execnz .LBB29_74
; %bb.75:                               ;   in Loop: Header=BB29_68 Depth=3
	s_or_b32 exec_lo, exec_lo, s45
	s_delay_alu instid0(SALU_CYCLE_1)
	s_xor_b32 s45, exec_lo, -1
.LBB29_76:                              ;   in Loop: Header=BB29_68 Depth=3
	s_or_b32 exec_lo, exec_lo, s44
	s_delay_alu instid0(SALU_CYCLE_1) | instskip(SKIP_1) | instid1(SALU_CYCLE_1)
	s_and_not1_b32 s42, s42, exec_lo
	s_and_b32 s44, s45, exec_lo
	s_or_b32 s42, s42, s44
.LBB29_77:                              ;   in Loop: Header=BB29_68 Depth=3
	s_or_b32 exec_lo, exec_lo, s43
	s_delay_alu instid0(SALU_CYCLE_1)
	s_and_b32 s42, s42, exec_lo
                                        ; implicit-def: $vgpr18
.LBB29_78:                              ;   in Loop: Header=BB29_68 Depth=3
	s_and_not1_saveexec_b32 s41, s41
	s_cbranch_execz .LBB29_67
; %bb.79:                               ;   in Loop: Header=BB29_68 Depth=3
	v_mul_lo_u32 v19, v31, 28
	s_mov_b32 s43, 0
	s_delay_alu instid0(VALU_DEP_1)
	v_add_nc_u32_e32 v20, v18, v19
	ds_load_b64 v[18:19], v20 offset:536
.LBB29_80:                              ;   Parent Loop BB29_15 Depth=1
                                        ;     Parent Loop BB29_18 Depth=2
                                        ;       Parent Loop BB29_68 Depth=3
                                        ; =>      This Inner Loop Header: Depth=4
	s_waitcnt lgkmcnt(0)
	v_add_f64 v[21:22], v[18:19], v[16:17]
	ds_cmpstore_rtn_b64 v[21:22], v20, v[21:22], v[18:19] offset:536
	s_waitcnt lgkmcnt(0)
	v_cmp_eq_u64_e32 vcc_lo, v[21:22], v[18:19]
	v_dual_mov_b32 v18, v21 :: v_dual_mov_b32 v19, v22
	s_or_b32 s43, vcc_lo, s43
	s_delay_alu instid0(SALU_CYCLE_1)
	s_and_not1_b32 exec_lo, exec_lo, s43
	s_cbranch_execnz .LBB29_80
; %bb.81:                               ;   in Loop: Header=BB29_68 Depth=3
	s_or_b32 exec_lo, exec_lo, s43
	s_delay_alu instid0(SALU_CYCLE_1)
	s_and_not1_b32 s42, s42, exec_lo
	s_branch .LBB29_67
.LBB29_82:
	s_or_b32 exec_lo, exec_lo, s12
.LBB29_83:
	s_delay_alu instid0(SALU_CYCLE_1)
	s_and_not1_b32 vcc_lo, exec_lo, s33
	s_barrier
	buffer_gl0_inv
	s_cbranch_vccnz .LBB29_152
; %bb.84:
	s_lshl_b64 s[12:13], s[34:35], 2
	v_subrev_nc_u32_e32 v3, s23, v0
	s_add_u32 s4, s4, s12
	s_addc_u32 s5, s5, s13
	s_load_b64 s[4:5], s[4:5], 0x0
	s_waitcnt lgkmcnt(0)
	v_add_nc_u32_e32 v3, s4, v3
	s_sub_i32 s1, s5, s23
	s_mov_b32 s4, exec_lo
	s_delay_alu instid0(VALU_DEP_1)
	v_cmpx_gt_i32_e64 s1, v3
	s_cbranch_execz .LBB29_151
; %bb.85:
	s_cmp_eq_u32 s0, 0
	s_mov_b32 s5, 0
	s_cselect_b32 s12, 1, 2
	s_cselect_b32 s13, 2, 1
	s_branch .LBB29_87
.LBB29_86:                              ;   in Loop: Header=BB29_87 Depth=1
	s_or_b32 exec_lo, exec_lo, s14
	v_add_nc_u32_e32 v3, 0x100, v3
	s_delay_alu instid0(VALU_DEP_1) | instskip(SKIP_1) | instid1(SALU_CYCLE_1)
	v_cmp_le_i32_e32 vcc_lo, s1, v3
	s_or_b32 s5, vcc_lo, s5
	s_and_not1_b32 exec_lo, exec_lo, s5
	s_cbranch_execz .LBB29_151
.LBB29_87:                              ; =>This Loop Header: Depth=1
                                        ;     Child Loop BB29_89 Depth 2
                                        ;       Child Loop BB29_95 Depth 3
                                        ;       Child Loop BB29_101 Depth 3
                                        ;     Child Loop BB29_105 Depth 2
                                        ;       Child Loop BB29_111 Depth 3
                                        ;       Child Loop BB29_117 Depth 3
	;; [unrolled: 3-line block ×4, first 2 shown]
	v_lshlrev_b32_e32 v5, 2, v3
	v_ashrrev_i32_e32 v4, 31, v3
	s_mov_b32 s14, 0
	s_delay_alu instid0(VALU_DEP_2) | instskip(SKIP_1) | instid1(VALU_DEP_2)
	v_ashrrev_i32_e32 v6, 31, v5
	v_or_b32_e32 v8, s12, v5
	v_lshlrev_b64 v[6:7], 3, v[5:6]
	s_delay_alu instid0(VALU_DEP_2) | instskip(NEXT) | instid1(VALU_DEP_2)
	v_ashrrev_i32_e32 v9, 31, v8
	v_add_co_u32 v10, vcc_lo, s8, v6
	s_delay_alu instid0(VALU_DEP_3)
	v_add_co_ci_u32_e32 v11, vcc_lo, s9, v7, vcc_lo
	v_lshlrev_b64 v[6:7], 2, v[3:4]
	v_or_b32_e32 v4, s13, v5
	global_load_b64 v[12:13], v[10:11], off
	v_add_co_u32 v6, vcc_lo, s6, v6
	v_add_co_ci_u32_e32 v7, vcc_lo, s7, v7, vcc_lo
	v_ashrrev_i32_e32 v5, 31, v4
	global_load_b32 v14, v[6:7], off
	v_lshlrev_b64 v[6:7], 3, v[8:9]
	v_lshlrev_b64 v[4:5], 3, v[4:5]
	s_delay_alu instid0(VALU_DEP_1) | instskip(NEXT) | instid1(VALU_DEP_2)
	v_add_co_u32 v4, vcc_lo, s8, v4
	v_add_co_ci_u32_e32 v5, vcc_lo, s9, v5, vcc_lo
	s_delay_alu instid0(VALU_DEP_4)
	v_add_co_u32 v8, vcc_lo, s8, v6
	v_add_co_ci_u32_e32 v9, vcc_lo, s9, v7, vcc_lo
	s_clause 0x2
	global_load_b64 v[6:7], v[4:5], off
	global_load_b64 v[8:9], v[8:9], off
	global_load_b64 v[4:5], v[10:11], off offset:24
	s_waitcnt vmcnt(4)
	v_mul_f64 v[10:11], v[1:2], v[12:13]
	s_waitcnt vmcnt(3)
	v_subrev_nc_u32_e32 v14, s23, v14
	s_delay_alu instid0(VALU_DEP_1) | instskip(NEXT) | instid1(VALU_DEP_1)
	v_lshl_add_u32 v12, v14, 3, v14
	v_and_b32_e32 v15, 0x7f, v12
	s_delay_alu instid0(VALU_DEP_1)
	v_mov_b32_e32 v16, v15
	s_branch .LBB29_89
.LBB29_88:                              ;   in Loop: Header=BB29_89 Depth=2
	s_or_b32 exec_lo, exec_lo, s15
	s_xor_b32 s15, s16, -1
	s_delay_alu instid0(SALU_CYCLE_1) | instskip(NEXT) | instid1(SALU_CYCLE_1)
	s_and_b32 s15, exec_lo, s15
	s_or_b32 s14, s15, s14
	s_delay_alu instid0(SALU_CYCLE_1)
	s_and_not1_b32 exec_lo, exec_lo, s14
	s_cbranch_execz .LBB29_103
.LBB29_89:                              ;   Parent Loop BB29_87 Depth=1
                                        ; =>  This Loop Header: Depth=2
                                        ;       Child Loop BB29_95 Depth 3
                                        ;       Child Loop BB29_101 Depth 3
	s_delay_alu instid0(VALU_DEP_1)
	v_lshl_add_u32 v12, v16, 2, 0
	s_mov_b32 s15, exec_lo
                                        ; implicit-def: $sgpr16
	ds_load_b32 v13, v12
	s_waitcnt lgkmcnt(0)
	v_cmpx_ne_u32_e64 v13, v14
	s_xor_b32 s15, exec_lo, s15
	s_cbranch_execz .LBB29_99
; %bb.90:                               ;   in Loop: Header=BB29_89 Depth=2
	s_mov_b32 s17, exec_lo
                                        ; implicit-def: $sgpr16
	v_cmpx_ne_u32_e64 s3, v13
	s_xor_b32 s17, exec_lo, s17
; %bb.91:                               ;   in Loop: Header=BB29_89 Depth=2
	v_add_nc_u32_e32 v12, 1, v16
	s_mov_b32 s16, -1
	s_delay_alu instid0(VALU_DEP_1)
	v_and_b32_e32 v16, 0x7f, v12
                                        ; implicit-def: $vgpr12
; %bb.92:                               ;   in Loop: Header=BB29_89 Depth=2
	s_and_not1_saveexec_b32 s17, s17
	s_cbranch_execz .LBB29_98
; %bb.93:                               ;   in Loop: Header=BB29_89 Depth=2
	v_mov_b32_e32 v13, s3
	s_mov_b32 s19, -1
	s_mov_b32 s18, exec_lo
	ds_cmpstore_rtn_b32 v13, v12, v14, v13
	s_waitcnt lgkmcnt(0)
	v_cmpx_eq_u32_e64 s3, v13
	s_cbranch_execz .LBB29_97
; %bb.94:                               ;   in Loop: Header=BB29_89 Depth=2
	v_mul_lo_u32 v13, v16, 28
	s_mov_b32 s19, 0
	s_delay_alu instid0(VALU_DEP_1)
	v_add_nc_u32_e32 v17, v12, v13
	ds_load_b64 v[12:13], v17 offset:512
.LBB29_95:                              ;   Parent Loop BB29_87 Depth=1
                                        ;     Parent Loop BB29_89 Depth=2
                                        ; =>    This Inner Loop Header: Depth=3
	s_waitcnt lgkmcnt(0)
	v_add_f64 v[18:19], v[12:13], v[10:11]
	ds_cmpstore_rtn_b64 v[18:19], v17, v[18:19], v[12:13] offset:512
	s_waitcnt lgkmcnt(0)
	v_cmp_eq_u64_e32 vcc_lo, v[18:19], v[12:13]
	v_dual_mov_b32 v12, v18 :: v_dual_mov_b32 v13, v19
	s_or_b32 s19, vcc_lo, s19
	s_delay_alu instid0(SALU_CYCLE_1)
	s_and_not1_b32 exec_lo, exec_lo, s19
	s_cbranch_execnz .LBB29_95
; %bb.96:                               ;   in Loop: Header=BB29_89 Depth=2
	s_or_b32 exec_lo, exec_lo, s19
	s_delay_alu instid0(SALU_CYCLE_1)
	s_xor_b32 s19, exec_lo, -1
.LBB29_97:                              ;   in Loop: Header=BB29_89 Depth=2
	s_or_b32 exec_lo, exec_lo, s18
	s_delay_alu instid0(SALU_CYCLE_1) | instskip(SKIP_1) | instid1(SALU_CYCLE_1)
	s_and_not1_b32 s16, s16, exec_lo
	s_and_b32 s18, s19, exec_lo
	s_or_b32 s16, s16, s18
.LBB29_98:                              ;   in Loop: Header=BB29_89 Depth=2
	s_or_b32 exec_lo, exec_lo, s17
	s_delay_alu instid0(SALU_CYCLE_1)
	s_and_b32 s16, s16, exec_lo
                                        ; implicit-def: $vgpr12
.LBB29_99:                              ;   in Loop: Header=BB29_89 Depth=2
	s_and_not1_saveexec_b32 s15, s15
	s_cbranch_execz .LBB29_88
; %bb.100:                              ;   in Loop: Header=BB29_89 Depth=2
	v_mul_lo_u32 v13, v16, 28
	s_mov_b32 s17, 0
	s_delay_alu instid0(VALU_DEP_1)
	v_add_nc_u32_e32 v17, v12, v13
	ds_load_b64 v[12:13], v17 offset:512
.LBB29_101:                             ;   Parent Loop BB29_87 Depth=1
                                        ;     Parent Loop BB29_89 Depth=2
                                        ; =>    This Inner Loop Header: Depth=3
	s_waitcnt lgkmcnt(0)
	v_add_f64 v[18:19], v[12:13], v[10:11]
	ds_cmpstore_rtn_b64 v[18:19], v17, v[18:19], v[12:13] offset:512
	s_waitcnt lgkmcnt(0)
	v_cmp_eq_u64_e32 vcc_lo, v[18:19], v[12:13]
	v_dual_mov_b32 v12, v18 :: v_dual_mov_b32 v13, v19
	s_or_b32 s17, vcc_lo, s17
	s_delay_alu instid0(SALU_CYCLE_1)
	s_and_not1_b32 exec_lo, exec_lo, s17
	s_cbranch_execnz .LBB29_101
; %bb.102:                              ;   in Loop: Header=BB29_89 Depth=2
	s_or_b32 exec_lo, exec_lo, s17
	s_delay_alu instid0(SALU_CYCLE_1)
	s_and_not1_b32 s16, s16, exec_lo
	s_branch .LBB29_88
.LBB29_103:                             ;   in Loop: Header=BB29_87 Depth=1
	s_or_b32 exec_lo, exec_lo, s14
	s_waitcnt vmcnt(1)
	v_mul_f64 v[8:9], v[1:2], v[8:9]
	v_mov_b32_e32 v12, v15
	s_mov_b32 s14, 0
	s_branch .LBB29_105
.LBB29_104:                             ;   in Loop: Header=BB29_105 Depth=2
	s_or_b32 exec_lo, exec_lo, s15
	s_xor_b32 s15, s16, -1
	s_delay_alu instid0(SALU_CYCLE_1) | instskip(NEXT) | instid1(SALU_CYCLE_1)
	s_and_b32 s15, exec_lo, s15
	s_or_b32 s14, s15, s14
	s_delay_alu instid0(SALU_CYCLE_1)
	s_and_not1_b32 exec_lo, exec_lo, s14
	s_cbranch_execz .LBB29_119
.LBB29_105:                             ;   Parent Loop BB29_87 Depth=1
                                        ; =>  This Loop Header: Depth=2
                                        ;       Child Loop BB29_111 Depth 3
                                        ;       Child Loop BB29_117 Depth 3
	s_delay_alu instid0(VALU_DEP_1)
	v_lshl_add_u32 v10, v12, 2, 0
	s_mov_b32 s15, exec_lo
                                        ; implicit-def: $sgpr16
	ds_load_b32 v11, v10
	s_waitcnt lgkmcnt(0)
	v_cmpx_ne_u32_e64 v11, v14
	s_xor_b32 s15, exec_lo, s15
	s_cbranch_execz .LBB29_115
; %bb.106:                              ;   in Loop: Header=BB29_105 Depth=2
	s_mov_b32 s17, exec_lo
                                        ; implicit-def: $sgpr16
	v_cmpx_ne_u32_e64 s3, v11
	s_xor_b32 s17, exec_lo, s17
; %bb.107:                              ;   in Loop: Header=BB29_105 Depth=2
	v_add_nc_u32_e32 v10, 1, v12
	s_mov_b32 s16, -1
	s_delay_alu instid0(VALU_DEP_1)
	v_and_b32_e32 v12, 0x7f, v10
                                        ; implicit-def: $vgpr10
; %bb.108:                              ;   in Loop: Header=BB29_105 Depth=2
	s_and_not1_saveexec_b32 s17, s17
	s_cbranch_execz .LBB29_114
; %bb.109:                              ;   in Loop: Header=BB29_105 Depth=2
	v_mov_b32_e32 v11, s3
	s_mov_b32 s19, -1
	s_mov_b32 s18, exec_lo
	ds_cmpstore_rtn_b32 v11, v10, v14, v11
	s_waitcnt lgkmcnt(0)
	v_cmpx_eq_u32_e64 s3, v11
	s_cbranch_execz .LBB29_113
; %bb.110:                              ;   in Loop: Header=BB29_105 Depth=2
	v_mul_lo_u32 v11, v12, 28
	s_mov_b32 s19, 0
	s_delay_alu instid0(VALU_DEP_1)
	v_add_nc_u32_e32 v13, v10, v11
	ds_load_b64 v[10:11], v13 offset:520
.LBB29_111:                             ;   Parent Loop BB29_87 Depth=1
                                        ;     Parent Loop BB29_105 Depth=2
                                        ; =>    This Inner Loop Header: Depth=3
	s_waitcnt lgkmcnt(0)
	v_add_f64 v[16:17], v[10:11], v[8:9]
	ds_cmpstore_rtn_b64 v[16:17], v13, v[16:17], v[10:11] offset:520
	s_waitcnt lgkmcnt(0)
	v_cmp_eq_u64_e32 vcc_lo, v[16:17], v[10:11]
	v_dual_mov_b32 v10, v16 :: v_dual_mov_b32 v11, v17
	s_or_b32 s19, vcc_lo, s19
	s_delay_alu instid0(SALU_CYCLE_1)
	s_and_not1_b32 exec_lo, exec_lo, s19
	s_cbranch_execnz .LBB29_111
; %bb.112:                              ;   in Loop: Header=BB29_105 Depth=2
	s_or_b32 exec_lo, exec_lo, s19
	s_delay_alu instid0(SALU_CYCLE_1)
	s_xor_b32 s19, exec_lo, -1
.LBB29_113:                             ;   in Loop: Header=BB29_105 Depth=2
	s_or_b32 exec_lo, exec_lo, s18
	s_delay_alu instid0(SALU_CYCLE_1) | instskip(SKIP_1) | instid1(SALU_CYCLE_1)
	s_and_not1_b32 s16, s16, exec_lo
	s_and_b32 s18, s19, exec_lo
	s_or_b32 s16, s16, s18
.LBB29_114:                             ;   in Loop: Header=BB29_105 Depth=2
	s_or_b32 exec_lo, exec_lo, s17
	s_delay_alu instid0(SALU_CYCLE_1)
	s_and_b32 s16, s16, exec_lo
                                        ; implicit-def: $vgpr10
.LBB29_115:                             ;   in Loop: Header=BB29_105 Depth=2
	s_and_not1_saveexec_b32 s15, s15
	s_cbranch_execz .LBB29_104
; %bb.116:                              ;   in Loop: Header=BB29_105 Depth=2
	v_mul_lo_u32 v11, v12, 28
	s_mov_b32 s17, 0
	s_delay_alu instid0(VALU_DEP_1)
	v_add_nc_u32_e32 v13, v10, v11
	ds_load_b64 v[10:11], v13 offset:520
.LBB29_117:                             ;   Parent Loop BB29_87 Depth=1
                                        ;     Parent Loop BB29_105 Depth=2
                                        ; =>    This Inner Loop Header: Depth=3
	s_waitcnt lgkmcnt(0)
	v_add_f64 v[16:17], v[10:11], v[8:9]
	ds_cmpstore_rtn_b64 v[16:17], v13, v[16:17], v[10:11] offset:520
	s_waitcnt lgkmcnt(0)
	v_cmp_eq_u64_e32 vcc_lo, v[16:17], v[10:11]
	v_dual_mov_b32 v10, v16 :: v_dual_mov_b32 v11, v17
	s_or_b32 s17, vcc_lo, s17
	s_delay_alu instid0(SALU_CYCLE_1)
	s_and_not1_b32 exec_lo, exec_lo, s17
	s_cbranch_execnz .LBB29_117
; %bb.118:                              ;   in Loop: Header=BB29_105 Depth=2
	s_or_b32 exec_lo, exec_lo, s17
	s_delay_alu instid0(SALU_CYCLE_1)
	s_and_not1_b32 s16, s16, exec_lo
	s_branch .LBB29_104
.LBB29_119:                             ;   in Loop: Header=BB29_87 Depth=1
	s_or_b32 exec_lo, exec_lo, s14
	v_mul_f64 v[6:7], v[1:2], v[6:7]
	v_mov_b32_e32 v10, v15
	s_mov_b32 s14, 0
	s_branch .LBB29_121
.LBB29_120:                             ;   in Loop: Header=BB29_121 Depth=2
	s_or_b32 exec_lo, exec_lo, s15
	s_xor_b32 s15, s16, -1
	s_delay_alu instid0(SALU_CYCLE_1) | instskip(NEXT) | instid1(SALU_CYCLE_1)
	s_and_b32 s15, exec_lo, s15
	s_or_b32 s14, s15, s14
	s_delay_alu instid0(SALU_CYCLE_1)
	s_and_not1_b32 exec_lo, exec_lo, s14
	s_cbranch_execz .LBB29_135
.LBB29_121:                             ;   Parent Loop BB29_87 Depth=1
                                        ; =>  This Loop Header: Depth=2
                                        ;       Child Loop BB29_127 Depth 3
                                        ;       Child Loop BB29_133 Depth 3
	s_delay_alu instid0(VALU_DEP_1)
	v_lshl_add_u32 v8, v10, 2, 0
	s_mov_b32 s15, exec_lo
                                        ; implicit-def: $sgpr16
	ds_load_b32 v9, v8
	s_waitcnt lgkmcnt(0)
	v_cmpx_ne_u32_e64 v9, v14
	s_xor_b32 s15, exec_lo, s15
	s_cbranch_execz .LBB29_131
; %bb.122:                              ;   in Loop: Header=BB29_121 Depth=2
	s_mov_b32 s17, exec_lo
                                        ; implicit-def: $sgpr16
	v_cmpx_ne_u32_e64 s3, v9
	s_xor_b32 s17, exec_lo, s17
; %bb.123:                              ;   in Loop: Header=BB29_121 Depth=2
	v_add_nc_u32_e32 v8, 1, v10
	s_mov_b32 s16, -1
	s_delay_alu instid0(VALU_DEP_1)
	v_and_b32_e32 v10, 0x7f, v8
                                        ; implicit-def: $vgpr8
; %bb.124:                              ;   in Loop: Header=BB29_121 Depth=2
	s_and_not1_saveexec_b32 s17, s17
	s_cbranch_execz .LBB29_130
; %bb.125:                              ;   in Loop: Header=BB29_121 Depth=2
	v_mov_b32_e32 v9, s3
	s_mov_b32 s19, -1
	s_mov_b32 s18, exec_lo
	ds_cmpstore_rtn_b32 v9, v8, v14, v9
	s_waitcnt lgkmcnt(0)
	v_cmpx_eq_u32_e64 s3, v9
	s_cbranch_execz .LBB29_129
; %bb.126:                              ;   in Loop: Header=BB29_121 Depth=2
	v_mul_lo_u32 v9, v10, 28
	s_mov_b32 s19, 0
	s_delay_alu instid0(VALU_DEP_1)
	v_add_nc_u32_e32 v11, v8, v9
	ds_load_b64 v[8:9], v11 offset:528
.LBB29_127:                             ;   Parent Loop BB29_87 Depth=1
                                        ;     Parent Loop BB29_121 Depth=2
                                        ; =>    This Inner Loop Header: Depth=3
	s_waitcnt lgkmcnt(0)
	v_add_f64 v[12:13], v[8:9], v[6:7]
	ds_cmpstore_rtn_b64 v[12:13], v11, v[12:13], v[8:9] offset:528
	s_waitcnt lgkmcnt(0)
	v_cmp_eq_u64_e32 vcc_lo, v[12:13], v[8:9]
	v_dual_mov_b32 v8, v12 :: v_dual_mov_b32 v9, v13
	s_or_b32 s19, vcc_lo, s19
	s_delay_alu instid0(SALU_CYCLE_1)
	s_and_not1_b32 exec_lo, exec_lo, s19
	s_cbranch_execnz .LBB29_127
; %bb.128:                              ;   in Loop: Header=BB29_121 Depth=2
	s_or_b32 exec_lo, exec_lo, s19
	s_delay_alu instid0(SALU_CYCLE_1)
	s_xor_b32 s19, exec_lo, -1
.LBB29_129:                             ;   in Loop: Header=BB29_121 Depth=2
	s_or_b32 exec_lo, exec_lo, s18
	s_delay_alu instid0(SALU_CYCLE_1) | instskip(SKIP_1) | instid1(SALU_CYCLE_1)
	s_and_not1_b32 s16, s16, exec_lo
	s_and_b32 s18, s19, exec_lo
	s_or_b32 s16, s16, s18
.LBB29_130:                             ;   in Loop: Header=BB29_121 Depth=2
	s_or_b32 exec_lo, exec_lo, s17
	s_delay_alu instid0(SALU_CYCLE_1)
	s_and_b32 s16, s16, exec_lo
                                        ; implicit-def: $vgpr8
.LBB29_131:                             ;   in Loop: Header=BB29_121 Depth=2
	s_and_not1_saveexec_b32 s15, s15
	s_cbranch_execz .LBB29_120
; %bb.132:                              ;   in Loop: Header=BB29_121 Depth=2
	v_mul_lo_u32 v9, v10, 28
	s_mov_b32 s17, 0
	s_delay_alu instid0(VALU_DEP_1)
	v_add_nc_u32_e32 v11, v8, v9
	ds_load_b64 v[8:9], v11 offset:528
.LBB29_133:                             ;   Parent Loop BB29_87 Depth=1
                                        ;     Parent Loop BB29_121 Depth=2
                                        ; =>    This Inner Loop Header: Depth=3
	s_waitcnt lgkmcnt(0)
	v_add_f64 v[12:13], v[8:9], v[6:7]
	ds_cmpstore_rtn_b64 v[12:13], v11, v[12:13], v[8:9] offset:528
	s_waitcnt lgkmcnt(0)
	v_cmp_eq_u64_e32 vcc_lo, v[12:13], v[8:9]
	v_dual_mov_b32 v8, v12 :: v_dual_mov_b32 v9, v13
	s_or_b32 s17, vcc_lo, s17
	s_delay_alu instid0(SALU_CYCLE_1)
	s_and_not1_b32 exec_lo, exec_lo, s17
	s_cbranch_execnz .LBB29_133
; %bb.134:                              ;   in Loop: Header=BB29_121 Depth=2
	s_or_b32 exec_lo, exec_lo, s17
	s_delay_alu instid0(SALU_CYCLE_1)
	s_and_not1_b32 s16, s16, exec_lo
	s_branch .LBB29_120
.LBB29_135:                             ;   in Loop: Header=BB29_87 Depth=1
	s_or_b32 exec_lo, exec_lo, s14
	s_waitcnt vmcnt(0)
	v_mul_f64 v[4:5], v[1:2], v[4:5]
	s_mov_b32 s14, 0
	s_branch .LBB29_137
.LBB29_136:                             ;   in Loop: Header=BB29_137 Depth=2
	s_or_b32 exec_lo, exec_lo, s15
	s_xor_b32 s15, s16, -1
	s_delay_alu instid0(SALU_CYCLE_1) | instskip(NEXT) | instid1(SALU_CYCLE_1)
	s_and_b32 s15, exec_lo, s15
	s_or_b32 s14, s15, s14
	s_delay_alu instid0(SALU_CYCLE_1)
	s_and_not1_b32 exec_lo, exec_lo, s14
	s_cbranch_execz .LBB29_86
.LBB29_137:                             ;   Parent Loop BB29_87 Depth=1
                                        ; =>  This Loop Header: Depth=2
                                        ;       Child Loop BB29_143 Depth 3
                                        ;       Child Loop BB29_149 Depth 3
	v_lshl_add_u32 v6, v15, 2, 0
	s_mov_b32 s15, exec_lo
                                        ; implicit-def: $sgpr16
	ds_load_b32 v7, v6
	s_waitcnt lgkmcnt(0)
	v_cmpx_ne_u32_e64 v7, v14
	s_xor_b32 s15, exec_lo, s15
	s_cbranch_execz .LBB29_147
; %bb.138:                              ;   in Loop: Header=BB29_137 Depth=2
	s_mov_b32 s17, exec_lo
                                        ; implicit-def: $sgpr16
	v_cmpx_ne_u32_e64 s3, v7
	s_xor_b32 s17, exec_lo, s17
; %bb.139:                              ;   in Loop: Header=BB29_137 Depth=2
	v_add_nc_u32_e32 v6, 1, v15
	s_mov_b32 s16, -1
	s_delay_alu instid0(VALU_DEP_1)
	v_and_b32_e32 v15, 0x7f, v6
                                        ; implicit-def: $vgpr6
; %bb.140:                              ;   in Loop: Header=BB29_137 Depth=2
	s_and_not1_saveexec_b32 s17, s17
	s_cbranch_execz .LBB29_146
; %bb.141:                              ;   in Loop: Header=BB29_137 Depth=2
	v_mov_b32_e32 v7, s3
	s_mov_b32 s19, -1
	s_mov_b32 s18, exec_lo
	ds_cmpstore_rtn_b32 v7, v6, v14, v7
	s_waitcnt lgkmcnt(0)
	v_cmpx_eq_u32_e64 s3, v7
	s_cbranch_execz .LBB29_145
; %bb.142:                              ;   in Loop: Header=BB29_137 Depth=2
	v_mul_lo_u32 v7, v15, 28
	s_mov_b32 s19, 0
	s_delay_alu instid0(VALU_DEP_1)
	v_add_nc_u32_e32 v8, v6, v7
	ds_load_b64 v[6:7], v8 offset:536
.LBB29_143:                             ;   Parent Loop BB29_87 Depth=1
                                        ;     Parent Loop BB29_137 Depth=2
                                        ; =>    This Inner Loop Header: Depth=3
	s_waitcnt lgkmcnt(0)
	v_add_f64 v[9:10], v[6:7], v[4:5]
	ds_cmpstore_rtn_b64 v[9:10], v8, v[9:10], v[6:7] offset:536
	s_waitcnt lgkmcnt(0)
	v_cmp_eq_u64_e32 vcc_lo, v[9:10], v[6:7]
	v_dual_mov_b32 v6, v9 :: v_dual_mov_b32 v7, v10
	s_or_b32 s19, vcc_lo, s19
	s_delay_alu instid0(SALU_CYCLE_1)
	s_and_not1_b32 exec_lo, exec_lo, s19
	s_cbranch_execnz .LBB29_143
; %bb.144:                              ;   in Loop: Header=BB29_137 Depth=2
	s_or_b32 exec_lo, exec_lo, s19
	s_delay_alu instid0(SALU_CYCLE_1)
	s_xor_b32 s19, exec_lo, -1
.LBB29_145:                             ;   in Loop: Header=BB29_137 Depth=2
	s_or_b32 exec_lo, exec_lo, s18
	s_delay_alu instid0(SALU_CYCLE_1) | instskip(SKIP_1) | instid1(SALU_CYCLE_1)
	s_and_not1_b32 s16, s16, exec_lo
	s_and_b32 s18, s19, exec_lo
	s_or_b32 s16, s16, s18
.LBB29_146:                             ;   in Loop: Header=BB29_137 Depth=2
	s_or_b32 exec_lo, exec_lo, s17
	s_delay_alu instid0(SALU_CYCLE_1)
	s_and_b32 s16, s16, exec_lo
                                        ; implicit-def: $vgpr6
.LBB29_147:                             ;   in Loop: Header=BB29_137 Depth=2
	s_and_not1_saveexec_b32 s15, s15
	s_cbranch_execz .LBB29_136
; %bb.148:                              ;   in Loop: Header=BB29_137 Depth=2
	v_mul_lo_u32 v7, v15, 28
	s_mov_b32 s17, 0
	s_delay_alu instid0(VALU_DEP_1)
	v_add_nc_u32_e32 v8, v6, v7
	ds_load_b64 v[6:7], v8 offset:536
.LBB29_149:                             ;   Parent Loop BB29_87 Depth=1
                                        ;     Parent Loop BB29_137 Depth=2
                                        ; =>    This Inner Loop Header: Depth=3
	s_waitcnt lgkmcnt(0)
	v_add_f64 v[9:10], v[6:7], v[4:5]
	ds_cmpstore_rtn_b64 v[9:10], v8, v[9:10], v[6:7] offset:536
	s_waitcnt lgkmcnt(0)
	v_cmp_eq_u64_e32 vcc_lo, v[9:10], v[6:7]
	v_dual_mov_b32 v6, v9 :: v_dual_mov_b32 v7, v10
	s_or_b32 s17, vcc_lo, s17
	s_delay_alu instid0(SALU_CYCLE_1)
	s_and_not1_b32 exec_lo, exec_lo, s17
	s_cbranch_execnz .LBB29_149
; %bb.150:                              ;   in Loop: Header=BB29_137 Depth=2
	s_or_b32 exec_lo, exec_lo, s17
	s_delay_alu instid0(SALU_CYCLE_1)
	s_and_not1_b32 s16, s16, exec_lo
	s_branch .LBB29_136
.LBB29_151:
	s_or_b32 exec_lo, exec_lo, s4
.LBB29_152:
	s_barrier
	buffer_gl0_inv
	s_and_saveexec_b32 s1, s2
	s_cbranch_execz .LBB29_155
; %bb.153:
	ds_load_b32 v1, v28
	s_waitcnt lgkmcnt(0)
	v_cmp_gt_i32_e32 vcc_lo, s3, v1
	s_and_b32 exec_lo, exec_lo, vcc_lo
	s_cbranch_execz .LBB29_155
; %bb.154:
	s_lshl_b64 s[2:3], s[34:35], 2
	v_mov_b32_e32 v2, 0
	s_add_u32 s2, s10, s2
	s_addc_u32 s3, s11, s3
	s_load_b32 s1, s[2:3], 0x0
	ds_load_2addr_b32 v[3:4], v2 offset1:1
	ds_load_2addr_b32 v[5:6], v2 offset0:2 offset1:3
	ds_load_2addr_b32 v[7:8], v2 offset0:4 offset1:5
	;; [unrolled: 1-line block ×17, first 2 shown]
	s_waitcnt lgkmcnt(0)
	v_cmp_gt_i32_e32 vcc_lo, v1, v3
	v_cndmask_b32_e64 v3, 0, 1, vcc_lo
	v_cmp_gt_i32_e32 vcc_lo, v1, v5
	v_cndmask_b32_e64 v5, 0, 1, vcc_lo
	v_cmp_gt_i32_e32 vcc_lo, v1, v4
	s_sub_i32 s1, s1, s22
	s_cmp_eq_u32 s0, 0
	v_add_co_ci_u32_e32 v3, vcc_lo, s1, v3, vcc_lo
	v_cmp_gt_i32_e32 vcc_lo, v1, v7
	s_cselect_b32 s0, 2, 1
	s_cselect_b32 s1, 1, 2
	v_cndmask_b32_e64 v4, 0, 1, vcc_lo
	v_cmp_gt_i32_e32 vcc_lo, v1, v6
	v_add_co_ci_u32_e32 v3, vcc_lo, v3, v5, vcc_lo
	v_cmp_gt_i32_e32 vcc_lo, v1, v9
	v_cndmask_b32_e64 v5, 0, 1, vcc_lo
	v_cmp_gt_i32_e32 vcc_lo, v1, v8
	s_delay_alu instid0(VALU_DEP_4) | instskip(SKIP_3) | instid1(VALU_DEP_4)
	v_add_co_ci_u32_e32 v3, vcc_lo, v3, v4, vcc_lo
	v_cmp_gt_i32_e32 vcc_lo, v1, v11
	v_cndmask_b32_e64 v4, 0, 1, vcc_lo
	v_cmp_gt_i32_e32 vcc_lo, v1, v10
	v_add_co_ci_u32_e32 v3, vcc_lo, v3, v5, vcc_lo
	v_cmp_gt_i32_e32 vcc_lo, v1, v13
	v_cndmask_b32_e64 v5, 0, 1, vcc_lo
	v_cmp_gt_i32_e32 vcc_lo, v1, v12
	s_delay_alu instid0(VALU_DEP_4)
	v_add_co_ci_u32_e32 v3, vcc_lo, v3, v4, vcc_lo
	v_cmp_gt_i32_e32 vcc_lo, v1, v15
	v_cndmask_b32_e64 v4, 0, 1, vcc_lo
	v_cmp_gt_i32_e32 vcc_lo, v1, v14
	v_add_nc_u32_e32 v14, s22, v1
	v_add_co_ci_u32_e32 v3, vcc_lo, v3, v5, vcc_lo
	v_cmp_gt_i32_e32 vcc_lo, v1, v17
	v_cndmask_b32_e64 v5, 0, 1, vcc_lo
	v_cmp_gt_i32_e32 vcc_lo, v1, v16
	s_delay_alu instid0(VALU_DEP_4) | instskip(SKIP_3) | instid1(VALU_DEP_4)
	v_add_co_ci_u32_e32 v3, vcc_lo, v3, v4, vcc_lo
	v_cmp_gt_i32_e32 vcc_lo, v1, v19
	v_cndmask_b32_e64 v4, 0, 1, vcc_lo
	v_cmp_gt_i32_e32 vcc_lo, v1, v18
	v_add_co_ci_u32_e32 v3, vcc_lo, v3, v5, vcc_lo
	v_cmp_gt_i32_e32 vcc_lo, v1, v21
	v_cndmask_b32_e64 v5, 0, 1, vcc_lo
	v_cmp_gt_i32_e32 vcc_lo, v1, v20
	s_delay_alu instid0(VALU_DEP_4) | instskip(SKIP_3) | instid1(VALU_DEP_4)
	v_add_co_ci_u32_e32 v3, vcc_lo, v3, v4, vcc_lo
	v_cmp_gt_i32_e32 vcc_lo, v1, v23
	v_cndmask_b32_e64 v4, 0, 1, vcc_lo
	v_cmp_gt_i32_e32 vcc_lo, v1, v22
	;; [unrolled: 9-line block ×4, first 2 shown]
	v_add_co_ci_u32_e32 v5, vcc_lo, v3, v5, vcc_lo
	v_cmp_gt_i32_e32 vcc_lo, v1, v32
	ds_load_2addr_b32 v[3:4], v2 offset0:36 offset1:37
	v_add_co_ci_u32_e32 v7, vcc_lo, v5, v6, vcc_lo
	ds_load_2addr_b32 v[5:6], v2 offset0:38 offset1:39
	v_cmp_gt_i32_e32 vcc_lo, v1, v33
	v_cndmask_b32_e64 v8, 0, 1, vcc_lo
	v_cmp_gt_i32_e32 vcc_lo, v1, v35
	v_cndmask_b32_e64 v9, 0, 1, vcc_lo
	v_cmp_gt_i32_e32 vcc_lo, v1, v34
	s_delay_alu instid0(VALU_DEP_4) | instskip(SKIP_1) | instid1(VALU_DEP_2)
	v_add_co_ci_u32_e32 v7, vcc_lo, v7, v8, vcc_lo
	v_cmp_gt_i32_e32 vcc_lo, v1, v36
	v_add_co_ci_u32_e32 v9, vcc_lo, v7, v9, vcc_lo
	ds_load_2addr_b32 v[7:8], v2 offset0:40 offset1:41
	v_cmp_gt_i32_e32 vcc_lo, v1, v37
	v_cndmask_b32_e64 v10, 0, 1, vcc_lo
	v_cmp_gt_i32_e32 vcc_lo, v1, v38
	s_delay_alu instid0(VALU_DEP_2)
	v_add_co_ci_u32_e32 v11, vcc_lo, v9, v10, vcc_lo
	ds_load_2addr_b32 v[9:10], v2 offset0:42 offset1:43
	s_waitcnt lgkmcnt(3)
	v_cmp_gt_i32_e32 vcc_lo, v1, v3
	v_cndmask_b32_e64 v3, 0, 1, vcc_lo
	v_cmp_gt_i32_e32 vcc_lo, v1, v4
	s_delay_alu instid0(VALU_DEP_2)
	v_add_co_ci_u32_e32 v11, vcc_lo, v11, v3, vcc_lo
	s_waitcnt lgkmcnt(2)
	v_cmp_gt_i32_e32 vcc_lo, v1, v5
	ds_load_2addr_b32 v[3:4], v2 offset0:44 offset1:45
	v_cndmask_b32_e64 v5, 0, 1, vcc_lo
	v_cmp_gt_i32_e32 vcc_lo, v1, v6
	s_delay_alu instid0(VALU_DEP_2)
	v_add_co_ci_u32_e32 v11, vcc_lo, v11, v5, vcc_lo
	ds_load_2addr_b32 v[5:6], v2 offset0:46 offset1:47
	s_waitcnt lgkmcnt(3)
	v_cmp_gt_i32_e32 vcc_lo, v1, v7
	v_cndmask_b32_e64 v7, 0, 1, vcc_lo
	v_cmp_gt_i32_e32 vcc_lo, v1, v8
	s_delay_alu instid0(VALU_DEP_2)
	v_add_co_ci_u32_e32 v11, vcc_lo, v11, v7, vcc_lo
	ds_load_2addr_b32 v[7:8], v2 offset0:48 offset1:49
	s_waitcnt lgkmcnt(3)
	v_cmp_gt_i32_e32 vcc_lo, v1, v9
	v_cndmask_b32_e64 v9, 0, 1, vcc_lo
	v_cmp_gt_i32_e32 vcc_lo, v1, v10
	s_delay_alu instid0(VALU_DEP_2)
	v_add_co_ci_u32_e32 v11, vcc_lo, v11, v9, vcc_lo
	ds_load_2addr_b32 v[9:10], v2 offset0:50 offset1:51
	s_waitcnt lgkmcnt(3)
	v_cmp_gt_i32_e32 vcc_lo, v1, v3
	v_cndmask_b32_e64 v3, 0, 1, vcc_lo
	v_cmp_gt_i32_e32 vcc_lo, v1, v4
	s_delay_alu instid0(VALU_DEP_2)
	v_add_co_ci_u32_e32 v11, vcc_lo, v11, v3, vcc_lo
	s_waitcnt lgkmcnt(2)
	v_cmp_gt_i32_e32 vcc_lo, v1, v5
	ds_load_2addr_b32 v[3:4], v2 offset0:52 offset1:53
	v_cndmask_b32_e64 v5, 0, 1, vcc_lo
	v_cmp_gt_i32_e32 vcc_lo, v1, v6
	s_delay_alu instid0(VALU_DEP_2)
	v_add_co_ci_u32_e32 v11, vcc_lo, v11, v5, vcc_lo
	ds_load_2addr_b32 v[5:6], v2 offset0:54 offset1:55
	s_waitcnt lgkmcnt(3)
	v_cmp_gt_i32_e32 vcc_lo, v1, v7
	v_cndmask_b32_e64 v7, 0, 1, vcc_lo
	v_cmp_gt_i32_e32 vcc_lo, v1, v8
	s_delay_alu instid0(VALU_DEP_2)
	v_add_co_ci_u32_e32 v11, vcc_lo, v11, v7, vcc_lo
	ds_load_2addr_b32 v[7:8], v2 offset0:56 offset1:57
	s_waitcnt lgkmcnt(3)
	;; [unrolled: 28-line block ×10, first 2 shown]
	v_cmp_gt_i32_e32 vcc_lo, v1, v9
	v_cndmask_b32_e64 v9, 0, 1, vcc_lo
	v_cmp_gt_i32_e32 vcc_lo, v1, v10
	s_delay_alu instid0(VALU_DEP_2)
	v_add_co_ci_u32_e32 v11, vcc_lo, v11, v9, vcc_lo
	ds_load_2addr_b32 v[9:10], v2 offset0:122 offset1:123
	s_waitcnt lgkmcnt(3)
	v_cmp_gt_i32_e32 vcc_lo, v1, v3
	v_cndmask_b32_e64 v3, 0, 1, vcc_lo
	v_cmp_gt_i32_e32 vcc_lo, v1, v4
	s_delay_alu instid0(VALU_DEP_2)
	v_add_co_ci_u32_e32 v11, vcc_lo, v11, v3, vcc_lo
	s_waitcnt lgkmcnt(2)
	v_cmp_gt_i32_e32 vcc_lo, v1, v5
	ds_load_2addr_b32 v[3:4], v2 offset0:124 offset1:125
	v_cndmask_b32_e64 v5, 0, 1, vcc_lo
	v_cmp_gt_i32_e32 vcc_lo, v1, v6
	s_delay_alu instid0(VALU_DEP_2)
	v_add_co_ci_u32_e32 v11, vcc_lo, v11, v5, vcc_lo
	ds_load_2addr_b32 v[5:6], v2 offset0:126 offset1:127
	s_waitcnt lgkmcnt(3)
	v_cmp_gt_i32_e32 vcc_lo, v1, v7
	v_cndmask_b32_e64 v2, 0, 1, vcc_lo
	v_cmp_gt_i32_e32 vcc_lo, v1, v8
	s_delay_alu instid0(VALU_DEP_2) | instskip(SKIP_4) | instid1(VALU_DEP_2)
	v_add_co_ci_u32_e32 v2, vcc_lo, v11, v2, vcc_lo
	s_waitcnt lgkmcnt(2)
	v_cmp_gt_i32_e32 vcc_lo, v1, v9
	v_cndmask_b32_e64 v7, 0, 1, vcc_lo
	v_cmp_gt_i32_e32 vcc_lo, v1, v10
	v_add_co_ci_u32_e32 v2, vcc_lo, v2, v7, vcc_lo
	s_waitcnt lgkmcnt(1)
	v_cmp_gt_i32_e32 vcc_lo, v1, v3
	v_cndmask_b32_e64 v3, 0, 1, vcc_lo
	v_cmp_gt_i32_e32 vcc_lo, v1, v4
	v_lshlrev_b32_e32 v4, 2, v0
	v_lshlrev_b32_e32 v0, 5, v0
	s_delay_alu instid0(VALU_DEP_4) | instskip(SKIP_4) | instid1(VALU_DEP_2)
	v_add_co_ci_u32_e32 v2, vcc_lo, v2, v3, vcc_lo
	s_waitcnt lgkmcnt(0)
	v_cmp_gt_i32_e32 vcc_lo, v1, v5
	v_cndmask_b32_e64 v3, 0, 1, vcc_lo
	v_cmp_gt_i32_e32 vcc_lo, v1, v6
	v_add_co_ci_u32_e32 v10, vcc_lo, v2, v3, vcc_lo
	v_or_b32_e32 v2, s0, v4
	v_or_b32_e32 v3, s1, v4
	v_add_nc_u32_e32 v4, 0, v0
	v_add3_u32 v0, 0, 0x200, v0
	v_lshlrev_b32_e32 v12, 2, v10
	v_lshl_add_u32 v5, v2, 3, 0
	v_lshl_add_u32 v8, v3, 3, 0
	v_ashrrev_i32_e32 v11, 31, v10
	ds_load_b64 v[2:3], v4 offset:512
	ds_load_b64 v[6:7], v5 offset:512
	;; [unrolled: 1-line block ×4, first 2 shown]
	v_ashrrev_i32_e32 v13, 31, v12
	v_lshlrev_b64 v[10:11], 2, v[10:11]
	s_delay_alu instid0(VALU_DEP_2) | instskip(NEXT) | instid1(VALU_DEP_2)
	v_lshlrev_b64 v[0:1], 3, v[12:13]
	v_add_co_u32 v10, vcc_lo, s24, v10
	s_delay_alu instid0(VALU_DEP_3) | instskip(NEXT) | instid1(VALU_DEP_3)
	v_add_co_ci_u32_e32 v11, vcc_lo, s25, v11, vcc_lo
	v_add_co_u32 v0, vcc_lo, s26, v0
	s_delay_alu instid0(VALU_DEP_4)
	v_add_co_ci_u32_e32 v1, vcc_lo, s27, v1, vcc_lo
	global_store_b32 v[10:11], v14, off
	s_waitcnt lgkmcnt(1)
	global_store_b128 v[0:1], v[2:5], off
	s_waitcnt lgkmcnt(0)
	global_store_b128 v[0:1], v[6:9], off offset:16
.LBB29_155:
	s_nop 0
	s_sendmsg sendmsg(MSG_DEALLOC_VGPRS)
	s_endpgm
	.section	.rodata,"a",@progbits
	.p2align	6, 0x0
	.amdhsa_kernel _ZN9rocsparseL30bsrgemm_fill_block_per_row_2x2ILj256ELj16ELj128ELj137EiidEEv20rocsparse_direction_T4_S2_PKS2_S4_NS_24const_host_device_scalarIT5_EEPKT3_S4_PKS6_SA_S4_SC_S7_SA_S4_SC_SA_PS2_PS6_21rocsparse_index_base_SF_SF_SF_bbb
		.amdhsa_group_segment_fixed_size 0
		.amdhsa_private_segment_fixed_size 0
		.amdhsa_kernarg_size 164
		.amdhsa_user_sgpr_count 15
		.amdhsa_user_sgpr_dispatch_ptr 0
		.amdhsa_user_sgpr_queue_ptr 0
		.amdhsa_user_sgpr_kernarg_segment_ptr 1
		.amdhsa_user_sgpr_dispatch_id 0
		.amdhsa_user_sgpr_private_segment_size 0
		.amdhsa_wavefront_size32 1
		.amdhsa_uses_dynamic_stack 0
		.amdhsa_enable_private_segment 0
		.amdhsa_system_sgpr_workgroup_id_x 1
		.amdhsa_system_sgpr_workgroup_id_y 0
		.amdhsa_system_sgpr_workgroup_id_z 0
		.amdhsa_system_sgpr_workgroup_info 0
		.amdhsa_system_vgpr_workitem_id 0
		.amdhsa_next_free_vgpr 39
		.amdhsa_next_free_sgpr 46
		.amdhsa_reserve_vcc 1
		.amdhsa_float_round_mode_32 0
		.amdhsa_float_round_mode_16_64 0
		.amdhsa_float_denorm_mode_32 3
		.amdhsa_float_denorm_mode_16_64 3
		.amdhsa_dx10_clamp 1
		.amdhsa_ieee_mode 1
		.amdhsa_fp16_overflow 0
		.amdhsa_workgroup_processor_mode 1
		.amdhsa_memory_ordered 1
		.amdhsa_forward_progress 0
		.amdhsa_shared_vgpr_count 0
		.amdhsa_exception_fp_ieee_invalid_op 0
		.amdhsa_exception_fp_denorm_src 0
		.amdhsa_exception_fp_ieee_div_zero 0
		.amdhsa_exception_fp_ieee_overflow 0
		.amdhsa_exception_fp_ieee_underflow 0
		.amdhsa_exception_fp_ieee_inexact 0
		.amdhsa_exception_int_div_zero 0
	.end_amdhsa_kernel
	.section	.text._ZN9rocsparseL30bsrgemm_fill_block_per_row_2x2ILj256ELj16ELj128ELj137EiidEEv20rocsparse_direction_T4_S2_PKS2_S4_NS_24const_host_device_scalarIT5_EEPKT3_S4_PKS6_SA_S4_SC_S7_SA_S4_SC_SA_PS2_PS6_21rocsparse_index_base_SF_SF_SF_bbb,"axG",@progbits,_ZN9rocsparseL30bsrgemm_fill_block_per_row_2x2ILj256ELj16ELj128ELj137EiidEEv20rocsparse_direction_T4_S2_PKS2_S4_NS_24const_host_device_scalarIT5_EEPKT3_S4_PKS6_SA_S4_SC_S7_SA_S4_SC_SA_PS2_PS6_21rocsparse_index_base_SF_SF_SF_bbb,comdat
.Lfunc_end29:
	.size	_ZN9rocsparseL30bsrgemm_fill_block_per_row_2x2ILj256ELj16ELj128ELj137EiidEEv20rocsparse_direction_T4_S2_PKS2_S4_NS_24const_host_device_scalarIT5_EEPKT3_S4_PKS6_SA_S4_SC_S7_SA_S4_SC_SA_PS2_PS6_21rocsparse_index_base_SF_SF_SF_bbb, .Lfunc_end29-_ZN9rocsparseL30bsrgemm_fill_block_per_row_2x2ILj256ELj16ELj128ELj137EiidEEv20rocsparse_direction_T4_S2_PKS2_S4_NS_24const_host_device_scalarIT5_EEPKT3_S4_PKS6_SA_S4_SC_S7_SA_S4_SC_SA_PS2_PS6_21rocsparse_index_base_SF_SF_SF_bbb
                                        ; -- End function
	.section	.AMDGPU.csdata,"",@progbits
; Kernel info:
; codeLenInByte = 7288
; NumSgprs: 48
; NumVgprs: 39
; ScratchSize: 0
; MemoryBound: 0
; FloatMode: 240
; IeeeMode: 1
; LDSByteSize: 0 bytes/workgroup (compile time only)
; SGPRBlocks: 5
; VGPRBlocks: 4
; NumSGPRsForWavesPerEU: 48
; NumVGPRsForWavesPerEU: 39
; Occupancy: 16
; WaveLimiterHint : 1
; COMPUTE_PGM_RSRC2:SCRATCH_EN: 0
; COMPUTE_PGM_RSRC2:USER_SGPR: 15
; COMPUTE_PGM_RSRC2:TRAP_HANDLER: 0
; COMPUTE_PGM_RSRC2:TGID_X_EN: 1
; COMPUTE_PGM_RSRC2:TGID_Y_EN: 0
; COMPUTE_PGM_RSRC2:TGID_Z_EN: 0
; COMPUTE_PGM_RSRC2:TIDIG_COMP_CNT: 0
	.section	.text._ZN9rocsparseL30bsrgemm_fill_block_per_row_2x2ILj256ELj16ELj256ELj137EiidEEv20rocsparse_direction_T4_S2_PKS2_S4_NS_24const_host_device_scalarIT5_EEPKT3_S4_PKS6_SA_S4_SC_S7_SA_S4_SC_SA_PS2_PS6_21rocsparse_index_base_SF_SF_SF_bbb,"axG",@progbits,_ZN9rocsparseL30bsrgemm_fill_block_per_row_2x2ILj256ELj16ELj256ELj137EiidEEv20rocsparse_direction_T4_S2_PKS2_S4_NS_24const_host_device_scalarIT5_EEPKT3_S4_PKS6_SA_S4_SC_S7_SA_S4_SC_SA_PS2_PS6_21rocsparse_index_base_SF_SF_SF_bbb,comdat
	.globl	_ZN9rocsparseL30bsrgemm_fill_block_per_row_2x2ILj256ELj16ELj256ELj137EiidEEv20rocsparse_direction_T4_S2_PKS2_S4_NS_24const_host_device_scalarIT5_EEPKT3_S4_PKS6_SA_S4_SC_S7_SA_S4_SC_SA_PS2_PS6_21rocsparse_index_base_SF_SF_SF_bbb ; -- Begin function _ZN9rocsparseL30bsrgemm_fill_block_per_row_2x2ILj256ELj16ELj256ELj137EiidEEv20rocsparse_direction_T4_S2_PKS2_S4_NS_24const_host_device_scalarIT5_EEPKT3_S4_PKS6_SA_S4_SC_S7_SA_S4_SC_SA_PS2_PS6_21rocsparse_index_base_SF_SF_SF_bbb
	.p2align	8
	.type	_ZN9rocsparseL30bsrgemm_fill_block_per_row_2x2ILj256ELj16ELj256ELj137EiidEEv20rocsparse_direction_T4_S2_PKS2_S4_NS_24const_host_device_scalarIT5_EEPKT3_S4_PKS6_SA_S4_SC_S7_SA_S4_SC_SA_PS2_PS6_21rocsparse_index_base_SF_SF_SF_bbb,@function
_ZN9rocsparseL30bsrgemm_fill_block_per_row_2x2ILj256ELj16ELj256ELj137EiidEEv20rocsparse_direction_T4_S2_PKS2_S4_NS_24const_host_device_scalarIT5_EEPKT3_S4_PKS6_SA_S4_SC_S7_SA_S4_SC_SA_PS2_PS6_21rocsparse_index_base_SF_SF_SF_bbb: ; @_ZN9rocsparseL30bsrgemm_fill_block_per_row_2x2ILj256ELj16ELj256ELj137EiidEEv20rocsparse_direction_T4_S2_PKS2_S4_NS_24const_host_device_scalarIT5_EEPKT3_S4_PKS6_SA_S4_SC_S7_SA_S4_SC_SA_PS2_PS6_21rocsparse_index_base_SF_SF_SF_bbb
; %bb.0:
	s_clause 0x2
	s_load_b32 s6, s[0:1], 0xa0
	s_load_b64 s[4:5], s[0:1], 0x20
	s_load_b64 s[2:3], s[0:1], 0x58
	s_mov_b32 s34, s15
	s_waitcnt lgkmcnt(0)
	s_and_b32 s8, 1, s6
	s_bitcmp1_b32 s6, 16
	s_cselect_b32 s7, -1, 0
	s_cmp_eq_u32 s8, 1
	s_cselect_b32 s35, -1, 0
	s_delay_alu instid0(SALU_CYCLE_1)
	s_and_b32 s8, s35, exec_lo
	s_cselect_b32 s9, s5, 0
	s_cselect_b32 s8, s4, 0
	s_xor_b32 s10, s35, -1
	v_dual_mov_b32 v3, s8 :: v_dual_mov_b32 v4, s9
	s_or_b32 s10, s10, s7
	s_delay_alu instid0(SALU_CYCLE_1)
	s_and_b32 vcc_lo, exec_lo, s10
	s_cbranch_vccnz .LBB30_2
; %bb.1:
	v_dual_mov_b32 v1, s4 :: v_dual_mov_b32 v2, s5
	flat_load_b64 v[3:4], v[1:2]
.LBB30_2:
	s_load_b128 s[20:23], s[0:1], 0x90
	s_bitcmp1_b32 s6, 8
	s_cselect_b32 s33, -1, 0
	s_delay_alu instid0(SALU_CYCLE_1)
	s_and_b32 s4, s33, exec_lo
	s_cselect_b32 s5, s3, 0
	s_cselect_b32 s4, s2, 0
	s_xor_b32 s6, s33, -1
	v_dual_mov_b32 v1, s4 :: v_dual_mov_b32 v2, s5
	s_or_b32 s6, s6, s7
	s_delay_alu instid0(SALU_CYCLE_1)
	s_and_b32 vcc_lo, exec_lo, s6
	s_cbranch_vccnz .LBB30_4
; %bb.3:
	v_dual_mov_b32 v1, s2 :: v_dual_mov_b32 v2, s3
	flat_load_b64 v[1:2], v[1:2]
.LBB30_4:
	s_clause 0x5
	s_load_b128 s[24:27], s[0:1], 0x80
	s_load_b256 s[4:11], s[0:1], 0x60
	s_load_b128 s[28:31], s[0:1], 0x48
	s_load_b256 s[12:19], s[0:1], 0x28
	s_load_b128 s[36:39], s[0:1], 0x10
	s_load_b32 s3, s[0:1], 0x8
	v_cmp_gt_u32_e64 s2, 0x100, v0
	v_lshl_add_u32 v28, v0, 2, 0
	s_delay_alu instid0(VALU_DEP_2)
	s_and_saveexec_b32 s40, s2
	s_cbranch_execz .LBB30_6
; %bb.5:
	s_waitcnt lgkmcnt(0)
	v_mov_b32_e32 v5, s3
	ds_store_b32 v28, v5
.LBB30_6:
	s_or_b32 exec_lo, exec_lo, s40
	v_dual_mov_b32 v5, 0 :: v_dual_lshlrev_b32 v6, 3, v0
	v_or_b32_e32 v7, 0xffffff00, v0
	s_mov_b32 s40, 0
	s_delay_alu instid0(VALU_DEP_2) | instskip(NEXT) | instid1(VALU_DEP_3)
	v_add3_u32 v8, v6, 0, 0x400
	v_mov_b32_e32 v6, v5
.LBB30_7:                               ; =>This Inner Loop Header: Depth=1
	s_delay_alu instid0(VALU_DEP_3) | instskip(SKIP_4) | instid1(SALU_CYCLE_1)
	v_add_nc_u32_e32 v7, 0x100, v7
	ds_store_b64 v8, v[5:6]
	v_add_nc_u32_e32 v8, 0x800, v8
	v_cmp_lt_u32_e32 vcc_lo, 0x2ff, v7
	s_or_b32 s40, vcc_lo, s40
	s_and_not1_b32 exec_lo, exec_lo, s40
	s_cbranch_execnz .LBB30_7
; %bb.8:
	s_or_b32 exec_lo, exec_lo, s40
	s_waitcnt lgkmcnt(0)
	s_cmp_lg_u64 s[38:39], 0
	s_waitcnt vmcnt(0)
	s_barrier
	buffer_gl0_inv
	s_cbranch_scc0 .LBB30_10
; %bb.9:
	s_load_b32 s36, s[36:37], 0x0
	s_mov_b32 s37, 0
	s_waitcnt lgkmcnt(0)
	s_add_i32 s36, s36, s34
	s_delay_alu instid0(SALU_CYCLE_1) | instskip(NEXT) | instid1(SALU_CYCLE_1)
	s_lshl_b64 s[36:37], s[36:37], 2
	s_add_u32 s36, s38, s36
	s_addc_u32 s37, s39, s37
	s_load_b32 s34, s[36:37], 0x0
.LBB30_10:
	s_load_b32 s0, s[0:1], 0x0
	s_and_not1_b32 vcc_lo, exec_lo, s35
	s_waitcnt lgkmcnt(0)
	s_ashr_i32 s35, s34, 31
	s_cbranch_vccnz .LBB30_82
; %bb.11:
	s_lshl_b64 s[36:37], s[34:35], 2
	v_lshrrev_b32_e32 v5, 4, v0
	s_add_u32 s12, s12, s36
	s_addc_u32 s13, s13, s37
	s_load_b64 s[12:13], s[12:13], 0x0
	s_delay_alu instid0(VALU_DEP_1) | instskip(SKIP_1) | instid1(VALU_DEP_1)
	v_subrev_nc_u32_e32 v5, s20, v5
	s_waitcnt lgkmcnt(0)
	v_add_nc_u32_e32 v5, s12, v5
	s_sub_i32 s1, s13, s20
	s_mov_b32 s12, exec_lo
	s_delay_alu instid0(VALU_DEP_1)
	v_cmpx_gt_i32_e64 s1, v5
	s_cbranch_execz .LBB30_81
; %bb.12:
	v_and_b32_e32 v6, 15, v0
	s_cmp_eq_u32 s0, 0
	s_mov_b32 s13, 0
	s_cselect_b32 s36, 1, 2
	s_cselect_b32 s37, 2, 1
	v_subrev_nc_u32_e32 v29, s21, v6
	s_branch .LBB30_14
.LBB30_13:                              ;   in Loop: Header=BB30_14 Depth=1
	s_or_b32 exec_lo, exec_lo, s38
	v_add_nc_u32_e32 v5, 16, v5
	s_delay_alu instid0(VALU_DEP_1) | instskip(SKIP_1) | instid1(SALU_CYCLE_1)
	v_cmp_le_i32_e32 vcc_lo, s1, v5
	s_or_b32 s13, vcc_lo, s13
	s_and_not1_b32 exec_lo, exec_lo, s13
	s_cbranch_execz .LBB30_81
.LBB30_14:                              ; =>This Loop Header: Depth=1
                                        ;     Child Loop BB30_17 Depth 2
                                        ;       Child Loop BB30_19 Depth 3
                                        ;         Child Loop BB30_25 Depth 4
                                        ;         Child Loop BB30_31 Depth 4
                                        ;       Child Loop BB30_35 Depth 3
                                        ;         Child Loop BB30_41 Depth 4
                                        ;         Child Loop BB30_47 Depth 4
                                        ;       Child Loop BB30_51 Depth 3
                                        ;         Child Loop BB30_57 Depth 4
                                        ;         Child Loop BB30_63 Depth 4
                                        ;       Child Loop BB30_67 Depth 3
                                        ;         Child Loop BB30_73 Depth 4
                                        ;         Child Loop BB30_79 Depth 4
	v_ashrrev_i32_e32 v6, 31, v5
	s_mov_b32 s38, exec_lo
	s_delay_alu instid0(VALU_DEP_1) | instskip(NEXT) | instid1(VALU_DEP_1)
	v_lshlrev_b64 v[6:7], 2, v[5:6]
	v_add_co_u32 v6, vcc_lo, s14, v6
	s_delay_alu instid0(VALU_DEP_2) | instskip(SKIP_3) | instid1(VALU_DEP_1)
	v_add_co_ci_u32_e32 v7, vcc_lo, s15, v7, vcc_lo
	global_load_b32 v6, v[6:7], off
	s_waitcnt vmcnt(0)
	v_subrev_nc_u32_e32 v6, s20, v6
	v_ashrrev_i32_e32 v7, 31, v6
	s_delay_alu instid0(VALU_DEP_1) | instskip(NEXT) | instid1(VALU_DEP_1)
	v_lshlrev_b64 v[6:7], 2, v[6:7]
	v_add_co_u32 v6, vcc_lo, s18, v6
	s_delay_alu instid0(VALU_DEP_2) | instskip(SKIP_4) | instid1(VALU_DEP_1)
	v_add_co_ci_u32_e32 v7, vcc_lo, s19, v7, vcc_lo
	global_load_b64 v[6:7], v[6:7], off
	s_waitcnt vmcnt(0)
	v_subrev_nc_u32_e32 v30, s21, v7
	v_add_nc_u32_e32 v6, v6, v29
	v_cmpx_lt_i32_e64 v6, v30
	s_cbranch_execz .LBB30_13
; %bb.15:                               ;   in Loop: Header=BB30_14 Depth=1
	v_lshlrev_b32_e32 v7, 2, v5
	s_mov_b32 s39, 0
	s_delay_alu instid0(VALU_DEP_1) | instskip(SKIP_2) | instid1(VALU_DEP_3)
	v_or_b32_e32 v9, s37, v7
	v_ashrrev_i32_e32 v8, 31, v7
	v_or_b32_e32 v11, s36, v7
	v_ashrrev_i32_e32 v10, 31, v9
	s_delay_alu instid0(VALU_DEP_3) | instskip(NEXT) | instid1(VALU_DEP_3)
	v_lshlrev_b64 v[7:8], 3, v[7:8]
	v_ashrrev_i32_e32 v12, 31, v11
	s_delay_alu instid0(VALU_DEP_3) | instskip(NEXT) | instid1(VALU_DEP_2)
	v_lshlrev_b64 v[9:10], 3, v[9:10]
	v_lshlrev_b64 v[11:12], 3, v[11:12]
	s_delay_alu instid0(VALU_DEP_4) | instskip(SKIP_1) | instid1(VALU_DEP_4)
	v_add_co_u32 v7, vcc_lo, s16, v7
	v_add_co_ci_u32_e32 v8, vcc_lo, s17, v8, vcc_lo
	v_add_co_u32 v9, vcc_lo, s16, v9
	v_add_co_ci_u32_e32 v10, vcc_lo, s17, v10, vcc_lo
	;; [unrolled: 2-line block ×3, first 2 shown]
	s_clause 0x3
	global_load_b64 v[13:14], v[7:8], off offset:24
	global_load_b64 v[15:16], v[9:10], off
	global_load_b64 v[17:18], v[11:12], off
	;; [unrolled: 1-line block ×3, first 2 shown]
	s_waitcnt vmcnt(3)
	v_mul_f64 v[8:9], v[3:4], v[13:14]
	s_waitcnt vmcnt(2)
	v_mul_f64 v[10:11], v[3:4], v[15:16]
	;; [unrolled: 2-line block ×4, first 2 shown]
	s_branch .LBB30_17
.LBB30_16:                              ;   in Loop: Header=BB30_17 Depth=2
	s_or_b32 exec_lo, exec_lo, s40
	v_add_nc_u32_e32 v6, 16, v6
	s_delay_alu instid0(VALU_DEP_1) | instskip(SKIP_1) | instid1(SALU_CYCLE_1)
	v_cmp_ge_i32_e32 vcc_lo, v6, v30
	s_or_b32 s39, vcc_lo, s39
	s_and_not1_b32 exec_lo, exec_lo, s39
	s_cbranch_execz .LBB30_13
.LBB30_17:                              ;   Parent Loop BB30_14 Depth=1
                                        ; =>  This Loop Header: Depth=2
                                        ;       Child Loop BB30_19 Depth 3
                                        ;         Child Loop BB30_25 Depth 4
                                        ;         Child Loop BB30_31 Depth 4
                                        ;       Child Loop BB30_35 Depth 3
                                        ;         Child Loop BB30_41 Depth 4
                                        ;         Child Loop BB30_47 Depth 4
	;; [unrolled: 3-line block ×4, first 2 shown]
	v_lshlrev_b32_e32 v16, 2, v6
	v_ashrrev_i32_e32 v7, 31, v6
	s_mov_b32 s40, 0
	s_delay_alu instid0(VALU_DEP_2) | instskip(NEXT) | instid1(VALU_DEP_1)
	v_or_b32_e32 v17, s37, v16
	v_ashrrev_i32_e32 v18, 31, v17
	s_delay_alu instid0(VALU_DEP_1) | instskip(NEXT) | instid1(VALU_DEP_1)
	v_lshlrev_b64 v[17:18], 3, v[17:18]
	v_add_co_u32 v17, vcc_lo, s30, v17
	s_delay_alu instid0(VALU_DEP_2) | instskip(SKIP_2) | instid1(VALU_DEP_1)
	v_add_co_ci_u32_e32 v18, vcc_lo, s31, v18, vcc_lo
	global_load_b64 v[20:21], v[17:18], off
	v_ashrrev_i32_e32 v17, 31, v16
	v_lshlrev_b64 v[17:18], 3, v[16:17]
	v_or_b32_e32 v16, s36, v16
	s_delay_alu instid0(VALU_DEP_2) | instskip(NEXT) | instid1(VALU_DEP_3)
	v_add_co_u32 v24, vcc_lo, s30, v17
	v_add_co_ci_u32_e32 v25, vcc_lo, s31, v18, vcc_lo
	v_lshlrev_b64 v[17:18], 2, v[6:7]
	global_load_b64 v[22:23], v[24:25], off
	v_add_co_u32 v17, vcc_lo, s28, v17
	v_add_co_ci_u32_e32 v18, vcc_lo, s29, v18, vcc_lo
	global_load_b32 v7, v[17:18], off
	v_ashrrev_i32_e32 v17, 31, v16
	s_delay_alu instid0(VALU_DEP_1) | instskip(NEXT) | instid1(VALU_DEP_1)
	v_lshlrev_b64 v[16:17], 3, v[16:17]
	v_add_co_u32 v16, vcc_lo, s30, v16
	s_delay_alu instid0(VALU_DEP_2)
	v_add_co_ci_u32_e32 v17, vcc_lo, s31, v17, vcc_lo
	s_clause 0x1
	global_load_b64 v[16:17], v[16:17], off
	global_load_b64 v[18:19], v[24:25], off offset:24
	s_waitcnt vmcnt(4)
	v_mul_f64 v[24:25], v[12:13], v[20:21]
	s_waitcnt vmcnt(2)
	v_subrev_nc_u32_e32 v7, s21, v7
	s_delay_alu instid0(VALU_DEP_1) | instskip(NEXT) | instid1(VALU_DEP_3)
	v_mul_lo_u32 v26, 0x89, v7
	v_fma_f64 v[24:25], v[14:15], v[22:23], v[24:25]
	s_delay_alu instid0(VALU_DEP_2) | instskip(NEXT) | instid1(VALU_DEP_1)
	v_and_b32_e32 v31, 0xff, v26
	v_mov_b32_e32 v32, v31
	s_branch .LBB30_19
.LBB30_18:                              ;   in Loop: Header=BB30_19 Depth=3
	s_or_b32 exec_lo, exec_lo, s41
	s_xor_b32 s41, s42, -1
	s_delay_alu instid0(SALU_CYCLE_1) | instskip(NEXT) | instid1(SALU_CYCLE_1)
	s_and_b32 s41, exec_lo, s41
	s_or_b32 s40, s41, s40
	s_delay_alu instid0(SALU_CYCLE_1)
	s_and_not1_b32 exec_lo, exec_lo, s40
	s_cbranch_execz .LBB30_33
.LBB30_19:                              ;   Parent Loop BB30_14 Depth=1
                                        ;     Parent Loop BB30_17 Depth=2
                                        ; =>    This Loop Header: Depth=3
                                        ;         Child Loop BB30_25 Depth 4
                                        ;         Child Loop BB30_31 Depth 4
	s_delay_alu instid0(VALU_DEP_1)
	v_lshl_add_u32 v26, v32, 2, 0
	s_mov_b32 s41, exec_lo
                                        ; implicit-def: $sgpr42
	ds_load_b32 v27, v26
	s_waitcnt lgkmcnt(0)
	v_cmpx_ne_u32_e64 v27, v7
	s_xor_b32 s41, exec_lo, s41
	s_cbranch_execz .LBB30_29
; %bb.20:                               ;   in Loop: Header=BB30_19 Depth=3
	s_mov_b32 s43, exec_lo
                                        ; implicit-def: $sgpr42
	v_cmpx_ne_u32_e64 s3, v27
	s_xor_b32 s43, exec_lo, s43
; %bb.21:                               ;   in Loop: Header=BB30_19 Depth=3
	v_add_nc_u32_e32 v26, 1, v32
	s_mov_b32 s42, -1
	s_delay_alu instid0(VALU_DEP_1)
	v_and_b32_e32 v32, 0xff, v26
                                        ; implicit-def: $vgpr26
; %bb.22:                               ;   in Loop: Header=BB30_19 Depth=3
	s_and_not1_saveexec_b32 s43, s43
	s_cbranch_execz .LBB30_28
; %bb.23:                               ;   in Loop: Header=BB30_19 Depth=3
	v_mov_b32_e32 v27, s3
	s_mov_b32 s45, -1
	s_mov_b32 s44, exec_lo
	ds_cmpstore_rtn_b32 v27, v26, v7, v27
	s_waitcnt lgkmcnt(0)
	v_cmpx_eq_u32_e64 s3, v27
	s_cbranch_execz .LBB30_27
; %bb.24:                               ;   in Loop: Header=BB30_19 Depth=3
	v_mul_lo_u32 v27, v32, 28
	s_mov_b32 s45, 0
	s_delay_alu instid0(VALU_DEP_1)
	v_add_nc_u32_e32 v33, v26, v27
	ds_load_b64 v[26:27], v33 offset:1024
.LBB30_25:                              ;   Parent Loop BB30_14 Depth=1
                                        ;     Parent Loop BB30_17 Depth=2
                                        ;       Parent Loop BB30_19 Depth=3
                                        ; =>      This Inner Loop Header: Depth=4
	s_waitcnt lgkmcnt(0)
	v_add_f64 v[34:35], v[26:27], v[24:25]
	ds_cmpstore_rtn_b64 v[34:35], v33, v[34:35], v[26:27] offset:1024
	s_waitcnt lgkmcnt(0)
	v_cmp_eq_u64_e32 vcc_lo, v[34:35], v[26:27]
	v_dual_mov_b32 v26, v34 :: v_dual_mov_b32 v27, v35
	s_or_b32 s45, vcc_lo, s45
	s_delay_alu instid0(SALU_CYCLE_1)
	s_and_not1_b32 exec_lo, exec_lo, s45
	s_cbranch_execnz .LBB30_25
; %bb.26:                               ;   in Loop: Header=BB30_19 Depth=3
	s_or_b32 exec_lo, exec_lo, s45
	s_delay_alu instid0(SALU_CYCLE_1)
	s_xor_b32 s45, exec_lo, -1
.LBB30_27:                              ;   in Loop: Header=BB30_19 Depth=3
	s_or_b32 exec_lo, exec_lo, s44
	s_delay_alu instid0(SALU_CYCLE_1) | instskip(SKIP_1) | instid1(SALU_CYCLE_1)
	s_and_not1_b32 s42, s42, exec_lo
	s_and_b32 s44, s45, exec_lo
	s_or_b32 s42, s42, s44
.LBB30_28:                              ;   in Loop: Header=BB30_19 Depth=3
	s_or_b32 exec_lo, exec_lo, s43
	s_delay_alu instid0(SALU_CYCLE_1)
	s_and_b32 s42, s42, exec_lo
                                        ; implicit-def: $vgpr26
.LBB30_29:                              ;   in Loop: Header=BB30_19 Depth=3
	s_and_not1_saveexec_b32 s41, s41
	s_cbranch_execz .LBB30_18
; %bb.30:                               ;   in Loop: Header=BB30_19 Depth=3
	v_mul_lo_u32 v27, v32, 28
	s_mov_b32 s43, 0
	s_delay_alu instid0(VALU_DEP_1)
	v_add_nc_u32_e32 v33, v26, v27
	ds_load_b64 v[26:27], v33 offset:1024
.LBB30_31:                              ;   Parent Loop BB30_14 Depth=1
                                        ;     Parent Loop BB30_17 Depth=2
                                        ;       Parent Loop BB30_19 Depth=3
                                        ; =>      This Inner Loop Header: Depth=4
	s_waitcnt lgkmcnt(0)
	v_add_f64 v[34:35], v[26:27], v[24:25]
	ds_cmpstore_rtn_b64 v[34:35], v33, v[34:35], v[26:27] offset:1024
	s_waitcnt lgkmcnt(0)
	v_cmp_eq_u64_e32 vcc_lo, v[34:35], v[26:27]
	v_dual_mov_b32 v26, v34 :: v_dual_mov_b32 v27, v35
	s_or_b32 s43, vcc_lo, s43
	s_delay_alu instid0(SALU_CYCLE_1)
	s_and_not1_b32 exec_lo, exec_lo, s43
	s_cbranch_execnz .LBB30_31
; %bb.32:                               ;   in Loop: Header=BB30_19 Depth=3
	s_or_b32 exec_lo, exec_lo, s43
	s_delay_alu instid0(SALU_CYCLE_1)
	s_and_not1_b32 s42, s42, exec_lo
	s_branch .LBB30_18
.LBB30_33:                              ;   in Loop: Header=BB30_17 Depth=2
	s_or_b32 exec_lo, exec_lo, s40
	s_waitcnt vmcnt(0)
	v_mul_f64 v[24:25], v[12:13], v[18:19]
	v_mov_b32_e32 v32, v31
	s_mov_b32 s40, 0
	s_delay_alu instid0(VALU_DEP_2)
	v_fma_f64 v[24:25], v[14:15], v[16:17], v[24:25]
	s_branch .LBB30_35
.LBB30_34:                              ;   in Loop: Header=BB30_35 Depth=3
	s_or_b32 exec_lo, exec_lo, s41
	s_xor_b32 s41, s42, -1
	s_delay_alu instid0(SALU_CYCLE_1) | instskip(NEXT) | instid1(SALU_CYCLE_1)
	s_and_b32 s41, exec_lo, s41
	s_or_b32 s40, s41, s40
	s_delay_alu instid0(SALU_CYCLE_1)
	s_and_not1_b32 exec_lo, exec_lo, s40
	s_cbranch_execz .LBB30_49
.LBB30_35:                              ;   Parent Loop BB30_14 Depth=1
                                        ;     Parent Loop BB30_17 Depth=2
                                        ; =>    This Loop Header: Depth=3
                                        ;         Child Loop BB30_41 Depth 4
                                        ;         Child Loop BB30_47 Depth 4
	s_delay_alu instid0(VALU_DEP_2)
	v_lshl_add_u32 v26, v32, 2, 0
	s_mov_b32 s41, exec_lo
                                        ; implicit-def: $sgpr42
	ds_load_b32 v27, v26
	s_waitcnt lgkmcnt(0)
	v_cmpx_ne_u32_e64 v27, v7
	s_xor_b32 s41, exec_lo, s41
	s_cbranch_execz .LBB30_45
; %bb.36:                               ;   in Loop: Header=BB30_35 Depth=3
	s_mov_b32 s43, exec_lo
                                        ; implicit-def: $sgpr42
	v_cmpx_ne_u32_e64 s3, v27
	s_xor_b32 s43, exec_lo, s43
; %bb.37:                               ;   in Loop: Header=BB30_35 Depth=3
	v_add_nc_u32_e32 v26, 1, v32
	s_mov_b32 s42, -1
	s_delay_alu instid0(VALU_DEP_1)
	v_and_b32_e32 v32, 0xff, v26
                                        ; implicit-def: $vgpr26
; %bb.38:                               ;   in Loop: Header=BB30_35 Depth=3
	s_and_not1_saveexec_b32 s43, s43
	s_cbranch_execz .LBB30_44
; %bb.39:                               ;   in Loop: Header=BB30_35 Depth=3
	v_mov_b32_e32 v27, s3
	s_mov_b32 s45, -1
	s_mov_b32 s44, exec_lo
	ds_cmpstore_rtn_b32 v27, v26, v7, v27
	s_waitcnt lgkmcnt(0)
	v_cmpx_eq_u32_e64 s3, v27
	s_cbranch_execz .LBB30_43
; %bb.40:                               ;   in Loop: Header=BB30_35 Depth=3
	v_mul_lo_u32 v27, v32, 28
	s_mov_b32 s45, 0
	s_delay_alu instid0(VALU_DEP_1)
	v_add_nc_u32_e32 v33, v26, v27
	ds_load_b64 v[26:27], v33 offset:1032
.LBB30_41:                              ;   Parent Loop BB30_14 Depth=1
                                        ;     Parent Loop BB30_17 Depth=2
                                        ;       Parent Loop BB30_35 Depth=3
                                        ; =>      This Inner Loop Header: Depth=4
	s_waitcnt lgkmcnt(0)
	v_add_f64 v[34:35], v[26:27], v[24:25]
	ds_cmpstore_rtn_b64 v[34:35], v33, v[34:35], v[26:27] offset:1032
	s_waitcnt lgkmcnt(0)
	v_cmp_eq_u64_e32 vcc_lo, v[34:35], v[26:27]
	v_dual_mov_b32 v26, v34 :: v_dual_mov_b32 v27, v35
	s_or_b32 s45, vcc_lo, s45
	s_delay_alu instid0(SALU_CYCLE_1)
	s_and_not1_b32 exec_lo, exec_lo, s45
	s_cbranch_execnz .LBB30_41
; %bb.42:                               ;   in Loop: Header=BB30_35 Depth=3
	s_or_b32 exec_lo, exec_lo, s45
	s_delay_alu instid0(SALU_CYCLE_1)
	s_xor_b32 s45, exec_lo, -1
.LBB30_43:                              ;   in Loop: Header=BB30_35 Depth=3
	s_or_b32 exec_lo, exec_lo, s44
	s_delay_alu instid0(SALU_CYCLE_1) | instskip(SKIP_1) | instid1(SALU_CYCLE_1)
	s_and_not1_b32 s42, s42, exec_lo
	s_and_b32 s44, s45, exec_lo
	s_or_b32 s42, s42, s44
.LBB30_44:                              ;   in Loop: Header=BB30_35 Depth=3
	s_or_b32 exec_lo, exec_lo, s43
	s_delay_alu instid0(SALU_CYCLE_1)
	s_and_b32 s42, s42, exec_lo
                                        ; implicit-def: $vgpr26
.LBB30_45:                              ;   in Loop: Header=BB30_35 Depth=3
	s_and_not1_saveexec_b32 s41, s41
	s_cbranch_execz .LBB30_34
; %bb.46:                               ;   in Loop: Header=BB30_35 Depth=3
	v_mul_lo_u32 v27, v32, 28
	s_mov_b32 s43, 0
	s_delay_alu instid0(VALU_DEP_1)
	v_add_nc_u32_e32 v33, v26, v27
	ds_load_b64 v[26:27], v33 offset:1032
.LBB30_47:                              ;   Parent Loop BB30_14 Depth=1
                                        ;     Parent Loop BB30_17 Depth=2
                                        ;       Parent Loop BB30_35 Depth=3
                                        ; =>      This Inner Loop Header: Depth=4
	s_waitcnt lgkmcnt(0)
	v_add_f64 v[34:35], v[26:27], v[24:25]
	ds_cmpstore_rtn_b64 v[34:35], v33, v[34:35], v[26:27] offset:1032
	s_waitcnt lgkmcnt(0)
	v_cmp_eq_u64_e32 vcc_lo, v[34:35], v[26:27]
	v_dual_mov_b32 v26, v34 :: v_dual_mov_b32 v27, v35
	s_or_b32 s43, vcc_lo, s43
	s_delay_alu instid0(SALU_CYCLE_1)
	s_and_not1_b32 exec_lo, exec_lo, s43
	s_cbranch_execnz .LBB30_47
; %bb.48:                               ;   in Loop: Header=BB30_35 Depth=3
	s_or_b32 exec_lo, exec_lo, s43
	s_delay_alu instid0(SALU_CYCLE_1)
	s_and_not1_b32 s42, s42, exec_lo
	s_branch .LBB30_34
.LBB30_49:                              ;   in Loop: Header=BB30_17 Depth=2
	s_or_b32 exec_lo, exec_lo, s40
	v_mul_f64 v[20:21], v[8:9], v[20:21]
	v_mov_b32_e32 v24, v31
	s_mov_b32 s40, 0
	s_delay_alu instid0(VALU_DEP_2)
	v_fma_f64 v[20:21], v[10:11], v[22:23], v[20:21]
	s_branch .LBB30_51
.LBB30_50:                              ;   in Loop: Header=BB30_51 Depth=3
	s_or_b32 exec_lo, exec_lo, s41
	s_xor_b32 s41, s42, -1
	s_delay_alu instid0(SALU_CYCLE_1) | instskip(NEXT) | instid1(SALU_CYCLE_1)
	s_and_b32 s41, exec_lo, s41
	s_or_b32 s40, s41, s40
	s_delay_alu instid0(SALU_CYCLE_1)
	s_and_not1_b32 exec_lo, exec_lo, s40
	s_cbranch_execz .LBB30_65
.LBB30_51:                              ;   Parent Loop BB30_14 Depth=1
                                        ;     Parent Loop BB30_17 Depth=2
                                        ; =>    This Loop Header: Depth=3
                                        ;         Child Loop BB30_57 Depth 4
                                        ;         Child Loop BB30_63 Depth 4
	s_delay_alu instid0(VALU_DEP_2)
	v_lshl_add_u32 v22, v24, 2, 0
	s_mov_b32 s41, exec_lo
                                        ; implicit-def: $sgpr42
	ds_load_b32 v23, v22
	s_waitcnt lgkmcnt(0)
	v_cmpx_ne_u32_e64 v23, v7
	s_xor_b32 s41, exec_lo, s41
	s_cbranch_execz .LBB30_61
; %bb.52:                               ;   in Loop: Header=BB30_51 Depth=3
	s_mov_b32 s43, exec_lo
                                        ; implicit-def: $sgpr42
	v_cmpx_ne_u32_e64 s3, v23
	s_xor_b32 s43, exec_lo, s43
; %bb.53:                               ;   in Loop: Header=BB30_51 Depth=3
	v_add_nc_u32_e32 v22, 1, v24
	s_mov_b32 s42, -1
	s_delay_alu instid0(VALU_DEP_1)
	v_and_b32_e32 v24, 0xff, v22
                                        ; implicit-def: $vgpr22
; %bb.54:                               ;   in Loop: Header=BB30_51 Depth=3
	s_and_not1_saveexec_b32 s43, s43
	s_cbranch_execz .LBB30_60
; %bb.55:                               ;   in Loop: Header=BB30_51 Depth=3
	v_mov_b32_e32 v23, s3
	s_mov_b32 s45, -1
	s_mov_b32 s44, exec_lo
	ds_cmpstore_rtn_b32 v23, v22, v7, v23
	s_waitcnt lgkmcnt(0)
	v_cmpx_eq_u32_e64 s3, v23
	s_cbranch_execz .LBB30_59
; %bb.56:                               ;   in Loop: Header=BB30_51 Depth=3
	v_mul_lo_u32 v23, v24, 28
	s_mov_b32 s45, 0
	s_delay_alu instid0(VALU_DEP_1)
	v_add_nc_u32_e32 v25, v22, v23
	ds_load_b64 v[22:23], v25 offset:1040
.LBB30_57:                              ;   Parent Loop BB30_14 Depth=1
                                        ;     Parent Loop BB30_17 Depth=2
                                        ;       Parent Loop BB30_51 Depth=3
                                        ; =>      This Inner Loop Header: Depth=4
	s_waitcnt lgkmcnt(0)
	v_add_f64 v[26:27], v[22:23], v[20:21]
	ds_cmpstore_rtn_b64 v[26:27], v25, v[26:27], v[22:23] offset:1040
	s_waitcnt lgkmcnt(0)
	v_cmp_eq_u64_e32 vcc_lo, v[26:27], v[22:23]
	v_dual_mov_b32 v22, v26 :: v_dual_mov_b32 v23, v27
	s_or_b32 s45, vcc_lo, s45
	s_delay_alu instid0(SALU_CYCLE_1)
	s_and_not1_b32 exec_lo, exec_lo, s45
	s_cbranch_execnz .LBB30_57
; %bb.58:                               ;   in Loop: Header=BB30_51 Depth=3
	s_or_b32 exec_lo, exec_lo, s45
	s_delay_alu instid0(SALU_CYCLE_1)
	s_xor_b32 s45, exec_lo, -1
.LBB30_59:                              ;   in Loop: Header=BB30_51 Depth=3
	s_or_b32 exec_lo, exec_lo, s44
	s_delay_alu instid0(SALU_CYCLE_1) | instskip(SKIP_1) | instid1(SALU_CYCLE_1)
	s_and_not1_b32 s42, s42, exec_lo
	s_and_b32 s44, s45, exec_lo
	s_or_b32 s42, s42, s44
.LBB30_60:                              ;   in Loop: Header=BB30_51 Depth=3
	s_or_b32 exec_lo, exec_lo, s43
	s_delay_alu instid0(SALU_CYCLE_1)
	s_and_b32 s42, s42, exec_lo
                                        ; implicit-def: $vgpr22
.LBB30_61:                              ;   in Loop: Header=BB30_51 Depth=3
	s_and_not1_saveexec_b32 s41, s41
	s_cbranch_execz .LBB30_50
; %bb.62:                               ;   in Loop: Header=BB30_51 Depth=3
	v_mul_lo_u32 v23, v24, 28
	s_mov_b32 s43, 0
	s_delay_alu instid0(VALU_DEP_1)
	v_add_nc_u32_e32 v25, v22, v23
	ds_load_b64 v[22:23], v25 offset:1040
.LBB30_63:                              ;   Parent Loop BB30_14 Depth=1
                                        ;     Parent Loop BB30_17 Depth=2
                                        ;       Parent Loop BB30_51 Depth=3
                                        ; =>      This Inner Loop Header: Depth=4
	s_waitcnt lgkmcnt(0)
	v_add_f64 v[26:27], v[22:23], v[20:21]
	ds_cmpstore_rtn_b64 v[26:27], v25, v[26:27], v[22:23] offset:1040
	s_waitcnt lgkmcnt(0)
	v_cmp_eq_u64_e32 vcc_lo, v[26:27], v[22:23]
	v_dual_mov_b32 v22, v26 :: v_dual_mov_b32 v23, v27
	s_or_b32 s43, vcc_lo, s43
	s_delay_alu instid0(SALU_CYCLE_1)
	s_and_not1_b32 exec_lo, exec_lo, s43
	s_cbranch_execnz .LBB30_63
; %bb.64:                               ;   in Loop: Header=BB30_51 Depth=3
	s_or_b32 exec_lo, exec_lo, s43
	s_delay_alu instid0(SALU_CYCLE_1)
	s_and_not1_b32 s42, s42, exec_lo
	s_branch .LBB30_50
.LBB30_65:                              ;   in Loop: Header=BB30_17 Depth=2
	s_or_b32 exec_lo, exec_lo, s40
	v_mul_f64 v[18:19], v[8:9], v[18:19]
	s_mov_b32 s40, 0
	s_delay_alu instid0(VALU_DEP_1)
	v_fma_f64 v[16:17], v[10:11], v[16:17], v[18:19]
	s_branch .LBB30_67
.LBB30_66:                              ;   in Loop: Header=BB30_67 Depth=3
	s_or_b32 exec_lo, exec_lo, s41
	s_xor_b32 s41, s42, -1
	s_delay_alu instid0(SALU_CYCLE_1) | instskip(NEXT) | instid1(SALU_CYCLE_1)
	s_and_b32 s41, exec_lo, s41
	s_or_b32 s40, s41, s40
	s_delay_alu instid0(SALU_CYCLE_1)
	s_and_not1_b32 exec_lo, exec_lo, s40
	s_cbranch_execz .LBB30_16
.LBB30_67:                              ;   Parent Loop BB30_14 Depth=1
                                        ;     Parent Loop BB30_17 Depth=2
                                        ; =>    This Loop Header: Depth=3
                                        ;         Child Loop BB30_73 Depth 4
                                        ;         Child Loop BB30_79 Depth 4
	v_lshl_add_u32 v18, v31, 2, 0
	s_mov_b32 s41, exec_lo
                                        ; implicit-def: $sgpr42
	ds_load_b32 v19, v18
	s_waitcnt lgkmcnt(0)
	v_cmpx_ne_u32_e64 v19, v7
	s_xor_b32 s41, exec_lo, s41
	s_cbranch_execz .LBB30_77
; %bb.68:                               ;   in Loop: Header=BB30_67 Depth=3
	s_mov_b32 s43, exec_lo
                                        ; implicit-def: $sgpr42
	v_cmpx_ne_u32_e64 s3, v19
	s_xor_b32 s43, exec_lo, s43
; %bb.69:                               ;   in Loop: Header=BB30_67 Depth=3
	v_add_nc_u32_e32 v18, 1, v31
	s_mov_b32 s42, -1
	s_delay_alu instid0(VALU_DEP_1)
	v_and_b32_e32 v31, 0xff, v18
                                        ; implicit-def: $vgpr18
; %bb.70:                               ;   in Loop: Header=BB30_67 Depth=3
	s_and_not1_saveexec_b32 s43, s43
	s_cbranch_execz .LBB30_76
; %bb.71:                               ;   in Loop: Header=BB30_67 Depth=3
	v_mov_b32_e32 v19, s3
	s_mov_b32 s45, -1
	s_mov_b32 s44, exec_lo
	ds_cmpstore_rtn_b32 v19, v18, v7, v19
	s_waitcnt lgkmcnt(0)
	v_cmpx_eq_u32_e64 s3, v19
	s_cbranch_execz .LBB30_75
; %bb.72:                               ;   in Loop: Header=BB30_67 Depth=3
	v_mul_lo_u32 v19, v31, 28
	s_mov_b32 s45, 0
	s_delay_alu instid0(VALU_DEP_1)
	v_add_nc_u32_e32 v20, v18, v19
	ds_load_b64 v[18:19], v20 offset:1048
.LBB30_73:                              ;   Parent Loop BB30_14 Depth=1
                                        ;     Parent Loop BB30_17 Depth=2
                                        ;       Parent Loop BB30_67 Depth=3
                                        ; =>      This Inner Loop Header: Depth=4
	s_waitcnt lgkmcnt(0)
	v_add_f64 v[21:22], v[18:19], v[16:17]
	ds_cmpstore_rtn_b64 v[21:22], v20, v[21:22], v[18:19] offset:1048
	s_waitcnt lgkmcnt(0)
	v_cmp_eq_u64_e32 vcc_lo, v[21:22], v[18:19]
	v_dual_mov_b32 v18, v21 :: v_dual_mov_b32 v19, v22
	s_or_b32 s45, vcc_lo, s45
	s_delay_alu instid0(SALU_CYCLE_1)
	s_and_not1_b32 exec_lo, exec_lo, s45
	s_cbranch_execnz .LBB30_73
; %bb.74:                               ;   in Loop: Header=BB30_67 Depth=3
	s_or_b32 exec_lo, exec_lo, s45
	s_delay_alu instid0(SALU_CYCLE_1)
	s_xor_b32 s45, exec_lo, -1
.LBB30_75:                              ;   in Loop: Header=BB30_67 Depth=3
	s_or_b32 exec_lo, exec_lo, s44
	s_delay_alu instid0(SALU_CYCLE_1) | instskip(SKIP_1) | instid1(SALU_CYCLE_1)
	s_and_not1_b32 s42, s42, exec_lo
	s_and_b32 s44, s45, exec_lo
	s_or_b32 s42, s42, s44
.LBB30_76:                              ;   in Loop: Header=BB30_67 Depth=3
	s_or_b32 exec_lo, exec_lo, s43
	s_delay_alu instid0(SALU_CYCLE_1)
	s_and_b32 s42, s42, exec_lo
                                        ; implicit-def: $vgpr18
.LBB30_77:                              ;   in Loop: Header=BB30_67 Depth=3
	s_and_not1_saveexec_b32 s41, s41
	s_cbranch_execz .LBB30_66
; %bb.78:                               ;   in Loop: Header=BB30_67 Depth=3
	v_mul_lo_u32 v19, v31, 28
	s_mov_b32 s43, 0
	s_delay_alu instid0(VALU_DEP_1)
	v_add_nc_u32_e32 v20, v18, v19
	ds_load_b64 v[18:19], v20 offset:1048
.LBB30_79:                              ;   Parent Loop BB30_14 Depth=1
                                        ;     Parent Loop BB30_17 Depth=2
                                        ;       Parent Loop BB30_67 Depth=3
                                        ; =>      This Inner Loop Header: Depth=4
	s_waitcnt lgkmcnt(0)
	v_add_f64 v[21:22], v[18:19], v[16:17]
	ds_cmpstore_rtn_b64 v[21:22], v20, v[21:22], v[18:19] offset:1048
	s_waitcnt lgkmcnt(0)
	v_cmp_eq_u64_e32 vcc_lo, v[21:22], v[18:19]
	v_dual_mov_b32 v18, v21 :: v_dual_mov_b32 v19, v22
	s_or_b32 s43, vcc_lo, s43
	s_delay_alu instid0(SALU_CYCLE_1)
	s_and_not1_b32 exec_lo, exec_lo, s43
	s_cbranch_execnz .LBB30_79
; %bb.80:                               ;   in Loop: Header=BB30_67 Depth=3
	s_or_b32 exec_lo, exec_lo, s43
	s_delay_alu instid0(SALU_CYCLE_1)
	s_and_not1_b32 s42, s42, exec_lo
	s_branch .LBB30_66
.LBB30_81:
	s_or_b32 exec_lo, exec_lo, s12
.LBB30_82:
	s_delay_alu instid0(SALU_CYCLE_1)
	s_and_not1_b32 vcc_lo, exec_lo, s33
	s_barrier
	buffer_gl0_inv
	s_cbranch_vccnz .LBB30_151
; %bb.83:
	s_lshl_b64 s[12:13], s[34:35], 2
	v_subrev_nc_u32_e32 v3, s23, v0
	s_add_u32 s4, s4, s12
	s_addc_u32 s5, s5, s13
	s_load_b64 s[4:5], s[4:5], 0x0
	s_waitcnt lgkmcnt(0)
	v_add_nc_u32_e32 v3, s4, v3
	s_sub_i32 s1, s5, s23
	s_mov_b32 s4, exec_lo
	s_delay_alu instid0(VALU_DEP_1)
	v_cmpx_gt_i32_e64 s1, v3
	s_cbranch_execz .LBB30_150
; %bb.84:
	s_cmp_eq_u32 s0, 0
	s_mov_b32 s5, 0
	s_cselect_b32 s12, 1, 2
	s_cselect_b32 s13, 2, 1
	s_branch .LBB30_86
.LBB30_85:                              ;   in Loop: Header=BB30_86 Depth=1
	s_or_b32 exec_lo, exec_lo, s14
	v_add_nc_u32_e32 v3, 0x100, v3
	s_delay_alu instid0(VALU_DEP_1) | instskip(SKIP_1) | instid1(SALU_CYCLE_1)
	v_cmp_le_i32_e32 vcc_lo, s1, v3
	s_or_b32 s5, vcc_lo, s5
	s_and_not1_b32 exec_lo, exec_lo, s5
	s_cbranch_execz .LBB30_150
.LBB30_86:                              ; =>This Loop Header: Depth=1
                                        ;     Child Loop BB30_88 Depth 2
                                        ;       Child Loop BB30_94 Depth 3
                                        ;       Child Loop BB30_100 Depth 3
                                        ;     Child Loop BB30_104 Depth 2
                                        ;       Child Loop BB30_110 Depth 3
                                        ;       Child Loop BB30_116 Depth 3
	;; [unrolled: 3-line block ×4, first 2 shown]
	v_lshlrev_b32_e32 v5, 2, v3
	v_ashrrev_i32_e32 v4, 31, v3
	s_mov_b32 s14, 0
	s_delay_alu instid0(VALU_DEP_2) | instskip(SKIP_1) | instid1(VALU_DEP_2)
	v_ashrrev_i32_e32 v6, 31, v5
	v_or_b32_e32 v8, s12, v5
	v_lshlrev_b64 v[6:7], 3, v[5:6]
	s_delay_alu instid0(VALU_DEP_2) | instskip(NEXT) | instid1(VALU_DEP_2)
	v_ashrrev_i32_e32 v9, 31, v8
	v_add_co_u32 v10, vcc_lo, s8, v6
	s_delay_alu instid0(VALU_DEP_3)
	v_add_co_ci_u32_e32 v11, vcc_lo, s9, v7, vcc_lo
	v_lshlrev_b64 v[6:7], 2, v[3:4]
	v_or_b32_e32 v4, s13, v5
	global_load_b64 v[12:13], v[10:11], off
	v_add_co_u32 v6, vcc_lo, s6, v6
	v_add_co_ci_u32_e32 v7, vcc_lo, s7, v7, vcc_lo
	v_ashrrev_i32_e32 v5, 31, v4
	global_load_b32 v14, v[6:7], off
	v_lshlrev_b64 v[6:7], 3, v[8:9]
	v_lshlrev_b64 v[4:5], 3, v[4:5]
	s_delay_alu instid0(VALU_DEP_1) | instskip(NEXT) | instid1(VALU_DEP_2)
	v_add_co_u32 v4, vcc_lo, s8, v4
	v_add_co_ci_u32_e32 v5, vcc_lo, s9, v5, vcc_lo
	s_delay_alu instid0(VALU_DEP_4)
	v_add_co_u32 v8, vcc_lo, s8, v6
	v_add_co_ci_u32_e32 v9, vcc_lo, s9, v7, vcc_lo
	s_clause 0x2
	global_load_b64 v[6:7], v[4:5], off
	global_load_b64 v[8:9], v[8:9], off
	global_load_b64 v[4:5], v[10:11], off offset:24
	s_waitcnt vmcnt(4)
	v_mul_f64 v[10:11], v[1:2], v[12:13]
	s_waitcnt vmcnt(3)
	v_subrev_nc_u32_e32 v14, s23, v14
	s_delay_alu instid0(VALU_DEP_1) | instskip(NEXT) | instid1(VALU_DEP_1)
	v_mul_lo_u32 v12, 0x89, v14
	v_and_b32_e32 v15, 0xff, v12
	s_delay_alu instid0(VALU_DEP_1)
	v_mov_b32_e32 v16, v15
	s_branch .LBB30_88
.LBB30_87:                              ;   in Loop: Header=BB30_88 Depth=2
	s_or_b32 exec_lo, exec_lo, s15
	s_xor_b32 s15, s16, -1
	s_delay_alu instid0(SALU_CYCLE_1) | instskip(NEXT) | instid1(SALU_CYCLE_1)
	s_and_b32 s15, exec_lo, s15
	s_or_b32 s14, s15, s14
	s_delay_alu instid0(SALU_CYCLE_1)
	s_and_not1_b32 exec_lo, exec_lo, s14
	s_cbranch_execz .LBB30_102
.LBB30_88:                              ;   Parent Loop BB30_86 Depth=1
                                        ; =>  This Loop Header: Depth=2
                                        ;       Child Loop BB30_94 Depth 3
                                        ;       Child Loop BB30_100 Depth 3
	s_delay_alu instid0(VALU_DEP_1)
	v_lshl_add_u32 v12, v16, 2, 0
	s_mov_b32 s15, exec_lo
                                        ; implicit-def: $sgpr16
	ds_load_b32 v13, v12
	s_waitcnt lgkmcnt(0)
	v_cmpx_ne_u32_e64 v13, v14
	s_xor_b32 s15, exec_lo, s15
	s_cbranch_execz .LBB30_98
; %bb.89:                               ;   in Loop: Header=BB30_88 Depth=2
	s_mov_b32 s17, exec_lo
                                        ; implicit-def: $sgpr16
	v_cmpx_ne_u32_e64 s3, v13
	s_xor_b32 s17, exec_lo, s17
; %bb.90:                               ;   in Loop: Header=BB30_88 Depth=2
	v_add_nc_u32_e32 v12, 1, v16
	s_mov_b32 s16, -1
	s_delay_alu instid0(VALU_DEP_1)
	v_and_b32_e32 v16, 0xff, v12
                                        ; implicit-def: $vgpr12
; %bb.91:                               ;   in Loop: Header=BB30_88 Depth=2
	s_and_not1_saveexec_b32 s17, s17
	s_cbranch_execz .LBB30_97
; %bb.92:                               ;   in Loop: Header=BB30_88 Depth=2
	v_mov_b32_e32 v13, s3
	s_mov_b32 s19, -1
	s_mov_b32 s18, exec_lo
	ds_cmpstore_rtn_b32 v13, v12, v14, v13
	s_waitcnt lgkmcnt(0)
	v_cmpx_eq_u32_e64 s3, v13
	s_cbranch_execz .LBB30_96
; %bb.93:                               ;   in Loop: Header=BB30_88 Depth=2
	v_mul_lo_u32 v13, v16, 28
	s_mov_b32 s19, 0
	s_delay_alu instid0(VALU_DEP_1)
	v_add_nc_u32_e32 v17, v12, v13
	ds_load_b64 v[12:13], v17 offset:1024
.LBB30_94:                              ;   Parent Loop BB30_86 Depth=1
                                        ;     Parent Loop BB30_88 Depth=2
                                        ; =>    This Inner Loop Header: Depth=3
	s_waitcnt lgkmcnt(0)
	v_add_f64 v[18:19], v[12:13], v[10:11]
	ds_cmpstore_rtn_b64 v[18:19], v17, v[18:19], v[12:13] offset:1024
	s_waitcnt lgkmcnt(0)
	v_cmp_eq_u64_e32 vcc_lo, v[18:19], v[12:13]
	v_dual_mov_b32 v12, v18 :: v_dual_mov_b32 v13, v19
	s_or_b32 s19, vcc_lo, s19
	s_delay_alu instid0(SALU_CYCLE_1)
	s_and_not1_b32 exec_lo, exec_lo, s19
	s_cbranch_execnz .LBB30_94
; %bb.95:                               ;   in Loop: Header=BB30_88 Depth=2
	s_or_b32 exec_lo, exec_lo, s19
	s_delay_alu instid0(SALU_CYCLE_1)
	s_xor_b32 s19, exec_lo, -1
.LBB30_96:                              ;   in Loop: Header=BB30_88 Depth=2
	s_or_b32 exec_lo, exec_lo, s18
	s_delay_alu instid0(SALU_CYCLE_1) | instskip(SKIP_1) | instid1(SALU_CYCLE_1)
	s_and_not1_b32 s16, s16, exec_lo
	s_and_b32 s18, s19, exec_lo
	s_or_b32 s16, s16, s18
.LBB30_97:                              ;   in Loop: Header=BB30_88 Depth=2
	s_or_b32 exec_lo, exec_lo, s17
	s_delay_alu instid0(SALU_CYCLE_1)
	s_and_b32 s16, s16, exec_lo
                                        ; implicit-def: $vgpr12
.LBB30_98:                              ;   in Loop: Header=BB30_88 Depth=2
	s_and_not1_saveexec_b32 s15, s15
	s_cbranch_execz .LBB30_87
; %bb.99:                               ;   in Loop: Header=BB30_88 Depth=2
	v_mul_lo_u32 v13, v16, 28
	s_mov_b32 s17, 0
	s_delay_alu instid0(VALU_DEP_1)
	v_add_nc_u32_e32 v17, v12, v13
	ds_load_b64 v[12:13], v17 offset:1024
.LBB30_100:                             ;   Parent Loop BB30_86 Depth=1
                                        ;     Parent Loop BB30_88 Depth=2
                                        ; =>    This Inner Loop Header: Depth=3
	s_waitcnt lgkmcnt(0)
	v_add_f64 v[18:19], v[12:13], v[10:11]
	ds_cmpstore_rtn_b64 v[18:19], v17, v[18:19], v[12:13] offset:1024
	s_waitcnt lgkmcnt(0)
	v_cmp_eq_u64_e32 vcc_lo, v[18:19], v[12:13]
	v_dual_mov_b32 v12, v18 :: v_dual_mov_b32 v13, v19
	s_or_b32 s17, vcc_lo, s17
	s_delay_alu instid0(SALU_CYCLE_1)
	s_and_not1_b32 exec_lo, exec_lo, s17
	s_cbranch_execnz .LBB30_100
; %bb.101:                              ;   in Loop: Header=BB30_88 Depth=2
	s_or_b32 exec_lo, exec_lo, s17
	s_delay_alu instid0(SALU_CYCLE_1)
	s_and_not1_b32 s16, s16, exec_lo
	s_branch .LBB30_87
.LBB30_102:                             ;   in Loop: Header=BB30_86 Depth=1
	s_or_b32 exec_lo, exec_lo, s14
	s_waitcnt vmcnt(1)
	v_mul_f64 v[8:9], v[1:2], v[8:9]
	v_mov_b32_e32 v12, v15
	s_mov_b32 s14, 0
	s_branch .LBB30_104
.LBB30_103:                             ;   in Loop: Header=BB30_104 Depth=2
	s_or_b32 exec_lo, exec_lo, s15
	s_xor_b32 s15, s16, -1
	s_delay_alu instid0(SALU_CYCLE_1) | instskip(NEXT) | instid1(SALU_CYCLE_1)
	s_and_b32 s15, exec_lo, s15
	s_or_b32 s14, s15, s14
	s_delay_alu instid0(SALU_CYCLE_1)
	s_and_not1_b32 exec_lo, exec_lo, s14
	s_cbranch_execz .LBB30_118
.LBB30_104:                             ;   Parent Loop BB30_86 Depth=1
                                        ; =>  This Loop Header: Depth=2
                                        ;       Child Loop BB30_110 Depth 3
                                        ;       Child Loop BB30_116 Depth 3
	s_delay_alu instid0(VALU_DEP_1)
	v_lshl_add_u32 v10, v12, 2, 0
	s_mov_b32 s15, exec_lo
                                        ; implicit-def: $sgpr16
	ds_load_b32 v11, v10
	s_waitcnt lgkmcnt(0)
	v_cmpx_ne_u32_e64 v11, v14
	s_xor_b32 s15, exec_lo, s15
	s_cbranch_execz .LBB30_114
; %bb.105:                              ;   in Loop: Header=BB30_104 Depth=2
	s_mov_b32 s17, exec_lo
                                        ; implicit-def: $sgpr16
	v_cmpx_ne_u32_e64 s3, v11
	s_xor_b32 s17, exec_lo, s17
; %bb.106:                              ;   in Loop: Header=BB30_104 Depth=2
	v_add_nc_u32_e32 v10, 1, v12
	s_mov_b32 s16, -1
	s_delay_alu instid0(VALU_DEP_1)
	v_and_b32_e32 v12, 0xff, v10
                                        ; implicit-def: $vgpr10
; %bb.107:                              ;   in Loop: Header=BB30_104 Depth=2
	s_and_not1_saveexec_b32 s17, s17
	s_cbranch_execz .LBB30_113
; %bb.108:                              ;   in Loop: Header=BB30_104 Depth=2
	v_mov_b32_e32 v11, s3
	s_mov_b32 s19, -1
	s_mov_b32 s18, exec_lo
	ds_cmpstore_rtn_b32 v11, v10, v14, v11
	s_waitcnt lgkmcnt(0)
	v_cmpx_eq_u32_e64 s3, v11
	s_cbranch_execz .LBB30_112
; %bb.109:                              ;   in Loop: Header=BB30_104 Depth=2
	v_mul_lo_u32 v11, v12, 28
	s_mov_b32 s19, 0
	s_delay_alu instid0(VALU_DEP_1)
	v_add_nc_u32_e32 v13, v10, v11
	ds_load_b64 v[10:11], v13 offset:1032
.LBB30_110:                             ;   Parent Loop BB30_86 Depth=1
                                        ;     Parent Loop BB30_104 Depth=2
                                        ; =>    This Inner Loop Header: Depth=3
	s_waitcnt lgkmcnt(0)
	v_add_f64 v[16:17], v[10:11], v[8:9]
	ds_cmpstore_rtn_b64 v[16:17], v13, v[16:17], v[10:11] offset:1032
	s_waitcnt lgkmcnt(0)
	v_cmp_eq_u64_e32 vcc_lo, v[16:17], v[10:11]
	v_dual_mov_b32 v10, v16 :: v_dual_mov_b32 v11, v17
	s_or_b32 s19, vcc_lo, s19
	s_delay_alu instid0(SALU_CYCLE_1)
	s_and_not1_b32 exec_lo, exec_lo, s19
	s_cbranch_execnz .LBB30_110
; %bb.111:                              ;   in Loop: Header=BB30_104 Depth=2
	s_or_b32 exec_lo, exec_lo, s19
	s_delay_alu instid0(SALU_CYCLE_1)
	s_xor_b32 s19, exec_lo, -1
.LBB30_112:                             ;   in Loop: Header=BB30_104 Depth=2
	s_or_b32 exec_lo, exec_lo, s18
	s_delay_alu instid0(SALU_CYCLE_1) | instskip(SKIP_1) | instid1(SALU_CYCLE_1)
	s_and_not1_b32 s16, s16, exec_lo
	s_and_b32 s18, s19, exec_lo
	s_or_b32 s16, s16, s18
.LBB30_113:                             ;   in Loop: Header=BB30_104 Depth=2
	s_or_b32 exec_lo, exec_lo, s17
	s_delay_alu instid0(SALU_CYCLE_1)
	s_and_b32 s16, s16, exec_lo
                                        ; implicit-def: $vgpr10
.LBB30_114:                             ;   in Loop: Header=BB30_104 Depth=2
	s_and_not1_saveexec_b32 s15, s15
	s_cbranch_execz .LBB30_103
; %bb.115:                              ;   in Loop: Header=BB30_104 Depth=2
	v_mul_lo_u32 v11, v12, 28
	s_mov_b32 s17, 0
	s_delay_alu instid0(VALU_DEP_1)
	v_add_nc_u32_e32 v13, v10, v11
	ds_load_b64 v[10:11], v13 offset:1032
.LBB30_116:                             ;   Parent Loop BB30_86 Depth=1
                                        ;     Parent Loop BB30_104 Depth=2
                                        ; =>    This Inner Loop Header: Depth=3
	s_waitcnt lgkmcnt(0)
	v_add_f64 v[16:17], v[10:11], v[8:9]
	ds_cmpstore_rtn_b64 v[16:17], v13, v[16:17], v[10:11] offset:1032
	s_waitcnt lgkmcnt(0)
	v_cmp_eq_u64_e32 vcc_lo, v[16:17], v[10:11]
	v_dual_mov_b32 v10, v16 :: v_dual_mov_b32 v11, v17
	s_or_b32 s17, vcc_lo, s17
	s_delay_alu instid0(SALU_CYCLE_1)
	s_and_not1_b32 exec_lo, exec_lo, s17
	s_cbranch_execnz .LBB30_116
; %bb.117:                              ;   in Loop: Header=BB30_104 Depth=2
	s_or_b32 exec_lo, exec_lo, s17
	s_delay_alu instid0(SALU_CYCLE_1)
	s_and_not1_b32 s16, s16, exec_lo
	s_branch .LBB30_103
.LBB30_118:                             ;   in Loop: Header=BB30_86 Depth=1
	s_or_b32 exec_lo, exec_lo, s14
	v_mul_f64 v[6:7], v[1:2], v[6:7]
	v_mov_b32_e32 v10, v15
	s_mov_b32 s14, 0
	s_branch .LBB30_120
.LBB30_119:                             ;   in Loop: Header=BB30_120 Depth=2
	s_or_b32 exec_lo, exec_lo, s15
	s_xor_b32 s15, s16, -1
	s_delay_alu instid0(SALU_CYCLE_1) | instskip(NEXT) | instid1(SALU_CYCLE_1)
	s_and_b32 s15, exec_lo, s15
	s_or_b32 s14, s15, s14
	s_delay_alu instid0(SALU_CYCLE_1)
	s_and_not1_b32 exec_lo, exec_lo, s14
	s_cbranch_execz .LBB30_134
.LBB30_120:                             ;   Parent Loop BB30_86 Depth=1
                                        ; =>  This Loop Header: Depth=2
                                        ;       Child Loop BB30_126 Depth 3
                                        ;       Child Loop BB30_132 Depth 3
	s_delay_alu instid0(VALU_DEP_1)
	v_lshl_add_u32 v8, v10, 2, 0
	s_mov_b32 s15, exec_lo
                                        ; implicit-def: $sgpr16
	ds_load_b32 v9, v8
	s_waitcnt lgkmcnt(0)
	v_cmpx_ne_u32_e64 v9, v14
	s_xor_b32 s15, exec_lo, s15
	s_cbranch_execz .LBB30_130
; %bb.121:                              ;   in Loop: Header=BB30_120 Depth=2
	s_mov_b32 s17, exec_lo
                                        ; implicit-def: $sgpr16
	v_cmpx_ne_u32_e64 s3, v9
	s_xor_b32 s17, exec_lo, s17
; %bb.122:                              ;   in Loop: Header=BB30_120 Depth=2
	v_add_nc_u32_e32 v8, 1, v10
	s_mov_b32 s16, -1
	s_delay_alu instid0(VALU_DEP_1)
	v_and_b32_e32 v10, 0xff, v8
                                        ; implicit-def: $vgpr8
; %bb.123:                              ;   in Loop: Header=BB30_120 Depth=2
	s_and_not1_saveexec_b32 s17, s17
	s_cbranch_execz .LBB30_129
; %bb.124:                              ;   in Loop: Header=BB30_120 Depth=2
	v_mov_b32_e32 v9, s3
	s_mov_b32 s19, -1
	s_mov_b32 s18, exec_lo
	ds_cmpstore_rtn_b32 v9, v8, v14, v9
	s_waitcnt lgkmcnt(0)
	v_cmpx_eq_u32_e64 s3, v9
	s_cbranch_execz .LBB30_128
; %bb.125:                              ;   in Loop: Header=BB30_120 Depth=2
	v_mul_lo_u32 v9, v10, 28
	s_mov_b32 s19, 0
	s_delay_alu instid0(VALU_DEP_1)
	v_add_nc_u32_e32 v11, v8, v9
	ds_load_b64 v[8:9], v11 offset:1040
.LBB30_126:                             ;   Parent Loop BB30_86 Depth=1
                                        ;     Parent Loop BB30_120 Depth=2
                                        ; =>    This Inner Loop Header: Depth=3
	s_waitcnt lgkmcnt(0)
	v_add_f64 v[12:13], v[8:9], v[6:7]
	ds_cmpstore_rtn_b64 v[12:13], v11, v[12:13], v[8:9] offset:1040
	s_waitcnt lgkmcnt(0)
	v_cmp_eq_u64_e32 vcc_lo, v[12:13], v[8:9]
	v_dual_mov_b32 v8, v12 :: v_dual_mov_b32 v9, v13
	s_or_b32 s19, vcc_lo, s19
	s_delay_alu instid0(SALU_CYCLE_1)
	s_and_not1_b32 exec_lo, exec_lo, s19
	s_cbranch_execnz .LBB30_126
; %bb.127:                              ;   in Loop: Header=BB30_120 Depth=2
	s_or_b32 exec_lo, exec_lo, s19
	s_delay_alu instid0(SALU_CYCLE_1)
	s_xor_b32 s19, exec_lo, -1
.LBB30_128:                             ;   in Loop: Header=BB30_120 Depth=2
	s_or_b32 exec_lo, exec_lo, s18
	s_delay_alu instid0(SALU_CYCLE_1) | instskip(SKIP_1) | instid1(SALU_CYCLE_1)
	s_and_not1_b32 s16, s16, exec_lo
	s_and_b32 s18, s19, exec_lo
	s_or_b32 s16, s16, s18
.LBB30_129:                             ;   in Loop: Header=BB30_120 Depth=2
	s_or_b32 exec_lo, exec_lo, s17
	s_delay_alu instid0(SALU_CYCLE_1)
	s_and_b32 s16, s16, exec_lo
                                        ; implicit-def: $vgpr8
.LBB30_130:                             ;   in Loop: Header=BB30_120 Depth=2
	s_and_not1_saveexec_b32 s15, s15
	s_cbranch_execz .LBB30_119
; %bb.131:                              ;   in Loop: Header=BB30_120 Depth=2
	v_mul_lo_u32 v9, v10, 28
	s_mov_b32 s17, 0
	s_delay_alu instid0(VALU_DEP_1)
	v_add_nc_u32_e32 v11, v8, v9
	ds_load_b64 v[8:9], v11 offset:1040
.LBB30_132:                             ;   Parent Loop BB30_86 Depth=1
                                        ;     Parent Loop BB30_120 Depth=2
                                        ; =>    This Inner Loop Header: Depth=3
	s_waitcnt lgkmcnt(0)
	v_add_f64 v[12:13], v[8:9], v[6:7]
	ds_cmpstore_rtn_b64 v[12:13], v11, v[12:13], v[8:9] offset:1040
	s_waitcnt lgkmcnt(0)
	v_cmp_eq_u64_e32 vcc_lo, v[12:13], v[8:9]
	v_dual_mov_b32 v8, v12 :: v_dual_mov_b32 v9, v13
	s_or_b32 s17, vcc_lo, s17
	s_delay_alu instid0(SALU_CYCLE_1)
	s_and_not1_b32 exec_lo, exec_lo, s17
	s_cbranch_execnz .LBB30_132
; %bb.133:                              ;   in Loop: Header=BB30_120 Depth=2
	s_or_b32 exec_lo, exec_lo, s17
	s_delay_alu instid0(SALU_CYCLE_1)
	s_and_not1_b32 s16, s16, exec_lo
	s_branch .LBB30_119
.LBB30_134:                             ;   in Loop: Header=BB30_86 Depth=1
	s_or_b32 exec_lo, exec_lo, s14
	s_waitcnt vmcnt(0)
	v_mul_f64 v[4:5], v[1:2], v[4:5]
	s_mov_b32 s14, 0
	s_branch .LBB30_136
.LBB30_135:                             ;   in Loop: Header=BB30_136 Depth=2
	s_or_b32 exec_lo, exec_lo, s15
	s_xor_b32 s15, s16, -1
	s_delay_alu instid0(SALU_CYCLE_1) | instskip(NEXT) | instid1(SALU_CYCLE_1)
	s_and_b32 s15, exec_lo, s15
	s_or_b32 s14, s15, s14
	s_delay_alu instid0(SALU_CYCLE_1)
	s_and_not1_b32 exec_lo, exec_lo, s14
	s_cbranch_execz .LBB30_85
.LBB30_136:                             ;   Parent Loop BB30_86 Depth=1
                                        ; =>  This Loop Header: Depth=2
                                        ;       Child Loop BB30_142 Depth 3
                                        ;       Child Loop BB30_148 Depth 3
	v_lshl_add_u32 v6, v15, 2, 0
	s_mov_b32 s15, exec_lo
                                        ; implicit-def: $sgpr16
	ds_load_b32 v7, v6
	s_waitcnt lgkmcnt(0)
	v_cmpx_ne_u32_e64 v7, v14
	s_xor_b32 s15, exec_lo, s15
	s_cbranch_execz .LBB30_146
; %bb.137:                              ;   in Loop: Header=BB30_136 Depth=2
	s_mov_b32 s17, exec_lo
                                        ; implicit-def: $sgpr16
	v_cmpx_ne_u32_e64 s3, v7
	s_xor_b32 s17, exec_lo, s17
; %bb.138:                              ;   in Loop: Header=BB30_136 Depth=2
	v_add_nc_u32_e32 v6, 1, v15
	s_mov_b32 s16, -1
	s_delay_alu instid0(VALU_DEP_1)
	v_and_b32_e32 v15, 0xff, v6
                                        ; implicit-def: $vgpr6
; %bb.139:                              ;   in Loop: Header=BB30_136 Depth=2
	s_and_not1_saveexec_b32 s17, s17
	s_cbranch_execz .LBB30_145
; %bb.140:                              ;   in Loop: Header=BB30_136 Depth=2
	v_mov_b32_e32 v7, s3
	s_mov_b32 s19, -1
	s_mov_b32 s18, exec_lo
	ds_cmpstore_rtn_b32 v7, v6, v14, v7
	s_waitcnt lgkmcnt(0)
	v_cmpx_eq_u32_e64 s3, v7
	s_cbranch_execz .LBB30_144
; %bb.141:                              ;   in Loop: Header=BB30_136 Depth=2
	v_mul_lo_u32 v7, v15, 28
	s_mov_b32 s19, 0
	s_delay_alu instid0(VALU_DEP_1)
	v_add_nc_u32_e32 v8, v6, v7
	ds_load_b64 v[6:7], v8 offset:1048
.LBB30_142:                             ;   Parent Loop BB30_86 Depth=1
                                        ;     Parent Loop BB30_136 Depth=2
                                        ; =>    This Inner Loop Header: Depth=3
	s_waitcnt lgkmcnt(0)
	v_add_f64 v[9:10], v[6:7], v[4:5]
	ds_cmpstore_rtn_b64 v[9:10], v8, v[9:10], v[6:7] offset:1048
	s_waitcnt lgkmcnt(0)
	v_cmp_eq_u64_e32 vcc_lo, v[9:10], v[6:7]
	v_dual_mov_b32 v6, v9 :: v_dual_mov_b32 v7, v10
	s_or_b32 s19, vcc_lo, s19
	s_delay_alu instid0(SALU_CYCLE_1)
	s_and_not1_b32 exec_lo, exec_lo, s19
	s_cbranch_execnz .LBB30_142
; %bb.143:                              ;   in Loop: Header=BB30_136 Depth=2
	s_or_b32 exec_lo, exec_lo, s19
	s_delay_alu instid0(SALU_CYCLE_1)
	s_xor_b32 s19, exec_lo, -1
.LBB30_144:                             ;   in Loop: Header=BB30_136 Depth=2
	s_or_b32 exec_lo, exec_lo, s18
	s_delay_alu instid0(SALU_CYCLE_1) | instskip(SKIP_1) | instid1(SALU_CYCLE_1)
	s_and_not1_b32 s16, s16, exec_lo
	s_and_b32 s18, s19, exec_lo
	s_or_b32 s16, s16, s18
.LBB30_145:                             ;   in Loop: Header=BB30_136 Depth=2
	s_or_b32 exec_lo, exec_lo, s17
	s_delay_alu instid0(SALU_CYCLE_1)
	s_and_b32 s16, s16, exec_lo
                                        ; implicit-def: $vgpr6
.LBB30_146:                             ;   in Loop: Header=BB30_136 Depth=2
	s_and_not1_saveexec_b32 s15, s15
	s_cbranch_execz .LBB30_135
; %bb.147:                              ;   in Loop: Header=BB30_136 Depth=2
	v_mul_lo_u32 v7, v15, 28
	s_mov_b32 s17, 0
	s_delay_alu instid0(VALU_DEP_1)
	v_add_nc_u32_e32 v8, v6, v7
	ds_load_b64 v[6:7], v8 offset:1048
.LBB30_148:                             ;   Parent Loop BB30_86 Depth=1
                                        ;     Parent Loop BB30_136 Depth=2
                                        ; =>    This Inner Loop Header: Depth=3
	s_waitcnt lgkmcnt(0)
	v_add_f64 v[9:10], v[6:7], v[4:5]
	ds_cmpstore_rtn_b64 v[9:10], v8, v[9:10], v[6:7] offset:1048
	s_waitcnt lgkmcnt(0)
	v_cmp_eq_u64_e32 vcc_lo, v[9:10], v[6:7]
	v_dual_mov_b32 v6, v9 :: v_dual_mov_b32 v7, v10
	s_or_b32 s17, vcc_lo, s17
	s_delay_alu instid0(SALU_CYCLE_1)
	s_and_not1_b32 exec_lo, exec_lo, s17
	s_cbranch_execnz .LBB30_148
; %bb.149:                              ;   in Loop: Header=BB30_136 Depth=2
	s_or_b32 exec_lo, exec_lo, s17
	s_delay_alu instid0(SALU_CYCLE_1)
	s_and_not1_b32 s16, s16, exec_lo
	s_branch .LBB30_135
.LBB30_150:
	s_or_b32 exec_lo, exec_lo, s4
.LBB30_151:
	s_barrier
	buffer_gl0_inv
	s_and_saveexec_b32 s1, s2
	s_cbranch_execz .LBB30_156
; %bb.152:
	ds_load_b32 v3, v28
	s_mov_b32 s1, 0
	s_waitcnt lgkmcnt(0)
	v_cmp_gt_i32_e32 vcc_lo, s3, v3
	s_and_b32 exec_lo, exec_lo, vcc_lo
	s_cbranch_execz .LBB30_156
; %bb.153:
	s_lshl_b64 s[2:3], s[34:35], 2
	s_delay_alu instid0(SALU_CYCLE_1) | instskip(SKIP_4) | instid1(SALU_CYCLE_1)
	s_add_u32 s2, s10, s2
	s_addc_u32 s3, s11, s3
	s_load_b32 s2, s[2:3], 0x0
	s_waitcnt lgkmcnt(0)
	s_sub_i32 s2, s2, s22
	v_mov_b32_e32 v1, s2
.LBB30_154:                             ; =>This Inner Loop Header: Depth=1
	s_add_i32 s2, s1, 0
	s_add_i32 s1, s1, 64
	v_mov_b32_e32 v2, s2
	s_cmpk_lg_i32 s1, 0x400
	ds_load_2addr_b32 v[4:5], v2 offset1:1
	ds_load_2addr_b32 v[6:7], v2 offset0:2 offset1:3
	ds_load_2addr_b32 v[8:9], v2 offset0:4 offset1:5
	;; [unrolled: 1-line block ×7, first 2 shown]
	s_waitcnt lgkmcnt(7)
	v_cmp_gt_i32_e32 vcc_lo, v3, v4
	v_cndmask_b32_e64 v2, 0, 1, vcc_lo
	s_waitcnt lgkmcnt(6)
	v_cmp_gt_i32_e32 vcc_lo, v3, v6
	v_cndmask_b32_e64 v4, 0, 1, vcc_lo
	v_cmp_gt_i32_e32 vcc_lo, v3, v5
	v_add_co_ci_u32_e32 v1, vcc_lo, v1, v2, vcc_lo
	s_waitcnt lgkmcnt(5)
	v_cmp_gt_i32_e32 vcc_lo, v3, v8
	v_cndmask_b32_e64 v2, 0, 1, vcc_lo
	v_cmp_gt_i32_e32 vcc_lo, v3, v7
	v_add_co_ci_u32_e32 v1, vcc_lo, v1, v4, vcc_lo
	;; [unrolled: 5-line block ×7, first 2 shown]
	v_cmp_gt_i32_e32 vcc_lo, v3, v19
	s_delay_alu instid0(VALU_DEP_2)
	v_add_co_ci_u32_e32 v1, vcc_lo, v1, v4, vcc_lo
	s_cbranch_scc1 .LBB30_154
; %bb.155:
	v_lshlrev_b32_e32 v2, 2, v0
	s_cmp_eq_u32 s0, 0
	v_lshlrev_b32_e32 v0, 5, v0
	s_cselect_b32 s0, 2, 1
	s_cselect_b32 s1, 1, 2
	v_or_b32_e32 v4, s0, v2
	v_or_b32_e32 v5, s1, v2
	v_add_nc_u32_e32 v6, 0, v0
	v_add3_u32 v0, 0, 0x400, v0
	v_lshlrev_b32_e32 v12, 2, v1
	v_lshl_add_u32 v7, v4, 3, 0
	v_lshl_add_u32 v10, v5, 3, 0
	v_ashrrev_i32_e32 v2, 31, v1
	v_add_nc_u32_e32 v14, s22, v3
	ds_load_b64 v[4:5], v6 offset:1024
	ds_load_b64 v[8:9], v7 offset:1024
	;; [unrolled: 1-line block ×4, first 2 shown]
	v_ashrrev_i32_e32 v13, 31, v12
	v_lshlrev_b64 v[0:1], 2, v[1:2]
	s_delay_alu instid0(VALU_DEP_2) | instskip(NEXT) | instid1(VALU_DEP_2)
	v_lshlrev_b64 v[2:3], 3, v[12:13]
	v_add_co_u32 v0, vcc_lo, s24, v0
	s_delay_alu instid0(VALU_DEP_3) | instskip(NEXT) | instid1(VALU_DEP_3)
	v_add_co_ci_u32_e32 v1, vcc_lo, s25, v1, vcc_lo
	v_add_co_u32 v2, vcc_lo, s26, v2
	s_delay_alu instid0(VALU_DEP_4)
	v_add_co_ci_u32_e32 v3, vcc_lo, s27, v3, vcc_lo
	global_store_b32 v[0:1], v14, off
	s_waitcnt lgkmcnt(1)
	global_store_b128 v[2:3], v[4:7], off
	s_waitcnt lgkmcnt(0)
	global_store_b128 v[2:3], v[8:11], off offset:16
.LBB30_156:
	s_nop 0
	s_sendmsg sendmsg(MSG_DEALLOC_VGPRS)
	s_endpgm
	.section	.rodata,"a",@progbits
	.p2align	6, 0x0
	.amdhsa_kernel _ZN9rocsparseL30bsrgemm_fill_block_per_row_2x2ILj256ELj16ELj256ELj137EiidEEv20rocsparse_direction_T4_S2_PKS2_S4_NS_24const_host_device_scalarIT5_EEPKT3_S4_PKS6_SA_S4_SC_S7_SA_S4_SC_SA_PS2_PS6_21rocsparse_index_base_SF_SF_SF_bbb
		.amdhsa_group_segment_fixed_size 0
		.amdhsa_private_segment_fixed_size 0
		.amdhsa_kernarg_size 164
		.amdhsa_user_sgpr_count 15
		.amdhsa_user_sgpr_dispatch_ptr 0
		.amdhsa_user_sgpr_queue_ptr 0
		.amdhsa_user_sgpr_kernarg_segment_ptr 1
		.amdhsa_user_sgpr_dispatch_id 0
		.amdhsa_user_sgpr_private_segment_size 0
		.amdhsa_wavefront_size32 1
		.amdhsa_uses_dynamic_stack 0
		.amdhsa_enable_private_segment 0
		.amdhsa_system_sgpr_workgroup_id_x 1
		.amdhsa_system_sgpr_workgroup_id_y 0
		.amdhsa_system_sgpr_workgroup_id_z 0
		.amdhsa_system_sgpr_workgroup_info 0
		.amdhsa_system_vgpr_workitem_id 0
		.amdhsa_next_free_vgpr 36
		.amdhsa_next_free_sgpr 46
		.amdhsa_reserve_vcc 1
		.amdhsa_float_round_mode_32 0
		.amdhsa_float_round_mode_16_64 0
		.amdhsa_float_denorm_mode_32 3
		.amdhsa_float_denorm_mode_16_64 3
		.amdhsa_dx10_clamp 1
		.amdhsa_ieee_mode 1
		.amdhsa_fp16_overflow 0
		.amdhsa_workgroup_processor_mode 1
		.amdhsa_memory_ordered 1
		.amdhsa_forward_progress 0
		.amdhsa_shared_vgpr_count 0
		.amdhsa_exception_fp_ieee_invalid_op 0
		.amdhsa_exception_fp_denorm_src 0
		.amdhsa_exception_fp_ieee_div_zero 0
		.amdhsa_exception_fp_ieee_overflow 0
		.amdhsa_exception_fp_ieee_underflow 0
		.amdhsa_exception_fp_ieee_inexact 0
		.amdhsa_exception_int_div_zero 0
	.end_amdhsa_kernel
	.section	.text._ZN9rocsparseL30bsrgemm_fill_block_per_row_2x2ILj256ELj16ELj256ELj137EiidEEv20rocsparse_direction_T4_S2_PKS2_S4_NS_24const_host_device_scalarIT5_EEPKT3_S4_PKS6_SA_S4_SC_S7_SA_S4_SC_SA_PS2_PS6_21rocsparse_index_base_SF_SF_SF_bbb,"axG",@progbits,_ZN9rocsparseL30bsrgemm_fill_block_per_row_2x2ILj256ELj16ELj256ELj137EiidEEv20rocsparse_direction_T4_S2_PKS2_S4_NS_24const_host_device_scalarIT5_EEPKT3_S4_PKS6_SA_S4_SC_S7_SA_S4_SC_SA_PS2_PS6_21rocsparse_index_base_SF_SF_SF_bbb,comdat
.Lfunc_end30:
	.size	_ZN9rocsparseL30bsrgemm_fill_block_per_row_2x2ILj256ELj16ELj256ELj137EiidEEv20rocsparse_direction_T4_S2_PKS2_S4_NS_24const_host_device_scalarIT5_EEPKT3_S4_PKS6_SA_S4_SC_S7_SA_S4_SC_SA_PS2_PS6_21rocsparse_index_base_SF_SF_SF_bbb, .Lfunc_end30-_ZN9rocsparseL30bsrgemm_fill_block_per_row_2x2ILj256ELj16ELj256ELj137EiidEEv20rocsparse_direction_T4_S2_PKS2_S4_NS_24const_host_device_scalarIT5_EEPKT3_S4_PKS6_SA_S4_SC_S7_SA_S4_SC_SA_PS2_PS6_21rocsparse_index_base_SF_SF_SF_bbb
                                        ; -- End function
	.section	.AMDGPU.csdata,"",@progbits
; Kernel info:
; codeLenInByte = 5372
; NumSgprs: 48
; NumVgprs: 36
; ScratchSize: 0
; MemoryBound: 0
; FloatMode: 240
; IeeeMode: 1
; LDSByteSize: 0 bytes/workgroup (compile time only)
; SGPRBlocks: 5
; VGPRBlocks: 4
; NumSGPRsForWavesPerEU: 48
; NumVGPRsForWavesPerEU: 36
; Occupancy: 16
; WaveLimiterHint : 1
; COMPUTE_PGM_RSRC2:SCRATCH_EN: 0
; COMPUTE_PGM_RSRC2:USER_SGPR: 15
; COMPUTE_PGM_RSRC2:TRAP_HANDLER: 0
; COMPUTE_PGM_RSRC2:TGID_X_EN: 1
; COMPUTE_PGM_RSRC2:TGID_Y_EN: 0
; COMPUTE_PGM_RSRC2:TGID_Z_EN: 0
; COMPUTE_PGM_RSRC2:TIDIG_COMP_CNT: 0
	.section	.text._ZN9rocsparseL30bsrgemm_fill_block_per_row_2x2ILj256ELj16ELj512ELj137EiidEEv20rocsparse_direction_T4_S2_PKS2_S4_NS_24const_host_device_scalarIT5_EEPKT3_S4_PKS6_SA_S4_SC_S7_SA_S4_SC_SA_PS2_PS6_21rocsparse_index_base_SF_SF_SF_bbb,"axG",@progbits,_ZN9rocsparseL30bsrgemm_fill_block_per_row_2x2ILj256ELj16ELj512ELj137EiidEEv20rocsparse_direction_T4_S2_PKS2_S4_NS_24const_host_device_scalarIT5_EEPKT3_S4_PKS6_SA_S4_SC_S7_SA_S4_SC_SA_PS2_PS6_21rocsparse_index_base_SF_SF_SF_bbb,comdat
	.globl	_ZN9rocsparseL30bsrgemm_fill_block_per_row_2x2ILj256ELj16ELj512ELj137EiidEEv20rocsparse_direction_T4_S2_PKS2_S4_NS_24const_host_device_scalarIT5_EEPKT3_S4_PKS6_SA_S4_SC_S7_SA_S4_SC_SA_PS2_PS6_21rocsparse_index_base_SF_SF_SF_bbb ; -- Begin function _ZN9rocsparseL30bsrgemm_fill_block_per_row_2x2ILj256ELj16ELj512ELj137EiidEEv20rocsparse_direction_T4_S2_PKS2_S4_NS_24const_host_device_scalarIT5_EEPKT3_S4_PKS6_SA_S4_SC_S7_SA_S4_SC_SA_PS2_PS6_21rocsparse_index_base_SF_SF_SF_bbb
	.p2align	8
	.type	_ZN9rocsparseL30bsrgemm_fill_block_per_row_2x2ILj256ELj16ELj512ELj137EiidEEv20rocsparse_direction_T4_S2_PKS2_S4_NS_24const_host_device_scalarIT5_EEPKT3_S4_PKS6_SA_S4_SC_S7_SA_S4_SC_SA_PS2_PS6_21rocsparse_index_base_SF_SF_SF_bbb,@function
_ZN9rocsparseL30bsrgemm_fill_block_per_row_2x2ILj256ELj16ELj512ELj137EiidEEv20rocsparse_direction_T4_S2_PKS2_S4_NS_24const_host_device_scalarIT5_EEPKT3_S4_PKS6_SA_S4_SC_S7_SA_S4_SC_SA_PS2_PS6_21rocsparse_index_base_SF_SF_SF_bbb: ; @_ZN9rocsparseL30bsrgemm_fill_block_per_row_2x2ILj256ELj16ELj512ELj137EiidEEv20rocsparse_direction_T4_S2_PKS2_S4_NS_24const_host_device_scalarIT5_EEPKT3_S4_PKS6_SA_S4_SC_S7_SA_S4_SC_SA_PS2_PS6_21rocsparse_index_base_SF_SF_SF_bbb
; %bb.0:
	s_clause 0x2
	s_load_b32 s6, s[0:1], 0xa0
	s_load_b64 s[4:5], s[0:1], 0x20
	s_load_b64 s[2:3], s[0:1], 0x58
	s_mov_b32 s34, s15
	s_waitcnt lgkmcnt(0)
	s_and_b32 s8, 1, s6
	s_bitcmp1_b32 s6, 16
	s_cselect_b32 s7, -1, 0
	s_cmp_eq_u32 s8, 1
	s_cselect_b32 s35, -1, 0
	s_delay_alu instid0(SALU_CYCLE_1)
	s_and_b32 s8, s35, exec_lo
	s_cselect_b32 s9, s5, 0
	s_cselect_b32 s8, s4, 0
	s_xor_b32 s10, s35, -1
	v_dual_mov_b32 v3, s8 :: v_dual_mov_b32 v4, s9
	s_or_b32 s10, s10, s7
	s_delay_alu instid0(SALU_CYCLE_1)
	s_and_b32 vcc_lo, exec_lo, s10
	s_cbranch_vccnz .LBB31_2
; %bb.1:
	v_dual_mov_b32 v1, s4 :: v_dual_mov_b32 v2, s5
	flat_load_b64 v[3:4], v[1:2]
.LBB31_2:
	s_bitcmp1_b32 s6, 8
	s_cselect_b32 s33, -1, 0
	s_delay_alu instid0(SALU_CYCLE_1)
	s_and_b32 s4, s33, exec_lo
	s_cselect_b32 s5, s3, 0
	s_cselect_b32 s4, s2, 0
	s_xor_b32 s6, s33, -1
	v_dual_mov_b32 v1, s4 :: v_dual_mov_b32 v2, s5
	s_or_b32 s6, s6, s7
	s_delay_alu instid0(SALU_CYCLE_1)
	s_and_b32 vcc_lo, exec_lo, s6
	s_cbranch_vccnz .LBB31_4
; %bb.3:
	v_dual_mov_b32 v1, s2 :: v_dual_mov_b32 v2, s3
	flat_load_b64 v[1:2], v[1:2]
.LBB31_4:
	s_clause 0x1
	s_load_b128 s[20:23], s[0:1], 0x90
	s_load_b32 s3, s[0:1], 0x8
	v_cmp_gt_u32_e64 s2, 0x200, v0
	v_or_b32_e32 v7, 0xffffff00, v0
	s_mov_b32 s4, exec_lo
	v_cmpx_lt_u32_e32 0x1ff, v0
	s_xor_b32 s4, exec_lo, s4
; %bb.5:
	v_or_b32_e32 v7, 0xffffff00, v0
; %bb.6:
	s_or_saveexec_b32 s40, s4
	s_clause 0x4
	s_load_b128 s[24:27], s[0:1], 0x80
	s_load_b256 s[4:11], s[0:1], 0x60
	s_load_b128 s[28:31], s[0:1], 0x48
	s_load_b128 s[36:39], s[0:1], 0x10
	s_load_b256 s[12:19], s[0:1], 0x28
	s_xor_b32 exec_lo, exec_lo, s40
	s_cbranch_execz .LBB31_10
; %bb.7:
	v_lshl_add_u32 v5, v0, 2, 0
	s_waitcnt lgkmcnt(0)
	v_mov_b32_e32 v6, s3
	v_mov_b32_e32 v8, v7
	s_mov_b32 s41, 0
.LBB31_8:                               ; =>This Inner Loop Header: Depth=1
	s_delay_alu instid0(VALU_DEP_1) | instskip(NEXT) | instid1(VALU_DEP_1)
	v_add_co_u32 v8, s42, 0x100, v8
	s_xor_b32 s42, s42, -1
	ds_store_b32 v5, v6
	v_add_nc_u32_e32 v5, 0x400, v5
	s_and_b32 s42, exec_lo, s42
	s_delay_alu instid0(SALU_CYCLE_1) | instskip(NEXT) | instid1(SALU_CYCLE_1)
	s_or_b32 s41, s42, s41
	s_and_not1_b32 exec_lo, exec_lo, s41
	s_cbranch_execnz .LBB31_8
; %bb.9:
	s_or_b32 exec_lo, exec_lo, s41
.LBB31_10:
	s_delay_alu instid0(SALU_CYCLE_1) | instskip(SKIP_2) | instid1(VALU_DEP_1)
	s_or_b32 exec_lo, exec_lo, s40
	v_dual_mov_b32 v5, 0 :: v_dual_lshlrev_b32 v6, 3, v0
	s_mov_b32 s40, 0
	v_add3_u32 v8, v6, 0, 0x800
	s_delay_alu instid0(VALU_DEP_2)
	v_mov_b32_e32 v6, v5
.LBB31_11:                              ; =>This Inner Loop Header: Depth=1
	v_add_nc_u32_e32 v7, 0x100, v7
	ds_store_b64 v8, v[5:6]
	v_add_nc_u32_e32 v8, 0x800, v8
	v_cmp_lt_u32_e32 vcc_lo, 0x6ff, v7
	s_or_b32 s40, vcc_lo, s40
	s_delay_alu instid0(SALU_CYCLE_1)
	s_and_not1_b32 exec_lo, exec_lo, s40
	s_cbranch_execnz .LBB31_11
; %bb.12:
	s_or_b32 exec_lo, exec_lo, s40
	s_waitcnt lgkmcnt(0)
	s_cmp_lg_u64 s[38:39], 0
	s_waitcnt vmcnt(0)
	s_barrier
	buffer_gl0_inv
	s_cbranch_scc0 .LBB31_14
; %bb.13:
	s_load_b32 s36, s[36:37], 0x0
	s_mov_b32 s37, 0
	s_waitcnt lgkmcnt(0)
	s_add_i32 s36, s36, s34
	s_delay_alu instid0(SALU_CYCLE_1) | instskip(NEXT) | instid1(SALU_CYCLE_1)
	s_lshl_b64 s[36:37], s[36:37], 2
	s_add_u32 s36, s38, s36
	s_addc_u32 s37, s39, s37
	s_load_b32 s34, s[36:37], 0x0
.LBB31_14:
	s_load_b32 s0, s[0:1], 0x0
	s_and_not1_b32 vcc_lo, exec_lo, s35
	s_waitcnt lgkmcnt(0)
	s_ashr_i32 s35, s34, 31
	s_cbranch_vccnz .LBB31_86
; %bb.15:
	s_lshl_b64 s[36:37], s[34:35], 2
	v_lshrrev_b32_e32 v5, 4, v0
	s_add_u32 s12, s12, s36
	s_addc_u32 s13, s13, s37
	s_load_b64 s[12:13], s[12:13], 0x0
	s_delay_alu instid0(VALU_DEP_1) | instskip(SKIP_1) | instid1(VALU_DEP_1)
	v_subrev_nc_u32_e32 v5, s20, v5
	s_waitcnt lgkmcnt(0)
	v_add_nc_u32_e32 v5, s12, v5
	s_sub_i32 s1, s13, s20
	s_mov_b32 s12, exec_lo
	s_delay_alu instid0(VALU_DEP_1)
	v_cmpx_gt_i32_e64 s1, v5
	s_cbranch_execz .LBB31_85
; %bb.16:
	v_and_b32_e32 v6, 15, v0
	s_cmp_eq_u32 s0, 0
	s_mov_b32 s13, 0
	s_cselect_b32 s36, 1, 2
	s_cselect_b32 s37, 2, 1
	v_subrev_nc_u32_e32 v28, s21, v6
	s_branch .LBB31_18
.LBB31_17:                              ;   in Loop: Header=BB31_18 Depth=1
	s_or_b32 exec_lo, exec_lo, s38
	v_add_nc_u32_e32 v5, 16, v5
	s_delay_alu instid0(VALU_DEP_1) | instskip(SKIP_1) | instid1(SALU_CYCLE_1)
	v_cmp_le_i32_e32 vcc_lo, s1, v5
	s_or_b32 s13, vcc_lo, s13
	s_and_not1_b32 exec_lo, exec_lo, s13
	s_cbranch_execz .LBB31_85
.LBB31_18:                              ; =>This Loop Header: Depth=1
                                        ;     Child Loop BB31_21 Depth 2
                                        ;       Child Loop BB31_23 Depth 3
                                        ;         Child Loop BB31_29 Depth 4
                                        ;         Child Loop BB31_35 Depth 4
                                        ;       Child Loop BB31_39 Depth 3
                                        ;         Child Loop BB31_45 Depth 4
                                        ;         Child Loop BB31_51 Depth 4
	;; [unrolled: 3-line block ×4, first 2 shown]
	v_ashrrev_i32_e32 v6, 31, v5
	s_mov_b32 s38, exec_lo
	s_delay_alu instid0(VALU_DEP_1) | instskip(NEXT) | instid1(VALU_DEP_1)
	v_lshlrev_b64 v[6:7], 2, v[5:6]
	v_add_co_u32 v6, vcc_lo, s14, v6
	s_delay_alu instid0(VALU_DEP_2) | instskip(SKIP_3) | instid1(VALU_DEP_1)
	v_add_co_ci_u32_e32 v7, vcc_lo, s15, v7, vcc_lo
	global_load_b32 v6, v[6:7], off
	s_waitcnt vmcnt(0)
	v_subrev_nc_u32_e32 v6, s20, v6
	v_ashrrev_i32_e32 v7, 31, v6
	s_delay_alu instid0(VALU_DEP_1) | instskip(NEXT) | instid1(VALU_DEP_1)
	v_lshlrev_b64 v[6:7], 2, v[6:7]
	v_add_co_u32 v6, vcc_lo, s18, v6
	s_delay_alu instid0(VALU_DEP_2) | instskip(SKIP_4) | instid1(VALU_DEP_1)
	v_add_co_ci_u32_e32 v7, vcc_lo, s19, v7, vcc_lo
	global_load_b64 v[6:7], v[6:7], off
	s_waitcnt vmcnt(0)
	v_subrev_nc_u32_e32 v29, s21, v7
	v_add_nc_u32_e32 v6, v6, v28
	v_cmpx_lt_i32_e64 v6, v29
	s_cbranch_execz .LBB31_17
; %bb.19:                               ;   in Loop: Header=BB31_18 Depth=1
	v_lshlrev_b32_e32 v7, 2, v5
	s_mov_b32 s39, 0
	s_delay_alu instid0(VALU_DEP_1) | instskip(SKIP_2) | instid1(VALU_DEP_3)
	v_or_b32_e32 v9, s37, v7
	v_ashrrev_i32_e32 v8, 31, v7
	v_or_b32_e32 v11, s36, v7
	v_ashrrev_i32_e32 v10, 31, v9
	s_delay_alu instid0(VALU_DEP_3) | instskip(NEXT) | instid1(VALU_DEP_3)
	v_lshlrev_b64 v[7:8], 3, v[7:8]
	v_ashrrev_i32_e32 v12, 31, v11
	s_delay_alu instid0(VALU_DEP_3) | instskip(NEXT) | instid1(VALU_DEP_2)
	v_lshlrev_b64 v[9:10], 3, v[9:10]
	v_lshlrev_b64 v[11:12], 3, v[11:12]
	s_delay_alu instid0(VALU_DEP_4) | instskip(SKIP_1) | instid1(VALU_DEP_4)
	v_add_co_u32 v7, vcc_lo, s16, v7
	v_add_co_ci_u32_e32 v8, vcc_lo, s17, v8, vcc_lo
	v_add_co_u32 v9, vcc_lo, s16, v9
	v_add_co_ci_u32_e32 v10, vcc_lo, s17, v10, vcc_lo
	;; [unrolled: 2-line block ×3, first 2 shown]
	s_clause 0x3
	global_load_b64 v[13:14], v[7:8], off offset:24
	global_load_b64 v[15:16], v[9:10], off
	global_load_b64 v[17:18], v[11:12], off
	;; [unrolled: 1-line block ×3, first 2 shown]
	s_waitcnt vmcnt(3)
	v_mul_f64 v[8:9], v[3:4], v[13:14]
	s_waitcnt vmcnt(2)
	v_mul_f64 v[10:11], v[3:4], v[15:16]
	;; [unrolled: 2-line block ×4, first 2 shown]
	s_branch .LBB31_21
.LBB31_20:                              ;   in Loop: Header=BB31_21 Depth=2
	s_or_b32 exec_lo, exec_lo, s40
	v_add_nc_u32_e32 v6, 16, v6
	s_delay_alu instid0(VALU_DEP_1) | instskip(SKIP_1) | instid1(SALU_CYCLE_1)
	v_cmp_ge_i32_e32 vcc_lo, v6, v29
	s_or_b32 s39, vcc_lo, s39
	s_and_not1_b32 exec_lo, exec_lo, s39
	s_cbranch_execz .LBB31_17
.LBB31_21:                              ;   Parent Loop BB31_18 Depth=1
                                        ; =>  This Loop Header: Depth=2
                                        ;       Child Loop BB31_23 Depth 3
                                        ;         Child Loop BB31_29 Depth 4
                                        ;         Child Loop BB31_35 Depth 4
                                        ;       Child Loop BB31_39 Depth 3
                                        ;         Child Loop BB31_45 Depth 4
                                        ;         Child Loop BB31_51 Depth 4
	;; [unrolled: 3-line block ×4, first 2 shown]
	v_lshlrev_b32_e32 v16, 2, v6
	v_ashrrev_i32_e32 v7, 31, v6
	s_mov_b32 s40, 0
	s_delay_alu instid0(VALU_DEP_2) | instskip(NEXT) | instid1(VALU_DEP_1)
	v_or_b32_e32 v17, s37, v16
	v_ashrrev_i32_e32 v18, 31, v17
	s_delay_alu instid0(VALU_DEP_1) | instskip(NEXT) | instid1(VALU_DEP_1)
	v_lshlrev_b64 v[17:18], 3, v[17:18]
	v_add_co_u32 v17, vcc_lo, s30, v17
	s_delay_alu instid0(VALU_DEP_2) | instskip(SKIP_2) | instid1(VALU_DEP_1)
	v_add_co_ci_u32_e32 v18, vcc_lo, s31, v18, vcc_lo
	global_load_b64 v[20:21], v[17:18], off
	v_ashrrev_i32_e32 v17, 31, v16
	v_lshlrev_b64 v[17:18], 3, v[16:17]
	s_delay_alu instid0(VALU_DEP_1) | instskip(NEXT) | instid1(VALU_DEP_2)
	v_add_co_u32 v24, vcc_lo, s30, v17
	v_add_co_ci_u32_e32 v25, vcc_lo, s31, v18, vcc_lo
	v_lshlrev_b64 v[17:18], 2, v[6:7]
	global_load_b64 v[22:23], v[24:25], off
	v_add_co_u32 v17, vcc_lo, s28, v17
	v_add_co_ci_u32_e32 v18, vcc_lo, s29, v18, vcc_lo
	global_load_b32 v7, v[17:18], off
	s_waitcnt vmcnt(0)
	v_subrev_nc_u32_e32 v7, s21, v7
	s_delay_alu instid0(VALU_DEP_1) | instskip(NEXT) | instid1(VALU_DEP_1)
	v_mul_lo_u32 v26, 0x89, v7
	v_and_b32_e32 v30, 0x1ff, v26
	s_delay_alu instid0(VALU_DEP_1) | instskip(SKIP_1) | instid1(VALU_DEP_1)
	v_mov_b32_e32 v31, v30
	v_or_b32_e32 v16, s36, v16
	v_ashrrev_i32_e32 v17, 31, v16
	s_delay_alu instid0(VALU_DEP_1) | instskip(NEXT) | instid1(VALU_DEP_1)
	v_lshlrev_b64 v[16:17], 3, v[16:17]
	v_add_co_u32 v16, vcc_lo, s30, v16
	s_delay_alu instid0(VALU_DEP_2) | instskip(SKIP_4) | instid1(VALU_DEP_1)
	v_add_co_ci_u32_e32 v17, vcc_lo, s31, v17, vcc_lo
	s_clause 0x1
	global_load_b64 v[16:17], v[16:17], off
	global_load_b64 v[18:19], v[24:25], off offset:24
	v_mul_f64 v[24:25], v[12:13], v[20:21]
	v_fma_f64 v[24:25], v[14:15], v[22:23], v[24:25]
	s_branch .LBB31_23
.LBB31_22:                              ;   in Loop: Header=BB31_23 Depth=3
	s_or_b32 exec_lo, exec_lo, s41
	s_xor_b32 s41, s42, -1
	s_delay_alu instid0(SALU_CYCLE_1) | instskip(NEXT) | instid1(SALU_CYCLE_1)
	s_and_b32 s41, exec_lo, s41
	s_or_b32 s40, s41, s40
	s_delay_alu instid0(SALU_CYCLE_1)
	s_and_not1_b32 exec_lo, exec_lo, s40
	s_cbranch_execz .LBB31_37
.LBB31_23:                              ;   Parent Loop BB31_18 Depth=1
                                        ;     Parent Loop BB31_21 Depth=2
                                        ; =>    This Loop Header: Depth=3
                                        ;         Child Loop BB31_29 Depth 4
                                        ;         Child Loop BB31_35 Depth 4
	v_lshl_add_u32 v26, v31, 2, 0
	s_mov_b32 s41, exec_lo
                                        ; implicit-def: $sgpr42
	ds_load_b32 v27, v26
	s_waitcnt lgkmcnt(0)
	v_cmpx_ne_u32_e64 v27, v7
	s_xor_b32 s41, exec_lo, s41
	s_cbranch_execz .LBB31_33
; %bb.24:                               ;   in Loop: Header=BB31_23 Depth=3
	s_mov_b32 s43, exec_lo
                                        ; implicit-def: $sgpr42
	v_cmpx_ne_u32_e64 s3, v27
	s_xor_b32 s43, exec_lo, s43
; %bb.25:                               ;   in Loop: Header=BB31_23 Depth=3
	v_add_nc_u32_e32 v26, 1, v31
	s_mov_b32 s42, -1
	s_delay_alu instid0(VALU_DEP_1)
	v_and_b32_e32 v31, 0x1ff, v26
                                        ; implicit-def: $vgpr26
; %bb.26:                               ;   in Loop: Header=BB31_23 Depth=3
	s_and_not1_saveexec_b32 s43, s43
	s_cbranch_execz .LBB31_32
; %bb.27:                               ;   in Loop: Header=BB31_23 Depth=3
	v_mov_b32_e32 v27, s3
	s_mov_b32 s45, -1
	s_mov_b32 s44, exec_lo
	ds_cmpstore_rtn_b32 v27, v26, v7, v27
	s_waitcnt lgkmcnt(0)
	v_cmpx_eq_u32_e64 s3, v27
	s_cbranch_execz .LBB31_31
; %bb.28:                               ;   in Loop: Header=BB31_23 Depth=3
	v_mul_lo_u32 v27, v31, 28
	s_mov_b32 s45, 0
	s_delay_alu instid0(VALU_DEP_1)
	v_add_nc_u32_e32 v32, v26, v27
	ds_load_b64 v[26:27], v32 offset:2048
.LBB31_29:                              ;   Parent Loop BB31_18 Depth=1
                                        ;     Parent Loop BB31_21 Depth=2
                                        ;       Parent Loop BB31_23 Depth=3
                                        ; =>      This Inner Loop Header: Depth=4
	s_waitcnt lgkmcnt(0)
	v_add_f64 v[33:34], v[26:27], v[24:25]
	ds_cmpstore_rtn_b64 v[33:34], v32, v[33:34], v[26:27] offset:2048
	s_waitcnt lgkmcnt(0)
	v_cmp_eq_u64_e32 vcc_lo, v[33:34], v[26:27]
	v_dual_mov_b32 v26, v33 :: v_dual_mov_b32 v27, v34
	s_or_b32 s45, vcc_lo, s45
	s_delay_alu instid0(SALU_CYCLE_1)
	s_and_not1_b32 exec_lo, exec_lo, s45
	s_cbranch_execnz .LBB31_29
; %bb.30:                               ;   in Loop: Header=BB31_23 Depth=3
	s_or_b32 exec_lo, exec_lo, s45
	s_delay_alu instid0(SALU_CYCLE_1)
	s_xor_b32 s45, exec_lo, -1
.LBB31_31:                              ;   in Loop: Header=BB31_23 Depth=3
	s_or_b32 exec_lo, exec_lo, s44
	s_delay_alu instid0(SALU_CYCLE_1) | instskip(SKIP_1) | instid1(SALU_CYCLE_1)
	s_and_not1_b32 s42, s42, exec_lo
	s_and_b32 s44, s45, exec_lo
	s_or_b32 s42, s42, s44
.LBB31_32:                              ;   in Loop: Header=BB31_23 Depth=3
	s_or_b32 exec_lo, exec_lo, s43
	s_delay_alu instid0(SALU_CYCLE_1)
	s_and_b32 s42, s42, exec_lo
                                        ; implicit-def: $vgpr26
.LBB31_33:                              ;   in Loop: Header=BB31_23 Depth=3
	s_and_not1_saveexec_b32 s41, s41
	s_cbranch_execz .LBB31_22
; %bb.34:                               ;   in Loop: Header=BB31_23 Depth=3
	v_mul_lo_u32 v27, v31, 28
	s_mov_b32 s43, 0
	s_delay_alu instid0(VALU_DEP_1)
	v_add_nc_u32_e32 v32, v26, v27
	ds_load_b64 v[26:27], v32 offset:2048
.LBB31_35:                              ;   Parent Loop BB31_18 Depth=1
                                        ;     Parent Loop BB31_21 Depth=2
                                        ;       Parent Loop BB31_23 Depth=3
                                        ; =>      This Inner Loop Header: Depth=4
	s_waitcnt lgkmcnt(0)
	v_add_f64 v[33:34], v[26:27], v[24:25]
	ds_cmpstore_rtn_b64 v[33:34], v32, v[33:34], v[26:27] offset:2048
	s_waitcnt lgkmcnt(0)
	v_cmp_eq_u64_e32 vcc_lo, v[33:34], v[26:27]
	v_dual_mov_b32 v26, v33 :: v_dual_mov_b32 v27, v34
	s_or_b32 s43, vcc_lo, s43
	s_delay_alu instid0(SALU_CYCLE_1)
	s_and_not1_b32 exec_lo, exec_lo, s43
	s_cbranch_execnz .LBB31_35
; %bb.36:                               ;   in Loop: Header=BB31_23 Depth=3
	s_or_b32 exec_lo, exec_lo, s43
	s_delay_alu instid0(SALU_CYCLE_1)
	s_and_not1_b32 s42, s42, exec_lo
	s_branch .LBB31_22
.LBB31_37:                              ;   in Loop: Header=BB31_21 Depth=2
	s_or_b32 exec_lo, exec_lo, s40
	s_waitcnt vmcnt(0)
	v_mul_f64 v[24:25], v[12:13], v[18:19]
	v_mov_b32_e32 v31, v30
	s_mov_b32 s40, 0
	s_delay_alu instid0(VALU_DEP_2)
	v_fma_f64 v[24:25], v[14:15], v[16:17], v[24:25]
	s_branch .LBB31_39
.LBB31_38:                              ;   in Loop: Header=BB31_39 Depth=3
	s_or_b32 exec_lo, exec_lo, s41
	s_xor_b32 s41, s42, -1
	s_delay_alu instid0(SALU_CYCLE_1) | instskip(NEXT) | instid1(SALU_CYCLE_1)
	s_and_b32 s41, exec_lo, s41
	s_or_b32 s40, s41, s40
	s_delay_alu instid0(SALU_CYCLE_1)
	s_and_not1_b32 exec_lo, exec_lo, s40
	s_cbranch_execz .LBB31_53
.LBB31_39:                              ;   Parent Loop BB31_18 Depth=1
                                        ;     Parent Loop BB31_21 Depth=2
                                        ; =>    This Loop Header: Depth=3
                                        ;         Child Loop BB31_45 Depth 4
                                        ;         Child Loop BB31_51 Depth 4
	s_delay_alu instid0(VALU_DEP_2)
	v_lshl_add_u32 v26, v31, 2, 0
	s_mov_b32 s41, exec_lo
                                        ; implicit-def: $sgpr42
	ds_load_b32 v27, v26
	s_waitcnt lgkmcnt(0)
	v_cmpx_ne_u32_e64 v27, v7
	s_xor_b32 s41, exec_lo, s41
	s_cbranch_execz .LBB31_49
; %bb.40:                               ;   in Loop: Header=BB31_39 Depth=3
	s_mov_b32 s43, exec_lo
                                        ; implicit-def: $sgpr42
	v_cmpx_ne_u32_e64 s3, v27
	s_xor_b32 s43, exec_lo, s43
; %bb.41:                               ;   in Loop: Header=BB31_39 Depth=3
	v_add_nc_u32_e32 v26, 1, v31
	s_mov_b32 s42, -1
	s_delay_alu instid0(VALU_DEP_1)
	v_and_b32_e32 v31, 0x1ff, v26
                                        ; implicit-def: $vgpr26
; %bb.42:                               ;   in Loop: Header=BB31_39 Depth=3
	s_and_not1_saveexec_b32 s43, s43
	s_cbranch_execz .LBB31_48
; %bb.43:                               ;   in Loop: Header=BB31_39 Depth=3
	v_mov_b32_e32 v27, s3
	s_mov_b32 s45, -1
	s_mov_b32 s44, exec_lo
	ds_cmpstore_rtn_b32 v27, v26, v7, v27
	s_waitcnt lgkmcnt(0)
	v_cmpx_eq_u32_e64 s3, v27
	s_cbranch_execz .LBB31_47
; %bb.44:                               ;   in Loop: Header=BB31_39 Depth=3
	v_mul_lo_u32 v27, v31, 28
	s_mov_b32 s45, 0
	s_delay_alu instid0(VALU_DEP_1)
	v_add_nc_u32_e32 v32, v26, v27
	ds_load_b64 v[26:27], v32 offset:2056
.LBB31_45:                              ;   Parent Loop BB31_18 Depth=1
                                        ;     Parent Loop BB31_21 Depth=2
                                        ;       Parent Loop BB31_39 Depth=3
                                        ; =>      This Inner Loop Header: Depth=4
	s_waitcnt lgkmcnt(0)
	v_add_f64 v[33:34], v[26:27], v[24:25]
	ds_cmpstore_rtn_b64 v[33:34], v32, v[33:34], v[26:27] offset:2056
	s_waitcnt lgkmcnt(0)
	v_cmp_eq_u64_e32 vcc_lo, v[33:34], v[26:27]
	v_dual_mov_b32 v26, v33 :: v_dual_mov_b32 v27, v34
	s_or_b32 s45, vcc_lo, s45
	s_delay_alu instid0(SALU_CYCLE_1)
	s_and_not1_b32 exec_lo, exec_lo, s45
	s_cbranch_execnz .LBB31_45
; %bb.46:                               ;   in Loop: Header=BB31_39 Depth=3
	s_or_b32 exec_lo, exec_lo, s45
	s_delay_alu instid0(SALU_CYCLE_1)
	s_xor_b32 s45, exec_lo, -1
.LBB31_47:                              ;   in Loop: Header=BB31_39 Depth=3
	s_or_b32 exec_lo, exec_lo, s44
	s_delay_alu instid0(SALU_CYCLE_1) | instskip(SKIP_1) | instid1(SALU_CYCLE_1)
	s_and_not1_b32 s42, s42, exec_lo
	s_and_b32 s44, s45, exec_lo
	s_or_b32 s42, s42, s44
.LBB31_48:                              ;   in Loop: Header=BB31_39 Depth=3
	s_or_b32 exec_lo, exec_lo, s43
	s_delay_alu instid0(SALU_CYCLE_1)
	s_and_b32 s42, s42, exec_lo
                                        ; implicit-def: $vgpr26
.LBB31_49:                              ;   in Loop: Header=BB31_39 Depth=3
	s_and_not1_saveexec_b32 s41, s41
	s_cbranch_execz .LBB31_38
; %bb.50:                               ;   in Loop: Header=BB31_39 Depth=3
	v_mul_lo_u32 v27, v31, 28
	s_mov_b32 s43, 0
	s_delay_alu instid0(VALU_DEP_1)
	v_add_nc_u32_e32 v32, v26, v27
	ds_load_b64 v[26:27], v32 offset:2056
.LBB31_51:                              ;   Parent Loop BB31_18 Depth=1
                                        ;     Parent Loop BB31_21 Depth=2
                                        ;       Parent Loop BB31_39 Depth=3
                                        ; =>      This Inner Loop Header: Depth=4
	s_waitcnt lgkmcnt(0)
	v_add_f64 v[33:34], v[26:27], v[24:25]
	ds_cmpstore_rtn_b64 v[33:34], v32, v[33:34], v[26:27] offset:2056
	s_waitcnt lgkmcnt(0)
	v_cmp_eq_u64_e32 vcc_lo, v[33:34], v[26:27]
	v_dual_mov_b32 v26, v33 :: v_dual_mov_b32 v27, v34
	s_or_b32 s43, vcc_lo, s43
	s_delay_alu instid0(SALU_CYCLE_1)
	s_and_not1_b32 exec_lo, exec_lo, s43
	s_cbranch_execnz .LBB31_51
; %bb.52:                               ;   in Loop: Header=BB31_39 Depth=3
	s_or_b32 exec_lo, exec_lo, s43
	s_delay_alu instid0(SALU_CYCLE_1)
	s_and_not1_b32 s42, s42, exec_lo
	s_branch .LBB31_38
.LBB31_53:                              ;   in Loop: Header=BB31_21 Depth=2
	s_or_b32 exec_lo, exec_lo, s40
	v_mul_f64 v[20:21], v[8:9], v[20:21]
	v_mov_b32_e32 v24, v30
	s_mov_b32 s40, 0
	s_delay_alu instid0(VALU_DEP_2)
	v_fma_f64 v[20:21], v[10:11], v[22:23], v[20:21]
	s_branch .LBB31_55
.LBB31_54:                              ;   in Loop: Header=BB31_55 Depth=3
	s_or_b32 exec_lo, exec_lo, s41
	s_xor_b32 s41, s42, -1
	s_delay_alu instid0(SALU_CYCLE_1) | instskip(NEXT) | instid1(SALU_CYCLE_1)
	s_and_b32 s41, exec_lo, s41
	s_or_b32 s40, s41, s40
	s_delay_alu instid0(SALU_CYCLE_1)
	s_and_not1_b32 exec_lo, exec_lo, s40
	s_cbranch_execz .LBB31_69
.LBB31_55:                              ;   Parent Loop BB31_18 Depth=1
                                        ;     Parent Loop BB31_21 Depth=2
                                        ; =>    This Loop Header: Depth=3
                                        ;         Child Loop BB31_61 Depth 4
                                        ;         Child Loop BB31_67 Depth 4
	s_delay_alu instid0(VALU_DEP_2)
	v_lshl_add_u32 v22, v24, 2, 0
	s_mov_b32 s41, exec_lo
                                        ; implicit-def: $sgpr42
	ds_load_b32 v23, v22
	s_waitcnt lgkmcnt(0)
	v_cmpx_ne_u32_e64 v23, v7
	s_xor_b32 s41, exec_lo, s41
	s_cbranch_execz .LBB31_65
; %bb.56:                               ;   in Loop: Header=BB31_55 Depth=3
	s_mov_b32 s43, exec_lo
                                        ; implicit-def: $sgpr42
	v_cmpx_ne_u32_e64 s3, v23
	s_xor_b32 s43, exec_lo, s43
; %bb.57:                               ;   in Loop: Header=BB31_55 Depth=3
	v_add_nc_u32_e32 v22, 1, v24
	s_mov_b32 s42, -1
	s_delay_alu instid0(VALU_DEP_1)
	v_and_b32_e32 v24, 0x1ff, v22
                                        ; implicit-def: $vgpr22
; %bb.58:                               ;   in Loop: Header=BB31_55 Depth=3
	s_and_not1_saveexec_b32 s43, s43
	s_cbranch_execz .LBB31_64
; %bb.59:                               ;   in Loop: Header=BB31_55 Depth=3
	v_mov_b32_e32 v23, s3
	s_mov_b32 s45, -1
	s_mov_b32 s44, exec_lo
	ds_cmpstore_rtn_b32 v23, v22, v7, v23
	s_waitcnt lgkmcnt(0)
	v_cmpx_eq_u32_e64 s3, v23
	s_cbranch_execz .LBB31_63
; %bb.60:                               ;   in Loop: Header=BB31_55 Depth=3
	v_mul_lo_u32 v23, v24, 28
	s_mov_b32 s45, 0
	s_delay_alu instid0(VALU_DEP_1)
	v_add_nc_u32_e32 v25, v22, v23
	ds_load_b64 v[22:23], v25 offset:2064
.LBB31_61:                              ;   Parent Loop BB31_18 Depth=1
                                        ;     Parent Loop BB31_21 Depth=2
                                        ;       Parent Loop BB31_55 Depth=3
                                        ; =>      This Inner Loop Header: Depth=4
	s_waitcnt lgkmcnt(0)
	v_add_f64 v[26:27], v[22:23], v[20:21]
	ds_cmpstore_rtn_b64 v[26:27], v25, v[26:27], v[22:23] offset:2064
	s_waitcnt lgkmcnt(0)
	v_cmp_eq_u64_e32 vcc_lo, v[26:27], v[22:23]
	v_dual_mov_b32 v22, v26 :: v_dual_mov_b32 v23, v27
	s_or_b32 s45, vcc_lo, s45
	s_delay_alu instid0(SALU_CYCLE_1)
	s_and_not1_b32 exec_lo, exec_lo, s45
	s_cbranch_execnz .LBB31_61
; %bb.62:                               ;   in Loop: Header=BB31_55 Depth=3
	s_or_b32 exec_lo, exec_lo, s45
	s_delay_alu instid0(SALU_CYCLE_1)
	s_xor_b32 s45, exec_lo, -1
.LBB31_63:                              ;   in Loop: Header=BB31_55 Depth=3
	s_or_b32 exec_lo, exec_lo, s44
	s_delay_alu instid0(SALU_CYCLE_1) | instskip(SKIP_1) | instid1(SALU_CYCLE_1)
	s_and_not1_b32 s42, s42, exec_lo
	s_and_b32 s44, s45, exec_lo
	s_or_b32 s42, s42, s44
.LBB31_64:                              ;   in Loop: Header=BB31_55 Depth=3
	s_or_b32 exec_lo, exec_lo, s43
	s_delay_alu instid0(SALU_CYCLE_1)
	s_and_b32 s42, s42, exec_lo
                                        ; implicit-def: $vgpr22
.LBB31_65:                              ;   in Loop: Header=BB31_55 Depth=3
	s_and_not1_saveexec_b32 s41, s41
	s_cbranch_execz .LBB31_54
; %bb.66:                               ;   in Loop: Header=BB31_55 Depth=3
	v_mul_lo_u32 v23, v24, 28
	s_mov_b32 s43, 0
	s_delay_alu instid0(VALU_DEP_1)
	v_add_nc_u32_e32 v25, v22, v23
	ds_load_b64 v[22:23], v25 offset:2064
.LBB31_67:                              ;   Parent Loop BB31_18 Depth=1
                                        ;     Parent Loop BB31_21 Depth=2
                                        ;       Parent Loop BB31_55 Depth=3
                                        ; =>      This Inner Loop Header: Depth=4
	s_waitcnt lgkmcnt(0)
	v_add_f64 v[26:27], v[22:23], v[20:21]
	ds_cmpstore_rtn_b64 v[26:27], v25, v[26:27], v[22:23] offset:2064
	s_waitcnt lgkmcnt(0)
	v_cmp_eq_u64_e32 vcc_lo, v[26:27], v[22:23]
	v_dual_mov_b32 v22, v26 :: v_dual_mov_b32 v23, v27
	s_or_b32 s43, vcc_lo, s43
	s_delay_alu instid0(SALU_CYCLE_1)
	s_and_not1_b32 exec_lo, exec_lo, s43
	s_cbranch_execnz .LBB31_67
; %bb.68:                               ;   in Loop: Header=BB31_55 Depth=3
	s_or_b32 exec_lo, exec_lo, s43
	s_delay_alu instid0(SALU_CYCLE_1)
	s_and_not1_b32 s42, s42, exec_lo
	s_branch .LBB31_54
.LBB31_69:                              ;   in Loop: Header=BB31_21 Depth=2
	s_or_b32 exec_lo, exec_lo, s40
	v_mul_f64 v[18:19], v[8:9], v[18:19]
	s_mov_b32 s40, 0
	s_delay_alu instid0(VALU_DEP_1)
	v_fma_f64 v[16:17], v[10:11], v[16:17], v[18:19]
	s_branch .LBB31_71
.LBB31_70:                              ;   in Loop: Header=BB31_71 Depth=3
	s_or_b32 exec_lo, exec_lo, s41
	s_xor_b32 s41, s42, -1
	s_delay_alu instid0(SALU_CYCLE_1) | instskip(NEXT) | instid1(SALU_CYCLE_1)
	s_and_b32 s41, exec_lo, s41
	s_or_b32 s40, s41, s40
	s_delay_alu instid0(SALU_CYCLE_1)
	s_and_not1_b32 exec_lo, exec_lo, s40
	s_cbranch_execz .LBB31_20
.LBB31_71:                              ;   Parent Loop BB31_18 Depth=1
                                        ;     Parent Loop BB31_21 Depth=2
                                        ; =>    This Loop Header: Depth=3
                                        ;         Child Loop BB31_77 Depth 4
                                        ;         Child Loop BB31_83 Depth 4
	v_lshl_add_u32 v18, v30, 2, 0
	s_mov_b32 s41, exec_lo
                                        ; implicit-def: $sgpr42
	ds_load_b32 v19, v18
	s_waitcnt lgkmcnt(0)
	v_cmpx_ne_u32_e64 v19, v7
	s_xor_b32 s41, exec_lo, s41
	s_cbranch_execz .LBB31_81
; %bb.72:                               ;   in Loop: Header=BB31_71 Depth=3
	s_mov_b32 s43, exec_lo
                                        ; implicit-def: $sgpr42
	v_cmpx_ne_u32_e64 s3, v19
	s_xor_b32 s43, exec_lo, s43
; %bb.73:                               ;   in Loop: Header=BB31_71 Depth=3
	v_add_nc_u32_e32 v18, 1, v30
	s_mov_b32 s42, -1
	s_delay_alu instid0(VALU_DEP_1)
	v_and_b32_e32 v30, 0x1ff, v18
                                        ; implicit-def: $vgpr18
; %bb.74:                               ;   in Loop: Header=BB31_71 Depth=3
	s_and_not1_saveexec_b32 s43, s43
	s_cbranch_execz .LBB31_80
; %bb.75:                               ;   in Loop: Header=BB31_71 Depth=3
	v_mov_b32_e32 v19, s3
	s_mov_b32 s45, -1
	s_mov_b32 s44, exec_lo
	ds_cmpstore_rtn_b32 v19, v18, v7, v19
	s_waitcnt lgkmcnt(0)
	v_cmpx_eq_u32_e64 s3, v19
	s_cbranch_execz .LBB31_79
; %bb.76:                               ;   in Loop: Header=BB31_71 Depth=3
	v_mul_lo_u32 v19, v30, 28
	s_mov_b32 s45, 0
	s_delay_alu instid0(VALU_DEP_1)
	v_add_nc_u32_e32 v20, v18, v19
	ds_load_b64 v[18:19], v20 offset:2072
.LBB31_77:                              ;   Parent Loop BB31_18 Depth=1
                                        ;     Parent Loop BB31_21 Depth=2
                                        ;       Parent Loop BB31_71 Depth=3
                                        ; =>      This Inner Loop Header: Depth=4
	s_waitcnt lgkmcnt(0)
	v_add_f64 v[21:22], v[18:19], v[16:17]
	ds_cmpstore_rtn_b64 v[21:22], v20, v[21:22], v[18:19] offset:2072
	s_waitcnt lgkmcnt(0)
	v_cmp_eq_u64_e32 vcc_lo, v[21:22], v[18:19]
	v_dual_mov_b32 v18, v21 :: v_dual_mov_b32 v19, v22
	s_or_b32 s45, vcc_lo, s45
	s_delay_alu instid0(SALU_CYCLE_1)
	s_and_not1_b32 exec_lo, exec_lo, s45
	s_cbranch_execnz .LBB31_77
; %bb.78:                               ;   in Loop: Header=BB31_71 Depth=3
	s_or_b32 exec_lo, exec_lo, s45
	s_delay_alu instid0(SALU_CYCLE_1)
	s_xor_b32 s45, exec_lo, -1
.LBB31_79:                              ;   in Loop: Header=BB31_71 Depth=3
	s_or_b32 exec_lo, exec_lo, s44
	s_delay_alu instid0(SALU_CYCLE_1) | instskip(SKIP_1) | instid1(SALU_CYCLE_1)
	s_and_not1_b32 s42, s42, exec_lo
	s_and_b32 s44, s45, exec_lo
	s_or_b32 s42, s42, s44
.LBB31_80:                              ;   in Loop: Header=BB31_71 Depth=3
	s_or_b32 exec_lo, exec_lo, s43
	s_delay_alu instid0(SALU_CYCLE_1)
	s_and_b32 s42, s42, exec_lo
                                        ; implicit-def: $vgpr18
.LBB31_81:                              ;   in Loop: Header=BB31_71 Depth=3
	s_and_not1_saveexec_b32 s41, s41
	s_cbranch_execz .LBB31_70
; %bb.82:                               ;   in Loop: Header=BB31_71 Depth=3
	v_mul_lo_u32 v19, v30, 28
	s_mov_b32 s43, 0
	s_delay_alu instid0(VALU_DEP_1)
	v_add_nc_u32_e32 v20, v18, v19
	ds_load_b64 v[18:19], v20 offset:2072
.LBB31_83:                              ;   Parent Loop BB31_18 Depth=1
                                        ;     Parent Loop BB31_21 Depth=2
                                        ;       Parent Loop BB31_71 Depth=3
                                        ; =>      This Inner Loop Header: Depth=4
	s_waitcnt lgkmcnt(0)
	v_add_f64 v[21:22], v[18:19], v[16:17]
	ds_cmpstore_rtn_b64 v[21:22], v20, v[21:22], v[18:19] offset:2072
	s_waitcnt lgkmcnt(0)
	v_cmp_eq_u64_e32 vcc_lo, v[21:22], v[18:19]
	v_dual_mov_b32 v18, v21 :: v_dual_mov_b32 v19, v22
	s_or_b32 s43, vcc_lo, s43
	s_delay_alu instid0(SALU_CYCLE_1)
	s_and_not1_b32 exec_lo, exec_lo, s43
	s_cbranch_execnz .LBB31_83
; %bb.84:                               ;   in Loop: Header=BB31_71 Depth=3
	s_or_b32 exec_lo, exec_lo, s43
	s_delay_alu instid0(SALU_CYCLE_1)
	s_and_not1_b32 s42, s42, exec_lo
	s_branch .LBB31_70
.LBB31_85:
	s_or_b32 exec_lo, exec_lo, s12
.LBB31_86:
	s_delay_alu instid0(SALU_CYCLE_1)
	s_and_not1_b32 vcc_lo, exec_lo, s33
	s_barrier
	buffer_gl0_inv
	s_cbranch_vccnz .LBB31_155
; %bb.87:
	s_lshl_b64 s[12:13], s[34:35], 2
	v_subrev_nc_u32_e32 v3, s23, v0
	s_add_u32 s4, s4, s12
	s_addc_u32 s5, s5, s13
	s_load_b64 s[4:5], s[4:5], 0x0
	s_waitcnt lgkmcnt(0)
	v_add_nc_u32_e32 v3, s4, v3
	s_sub_i32 s1, s5, s23
	s_mov_b32 s4, exec_lo
	s_delay_alu instid0(VALU_DEP_1)
	v_cmpx_gt_i32_e64 s1, v3
	s_cbranch_execz .LBB31_154
; %bb.88:
	s_cmp_eq_u32 s0, 0
	s_mov_b32 s5, 0
	s_cselect_b32 s12, 1, 2
	s_cselect_b32 s13, 2, 1
	s_branch .LBB31_90
.LBB31_89:                              ;   in Loop: Header=BB31_90 Depth=1
	s_or_b32 exec_lo, exec_lo, s14
	v_add_nc_u32_e32 v3, 0x100, v3
	s_delay_alu instid0(VALU_DEP_1) | instskip(SKIP_1) | instid1(SALU_CYCLE_1)
	v_cmp_le_i32_e32 vcc_lo, s1, v3
	s_or_b32 s5, vcc_lo, s5
	s_and_not1_b32 exec_lo, exec_lo, s5
	s_cbranch_execz .LBB31_154
.LBB31_90:                              ; =>This Loop Header: Depth=1
                                        ;     Child Loop BB31_92 Depth 2
                                        ;       Child Loop BB31_98 Depth 3
                                        ;       Child Loop BB31_104 Depth 3
                                        ;     Child Loop BB31_108 Depth 2
                                        ;       Child Loop BB31_114 Depth 3
                                        ;       Child Loop BB31_120 Depth 3
	;; [unrolled: 3-line block ×4, first 2 shown]
	v_lshlrev_b32_e32 v5, 2, v3
	v_ashrrev_i32_e32 v4, 31, v3
	s_mov_b32 s14, 0
	s_delay_alu instid0(VALU_DEP_2) | instskip(SKIP_1) | instid1(VALU_DEP_2)
	v_ashrrev_i32_e32 v6, 31, v5
	v_or_b32_e32 v8, s12, v5
	v_lshlrev_b64 v[6:7], 3, v[5:6]
	s_delay_alu instid0(VALU_DEP_2) | instskip(NEXT) | instid1(VALU_DEP_2)
	v_ashrrev_i32_e32 v9, 31, v8
	v_add_co_u32 v10, vcc_lo, s8, v6
	s_delay_alu instid0(VALU_DEP_3)
	v_add_co_ci_u32_e32 v11, vcc_lo, s9, v7, vcc_lo
	v_lshlrev_b64 v[6:7], 2, v[3:4]
	v_or_b32_e32 v4, s13, v5
	global_load_b64 v[12:13], v[10:11], off
	v_add_co_u32 v6, vcc_lo, s6, v6
	v_add_co_ci_u32_e32 v7, vcc_lo, s7, v7, vcc_lo
	v_ashrrev_i32_e32 v5, 31, v4
	global_load_b32 v14, v[6:7], off
	v_lshlrev_b64 v[6:7], 3, v[8:9]
	v_lshlrev_b64 v[4:5], 3, v[4:5]
	s_delay_alu instid0(VALU_DEP_1) | instskip(NEXT) | instid1(VALU_DEP_2)
	v_add_co_u32 v4, vcc_lo, s8, v4
	v_add_co_ci_u32_e32 v5, vcc_lo, s9, v5, vcc_lo
	s_delay_alu instid0(VALU_DEP_4)
	v_add_co_u32 v8, vcc_lo, s8, v6
	v_add_co_ci_u32_e32 v9, vcc_lo, s9, v7, vcc_lo
	s_clause 0x2
	global_load_b64 v[6:7], v[4:5], off
	global_load_b64 v[8:9], v[8:9], off
	global_load_b64 v[4:5], v[10:11], off offset:24
	s_waitcnt vmcnt(4)
	v_mul_f64 v[10:11], v[1:2], v[12:13]
	s_waitcnt vmcnt(3)
	v_subrev_nc_u32_e32 v14, s23, v14
	s_delay_alu instid0(VALU_DEP_1) | instskip(NEXT) | instid1(VALU_DEP_1)
	v_mul_lo_u32 v12, 0x89, v14
	v_and_b32_e32 v15, 0x1ff, v12
	s_delay_alu instid0(VALU_DEP_1)
	v_mov_b32_e32 v16, v15
	s_branch .LBB31_92
.LBB31_91:                              ;   in Loop: Header=BB31_92 Depth=2
	s_or_b32 exec_lo, exec_lo, s15
	s_xor_b32 s15, s16, -1
	s_delay_alu instid0(SALU_CYCLE_1) | instskip(NEXT) | instid1(SALU_CYCLE_1)
	s_and_b32 s15, exec_lo, s15
	s_or_b32 s14, s15, s14
	s_delay_alu instid0(SALU_CYCLE_1)
	s_and_not1_b32 exec_lo, exec_lo, s14
	s_cbranch_execz .LBB31_106
.LBB31_92:                              ;   Parent Loop BB31_90 Depth=1
                                        ; =>  This Loop Header: Depth=2
                                        ;       Child Loop BB31_98 Depth 3
                                        ;       Child Loop BB31_104 Depth 3
	s_delay_alu instid0(VALU_DEP_1)
	v_lshl_add_u32 v12, v16, 2, 0
	s_mov_b32 s15, exec_lo
                                        ; implicit-def: $sgpr16
	ds_load_b32 v13, v12
	s_waitcnt lgkmcnt(0)
	v_cmpx_ne_u32_e64 v13, v14
	s_xor_b32 s15, exec_lo, s15
	s_cbranch_execz .LBB31_102
; %bb.93:                               ;   in Loop: Header=BB31_92 Depth=2
	s_mov_b32 s17, exec_lo
                                        ; implicit-def: $sgpr16
	v_cmpx_ne_u32_e64 s3, v13
	s_xor_b32 s17, exec_lo, s17
; %bb.94:                               ;   in Loop: Header=BB31_92 Depth=2
	v_add_nc_u32_e32 v12, 1, v16
	s_mov_b32 s16, -1
	s_delay_alu instid0(VALU_DEP_1)
	v_and_b32_e32 v16, 0x1ff, v12
                                        ; implicit-def: $vgpr12
; %bb.95:                               ;   in Loop: Header=BB31_92 Depth=2
	s_and_not1_saveexec_b32 s17, s17
	s_cbranch_execz .LBB31_101
; %bb.96:                               ;   in Loop: Header=BB31_92 Depth=2
	v_mov_b32_e32 v13, s3
	s_mov_b32 s19, -1
	s_mov_b32 s18, exec_lo
	ds_cmpstore_rtn_b32 v13, v12, v14, v13
	s_waitcnt lgkmcnt(0)
	v_cmpx_eq_u32_e64 s3, v13
	s_cbranch_execz .LBB31_100
; %bb.97:                               ;   in Loop: Header=BB31_92 Depth=2
	v_mul_lo_u32 v13, v16, 28
	s_mov_b32 s19, 0
	s_delay_alu instid0(VALU_DEP_1)
	v_add_nc_u32_e32 v17, v12, v13
	ds_load_b64 v[12:13], v17 offset:2048
.LBB31_98:                              ;   Parent Loop BB31_90 Depth=1
                                        ;     Parent Loop BB31_92 Depth=2
                                        ; =>    This Inner Loop Header: Depth=3
	s_waitcnt lgkmcnt(0)
	v_add_f64 v[18:19], v[12:13], v[10:11]
	ds_cmpstore_rtn_b64 v[18:19], v17, v[18:19], v[12:13] offset:2048
	s_waitcnt lgkmcnt(0)
	v_cmp_eq_u64_e32 vcc_lo, v[18:19], v[12:13]
	v_dual_mov_b32 v12, v18 :: v_dual_mov_b32 v13, v19
	s_or_b32 s19, vcc_lo, s19
	s_delay_alu instid0(SALU_CYCLE_1)
	s_and_not1_b32 exec_lo, exec_lo, s19
	s_cbranch_execnz .LBB31_98
; %bb.99:                               ;   in Loop: Header=BB31_92 Depth=2
	s_or_b32 exec_lo, exec_lo, s19
	s_delay_alu instid0(SALU_CYCLE_1)
	s_xor_b32 s19, exec_lo, -1
.LBB31_100:                             ;   in Loop: Header=BB31_92 Depth=2
	s_or_b32 exec_lo, exec_lo, s18
	s_delay_alu instid0(SALU_CYCLE_1) | instskip(SKIP_1) | instid1(SALU_CYCLE_1)
	s_and_not1_b32 s16, s16, exec_lo
	s_and_b32 s18, s19, exec_lo
	s_or_b32 s16, s16, s18
.LBB31_101:                             ;   in Loop: Header=BB31_92 Depth=2
	s_or_b32 exec_lo, exec_lo, s17
	s_delay_alu instid0(SALU_CYCLE_1)
	s_and_b32 s16, s16, exec_lo
                                        ; implicit-def: $vgpr12
.LBB31_102:                             ;   in Loop: Header=BB31_92 Depth=2
	s_and_not1_saveexec_b32 s15, s15
	s_cbranch_execz .LBB31_91
; %bb.103:                              ;   in Loop: Header=BB31_92 Depth=2
	v_mul_lo_u32 v13, v16, 28
	s_mov_b32 s17, 0
	s_delay_alu instid0(VALU_DEP_1)
	v_add_nc_u32_e32 v17, v12, v13
	ds_load_b64 v[12:13], v17 offset:2048
.LBB31_104:                             ;   Parent Loop BB31_90 Depth=1
                                        ;     Parent Loop BB31_92 Depth=2
                                        ; =>    This Inner Loop Header: Depth=3
	s_waitcnt lgkmcnt(0)
	v_add_f64 v[18:19], v[12:13], v[10:11]
	ds_cmpstore_rtn_b64 v[18:19], v17, v[18:19], v[12:13] offset:2048
	s_waitcnt lgkmcnt(0)
	v_cmp_eq_u64_e32 vcc_lo, v[18:19], v[12:13]
	v_dual_mov_b32 v12, v18 :: v_dual_mov_b32 v13, v19
	s_or_b32 s17, vcc_lo, s17
	s_delay_alu instid0(SALU_CYCLE_1)
	s_and_not1_b32 exec_lo, exec_lo, s17
	s_cbranch_execnz .LBB31_104
; %bb.105:                              ;   in Loop: Header=BB31_92 Depth=2
	s_or_b32 exec_lo, exec_lo, s17
	s_delay_alu instid0(SALU_CYCLE_1)
	s_and_not1_b32 s16, s16, exec_lo
	s_branch .LBB31_91
.LBB31_106:                             ;   in Loop: Header=BB31_90 Depth=1
	s_or_b32 exec_lo, exec_lo, s14
	s_waitcnt vmcnt(1)
	v_mul_f64 v[8:9], v[1:2], v[8:9]
	v_mov_b32_e32 v12, v15
	s_mov_b32 s14, 0
	s_branch .LBB31_108
.LBB31_107:                             ;   in Loop: Header=BB31_108 Depth=2
	s_or_b32 exec_lo, exec_lo, s15
	s_xor_b32 s15, s16, -1
	s_delay_alu instid0(SALU_CYCLE_1) | instskip(NEXT) | instid1(SALU_CYCLE_1)
	s_and_b32 s15, exec_lo, s15
	s_or_b32 s14, s15, s14
	s_delay_alu instid0(SALU_CYCLE_1)
	s_and_not1_b32 exec_lo, exec_lo, s14
	s_cbranch_execz .LBB31_122
.LBB31_108:                             ;   Parent Loop BB31_90 Depth=1
                                        ; =>  This Loop Header: Depth=2
                                        ;       Child Loop BB31_114 Depth 3
                                        ;       Child Loop BB31_120 Depth 3
	s_delay_alu instid0(VALU_DEP_1)
	v_lshl_add_u32 v10, v12, 2, 0
	s_mov_b32 s15, exec_lo
                                        ; implicit-def: $sgpr16
	ds_load_b32 v11, v10
	s_waitcnt lgkmcnt(0)
	v_cmpx_ne_u32_e64 v11, v14
	s_xor_b32 s15, exec_lo, s15
	s_cbranch_execz .LBB31_118
; %bb.109:                              ;   in Loop: Header=BB31_108 Depth=2
	s_mov_b32 s17, exec_lo
                                        ; implicit-def: $sgpr16
	v_cmpx_ne_u32_e64 s3, v11
	s_xor_b32 s17, exec_lo, s17
; %bb.110:                              ;   in Loop: Header=BB31_108 Depth=2
	v_add_nc_u32_e32 v10, 1, v12
	s_mov_b32 s16, -1
	s_delay_alu instid0(VALU_DEP_1)
	v_and_b32_e32 v12, 0x1ff, v10
                                        ; implicit-def: $vgpr10
; %bb.111:                              ;   in Loop: Header=BB31_108 Depth=2
	s_and_not1_saveexec_b32 s17, s17
	s_cbranch_execz .LBB31_117
; %bb.112:                              ;   in Loop: Header=BB31_108 Depth=2
	v_mov_b32_e32 v11, s3
	s_mov_b32 s19, -1
	s_mov_b32 s18, exec_lo
	ds_cmpstore_rtn_b32 v11, v10, v14, v11
	s_waitcnt lgkmcnt(0)
	v_cmpx_eq_u32_e64 s3, v11
	s_cbranch_execz .LBB31_116
; %bb.113:                              ;   in Loop: Header=BB31_108 Depth=2
	v_mul_lo_u32 v11, v12, 28
	s_mov_b32 s19, 0
	s_delay_alu instid0(VALU_DEP_1)
	v_add_nc_u32_e32 v13, v10, v11
	ds_load_b64 v[10:11], v13 offset:2056
.LBB31_114:                             ;   Parent Loop BB31_90 Depth=1
                                        ;     Parent Loop BB31_108 Depth=2
                                        ; =>    This Inner Loop Header: Depth=3
	s_waitcnt lgkmcnt(0)
	v_add_f64 v[16:17], v[10:11], v[8:9]
	ds_cmpstore_rtn_b64 v[16:17], v13, v[16:17], v[10:11] offset:2056
	s_waitcnt lgkmcnt(0)
	v_cmp_eq_u64_e32 vcc_lo, v[16:17], v[10:11]
	v_dual_mov_b32 v10, v16 :: v_dual_mov_b32 v11, v17
	s_or_b32 s19, vcc_lo, s19
	s_delay_alu instid0(SALU_CYCLE_1)
	s_and_not1_b32 exec_lo, exec_lo, s19
	s_cbranch_execnz .LBB31_114
; %bb.115:                              ;   in Loop: Header=BB31_108 Depth=2
	s_or_b32 exec_lo, exec_lo, s19
	s_delay_alu instid0(SALU_CYCLE_1)
	s_xor_b32 s19, exec_lo, -1
.LBB31_116:                             ;   in Loop: Header=BB31_108 Depth=2
	s_or_b32 exec_lo, exec_lo, s18
	s_delay_alu instid0(SALU_CYCLE_1) | instskip(SKIP_1) | instid1(SALU_CYCLE_1)
	s_and_not1_b32 s16, s16, exec_lo
	s_and_b32 s18, s19, exec_lo
	s_or_b32 s16, s16, s18
.LBB31_117:                             ;   in Loop: Header=BB31_108 Depth=2
	s_or_b32 exec_lo, exec_lo, s17
	s_delay_alu instid0(SALU_CYCLE_1)
	s_and_b32 s16, s16, exec_lo
                                        ; implicit-def: $vgpr10
.LBB31_118:                             ;   in Loop: Header=BB31_108 Depth=2
	s_and_not1_saveexec_b32 s15, s15
	s_cbranch_execz .LBB31_107
; %bb.119:                              ;   in Loop: Header=BB31_108 Depth=2
	v_mul_lo_u32 v11, v12, 28
	s_mov_b32 s17, 0
	s_delay_alu instid0(VALU_DEP_1)
	v_add_nc_u32_e32 v13, v10, v11
	ds_load_b64 v[10:11], v13 offset:2056
.LBB31_120:                             ;   Parent Loop BB31_90 Depth=1
                                        ;     Parent Loop BB31_108 Depth=2
                                        ; =>    This Inner Loop Header: Depth=3
	s_waitcnt lgkmcnt(0)
	v_add_f64 v[16:17], v[10:11], v[8:9]
	ds_cmpstore_rtn_b64 v[16:17], v13, v[16:17], v[10:11] offset:2056
	s_waitcnt lgkmcnt(0)
	v_cmp_eq_u64_e32 vcc_lo, v[16:17], v[10:11]
	v_dual_mov_b32 v10, v16 :: v_dual_mov_b32 v11, v17
	s_or_b32 s17, vcc_lo, s17
	s_delay_alu instid0(SALU_CYCLE_1)
	s_and_not1_b32 exec_lo, exec_lo, s17
	s_cbranch_execnz .LBB31_120
; %bb.121:                              ;   in Loop: Header=BB31_108 Depth=2
	s_or_b32 exec_lo, exec_lo, s17
	s_delay_alu instid0(SALU_CYCLE_1)
	s_and_not1_b32 s16, s16, exec_lo
	s_branch .LBB31_107
.LBB31_122:                             ;   in Loop: Header=BB31_90 Depth=1
	s_or_b32 exec_lo, exec_lo, s14
	v_mul_f64 v[6:7], v[1:2], v[6:7]
	v_mov_b32_e32 v10, v15
	s_mov_b32 s14, 0
	s_branch .LBB31_124
.LBB31_123:                             ;   in Loop: Header=BB31_124 Depth=2
	s_or_b32 exec_lo, exec_lo, s15
	s_xor_b32 s15, s16, -1
	s_delay_alu instid0(SALU_CYCLE_1) | instskip(NEXT) | instid1(SALU_CYCLE_1)
	s_and_b32 s15, exec_lo, s15
	s_or_b32 s14, s15, s14
	s_delay_alu instid0(SALU_CYCLE_1)
	s_and_not1_b32 exec_lo, exec_lo, s14
	s_cbranch_execz .LBB31_138
.LBB31_124:                             ;   Parent Loop BB31_90 Depth=1
                                        ; =>  This Loop Header: Depth=2
                                        ;       Child Loop BB31_130 Depth 3
                                        ;       Child Loop BB31_136 Depth 3
	s_delay_alu instid0(VALU_DEP_1)
	v_lshl_add_u32 v8, v10, 2, 0
	s_mov_b32 s15, exec_lo
                                        ; implicit-def: $sgpr16
	ds_load_b32 v9, v8
	s_waitcnt lgkmcnt(0)
	v_cmpx_ne_u32_e64 v9, v14
	s_xor_b32 s15, exec_lo, s15
	s_cbranch_execz .LBB31_134
; %bb.125:                              ;   in Loop: Header=BB31_124 Depth=2
	s_mov_b32 s17, exec_lo
                                        ; implicit-def: $sgpr16
	v_cmpx_ne_u32_e64 s3, v9
	s_xor_b32 s17, exec_lo, s17
; %bb.126:                              ;   in Loop: Header=BB31_124 Depth=2
	v_add_nc_u32_e32 v8, 1, v10
	s_mov_b32 s16, -1
	s_delay_alu instid0(VALU_DEP_1)
	v_and_b32_e32 v10, 0x1ff, v8
                                        ; implicit-def: $vgpr8
; %bb.127:                              ;   in Loop: Header=BB31_124 Depth=2
	s_and_not1_saveexec_b32 s17, s17
	s_cbranch_execz .LBB31_133
; %bb.128:                              ;   in Loop: Header=BB31_124 Depth=2
	v_mov_b32_e32 v9, s3
	s_mov_b32 s19, -1
	s_mov_b32 s18, exec_lo
	ds_cmpstore_rtn_b32 v9, v8, v14, v9
	s_waitcnt lgkmcnt(0)
	v_cmpx_eq_u32_e64 s3, v9
	s_cbranch_execz .LBB31_132
; %bb.129:                              ;   in Loop: Header=BB31_124 Depth=2
	v_mul_lo_u32 v9, v10, 28
	s_mov_b32 s19, 0
	s_delay_alu instid0(VALU_DEP_1)
	v_add_nc_u32_e32 v11, v8, v9
	ds_load_b64 v[8:9], v11 offset:2064
.LBB31_130:                             ;   Parent Loop BB31_90 Depth=1
                                        ;     Parent Loop BB31_124 Depth=2
                                        ; =>    This Inner Loop Header: Depth=3
	s_waitcnt lgkmcnt(0)
	v_add_f64 v[12:13], v[8:9], v[6:7]
	ds_cmpstore_rtn_b64 v[12:13], v11, v[12:13], v[8:9] offset:2064
	s_waitcnt lgkmcnt(0)
	v_cmp_eq_u64_e32 vcc_lo, v[12:13], v[8:9]
	v_dual_mov_b32 v8, v12 :: v_dual_mov_b32 v9, v13
	s_or_b32 s19, vcc_lo, s19
	s_delay_alu instid0(SALU_CYCLE_1)
	s_and_not1_b32 exec_lo, exec_lo, s19
	s_cbranch_execnz .LBB31_130
; %bb.131:                              ;   in Loop: Header=BB31_124 Depth=2
	s_or_b32 exec_lo, exec_lo, s19
	s_delay_alu instid0(SALU_CYCLE_1)
	s_xor_b32 s19, exec_lo, -1
.LBB31_132:                             ;   in Loop: Header=BB31_124 Depth=2
	s_or_b32 exec_lo, exec_lo, s18
	s_delay_alu instid0(SALU_CYCLE_1) | instskip(SKIP_1) | instid1(SALU_CYCLE_1)
	s_and_not1_b32 s16, s16, exec_lo
	s_and_b32 s18, s19, exec_lo
	s_or_b32 s16, s16, s18
.LBB31_133:                             ;   in Loop: Header=BB31_124 Depth=2
	s_or_b32 exec_lo, exec_lo, s17
	s_delay_alu instid0(SALU_CYCLE_1)
	s_and_b32 s16, s16, exec_lo
                                        ; implicit-def: $vgpr8
.LBB31_134:                             ;   in Loop: Header=BB31_124 Depth=2
	s_and_not1_saveexec_b32 s15, s15
	s_cbranch_execz .LBB31_123
; %bb.135:                              ;   in Loop: Header=BB31_124 Depth=2
	v_mul_lo_u32 v9, v10, 28
	s_mov_b32 s17, 0
	s_delay_alu instid0(VALU_DEP_1)
	v_add_nc_u32_e32 v11, v8, v9
	ds_load_b64 v[8:9], v11 offset:2064
.LBB31_136:                             ;   Parent Loop BB31_90 Depth=1
                                        ;     Parent Loop BB31_124 Depth=2
                                        ; =>    This Inner Loop Header: Depth=3
	s_waitcnt lgkmcnt(0)
	v_add_f64 v[12:13], v[8:9], v[6:7]
	ds_cmpstore_rtn_b64 v[12:13], v11, v[12:13], v[8:9] offset:2064
	s_waitcnt lgkmcnt(0)
	v_cmp_eq_u64_e32 vcc_lo, v[12:13], v[8:9]
	v_dual_mov_b32 v8, v12 :: v_dual_mov_b32 v9, v13
	s_or_b32 s17, vcc_lo, s17
	s_delay_alu instid0(SALU_CYCLE_1)
	s_and_not1_b32 exec_lo, exec_lo, s17
	s_cbranch_execnz .LBB31_136
; %bb.137:                              ;   in Loop: Header=BB31_124 Depth=2
	s_or_b32 exec_lo, exec_lo, s17
	s_delay_alu instid0(SALU_CYCLE_1)
	s_and_not1_b32 s16, s16, exec_lo
	s_branch .LBB31_123
.LBB31_138:                             ;   in Loop: Header=BB31_90 Depth=1
	s_or_b32 exec_lo, exec_lo, s14
	s_waitcnt vmcnt(0)
	v_mul_f64 v[4:5], v[1:2], v[4:5]
	s_mov_b32 s14, 0
	s_branch .LBB31_140
.LBB31_139:                             ;   in Loop: Header=BB31_140 Depth=2
	s_or_b32 exec_lo, exec_lo, s15
	s_xor_b32 s15, s16, -1
	s_delay_alu instid0(SALU_CYCLE_1) | instskip(NEXT) | instid1(SALU_CYCLE_1)
	s_and_b32 s15, exec_lo, s15
	s_or_b32 s14, s15, s14
	s_delay_alu instid0(SALU_CYCLE_1)
	s_and_not1_b32 exec_lo, exec_lo, s14
	s_cbranch_execz .LBB31_89
.LBB31_140:                             ;   Parent Loop BB31_90 Depth=1
                                        ; =>  This Loop Header: Depth=2
                                        ;       Child Loop BB31_146 Depth 3
                                        ;       Child Loop BB31_152 Depth 3
	v_lshl_add_u32 v6, v15, 2, 0
	s_mov_b32 s15, exec_lo
                                        ; implicit-def: $sgpr16
	ds_load_b32 v7, v6
	s_waitcnt lgkmcnt(0)
	v_cmpx_ne_u32_e64 v7, v14
	s_xor_b32 s15, exec_lo, s15
	s_cbranch_execz .LBB31_150
; %bb.141:                              ;   in Loop: Header=BB31_140 Depth=2
	s_mov_b32 s17, exec_lo
                                        ; implicit-def: $sgpr16
	v_cmpx_ne_u32_e64 s3, v7
	s_xor_b32 s17, exec_lo, s17
; %bb.142:                              ;   in Loop: Header=BB31_140 Depth=2
	v_add_nc_u32_e32 v6, 1, v15
	s_mov_b32 s16, -1
	s_delay_alu instid0(VALU_DEP_1)
	v_and_b32_e32 v15, 0x1ff, v6
                                        ; implicit-def: $vgpr6
; %bb.143:                              ;   in Loop: Header=BB31_140 Depth=2
	s_and_not1_saveexec_b32 s17, s17
	s_cbranch_execz .LBB31_149
; %bb.144:                              ;   in Loop: Header=BB31_140 Depth=2
	v_mov_b32_e32 v7, s3
	s_mov_b32 s19, -1
	s_mov_b32 s18, exec_lo
	ds_cmpstore_rtn_b32 v7, v6, v14, v7
	s_waitcnt lgkmcnt(0)
	v_cmpx_eq_u32_e64 s3, v7
	s_cbranch_execz .LBB31_148
; %bb.145:                              ;   in Loop: Header=BB31_140 Depth=2
	v_mul_lo_u32 v7, v15, 28
	s_mov_b32 s19, 0
	s_delay_alu instid0(VALU_DEP_1)
	v_add_nc_u32_e32 v8, v6, v7
	ds_load_b64 v[6:7], v8 offset:2072
.LBB31_146:                             ;   Parent Loop BB31_90 Depth=1
                                        ;     Parent Loop BB31_140 Depth=2
                                        ; =>    This Inner Loop Header: Depth=3
	s_waitcnt lgkmcnt(0)
	v_add_f64 v[9:10], v[6:7], v[4:5]
	ds_cmpstore_rtn_b64 v[9:10], v8, v[9:10], v[6:7] offset:2072
	s_waitcnt lgkmcnt(0)
	v_cmp_eq_u64_e32 vcc_lo, v[9:10], v[6:7]
	v_dual_mov_b32 v6, v9 :: v_dual_mov_b32 v7, v10
	s_or_b32 s19, vcc_lo, s19
	s_delay_alu instid0(SALU_CYCLE_1)
	s_and_not1_b32 exec_lo, exec_lo, s19
	s_cbranch_execnz .LBB31_146
; %bb.147:                              ;   in Loop: Header=BB31_140 Depth=2
	s_or_b32 exec_lo, exec_lo, s19
	s_delay_alu instid0(SALU_CYCLE_1)
	s_xor_b32 s19, exec_lo, -1
.LBB31_148:                             ;   in Loop: Header=BB31_140 Depth=2
	s_or_b32 exec_lo, exec_lo, s18
	s_delay_alu instid0(SALU_CYCLE_1) | instskip(SKIP_1) | instid1(SALU_CYCLE_1)
	s_and_not1_b32 s16, s16, exec_lo
	s_and_b32 s18, s19, exec_lo
	s_or_b32 s16, s16, s18
.LBB31_149:                             ;   in Loop: Header=BB31_140 Depth=2
	s_or_b32 exec_lo, exec_lo, s17
	s_delay_alu instid0(SALU_CYCLE_1)
	s_and_b32 s16, s16, exec_lo
                                        ; implicit-def: $vgpr6
.LBB31_150:                             ;   in Loop: Header=BB31_140 Depth=2
	s_and_not1_saveexec_b32 s15, s15
	s_cbranch_execz .LBB31_139
; %bb.151:                              ;   in Loop: Header=BB31_140 Depth=2
	v_mul_lo_u32 v7, v15, 28
	s_mov_b32 s17, 0
	s_delay_alu instid0(VALU_DEP_1)
	v_add_nc_u32_e32 v8, v6, v7
	ds_load_b64 v[6:7], v8 offset:2072
.LBB31_152:                             ;   Parent Loop BB31_90 Depth=1
                                        ;     Parent Loop BB31_140 Depth=2
                                        ; =>    This Inner Loop Header: Depth=3
	s_waitcnt lgkmcnt(0)
	v_add_f64 v[9:10], v[6:7], v[4:5]
	ds_cmpstore_rtn_b64 v[9:10], v8, v[9:10], v[6:7] offset:2072
	s_waitcnt lgkmcnt(0)
	v_cmp_eq_u64_e32 vcc_lo, v[9:10], v[6:7]
	v_dual_mov_b32 v6, v9 :: v_dual_mov_b32 v7, v10
	s_or_b32 s17, vcc_lo, s17
	s_delay_alu instid0(SALU_CYCLE_1)
	s_and_not1_b32 exec_lo, exec_lo, s17
	s_cbranch_execnz .LBB31_152
; %bb.153:                              ;   in Loop: Header=BB31_140 Depth=2
	s_or_b32 exec_lo, exec_lo, s17
	s_delay_alu instid0(SALU_CYCLE_1)
	s_and_not1_b32 s16, s16, exec_lo
	s_branch .LBB31_139
.LBB31_154:
	s_or_b32 exec_lo, exec_lo, s4
.LBB31_155:
	s_barrier
	buffer_gl0_inv
	s_and_saveexec_b32 s1, s2
	s_cbranch_execz .LBB31_162
; %bb.156:
	s_lshl_b64 s[4:5], s[34:35], 2
	s_delay_alu instid0(SALU_CYCLE_1)
	s_add_u32 s4, s10, s4
	s_addc_u32 s5, s11, s5
	s_load_b32 s1, s[4:5], 0x0
	s_waitcnt lgkmcnt(0)
	s_sub_i32 s1, s1, s22
	s_cmp_eq_u32 s0, 0
	s_mov_b32 s0, 0
	s_cselect_b32 s2, 1, 2
	s_cselect_b32 s4, 2, 1
	s_add_i32 s5, 0, 0x800
	s_branch .LBB31_158
.LBB31_157:                             ;   in Loop: Header=BB31_158 Depth=1
	s_or_b32 exec_lo, exec_lo, s6
	v_add_nc_u32_e32 v1, 0x100, v0
	v_cmp_lt_u32_e32 vcc_lo, 0xff, v0
	s_delay_alu instid0(VALU_DEP_2) | instskip(SKIP_1) | instid1(SALU_CYCLE_1)
	v_mov_b32_e32 v0, v1
	s_or_b32 s0, vcc_lo, s0
	s_and_not1_b32 exec_lo, exec_lo, s0
	s_cbranch_execz .LBB31_162
.LBB31_158:                             ; =>This Loop Header: Depth=1
                                        ;     Child Loop BB31_160 Depth 2
	s_delay_alu instid0(VALU_DEP_1)
	v_lshl_add_u32 v1, v0, 2, 0
	s_mov_b32 s6, exec_lo
	ds_load_b32 v3, v1
	s_waitcnt lgkmcnt(0)
	v_cmpx_gt_i32_e64 s3, v3
	s_cbranch_execz .LBB31_157
; %bb.159:                              ;   in Loop: Header=BB31_158 Depth=1
	v_mov_b32_e32 v1, s1
	s_mov_b32 s7, 0
.LBB31_160:                             ;   Parent Loop BB31_158 Depth=1
                                        ; =>  This Inner Loop Header: Depth=2
	s_delay_alu instid0(SALU_CYCLE_1)
	s_add_i32 s8, s7, 0
	s_add_i32 s7, s7, 64
	v_mov_b32_e32 v2, s8
	s_cmpk_lg_i32 s7, 0x800
	ds_load_2addr_b32 v[4:5], v2 offset1:1
	ds_load_2addr_b32 v[6:7], v2 offset0:2 offset1:3
	ds_load_2addr_b32 v[8:9], v2 offset0:4 offset1:5
	;; [unrolled: 1-line block ×7, first 2 shown]
	s_waitcnt lgkmcnt(7)
	v_cmp_gt_i32_e32 vcc_lo, v3, v4
	v_cndmask_b32_e64 v2, 0, 1, vcc_lo
	s_waitcnt lgkmcnt(6)
	v_cmp_gt_i32_e32 vcc_lo, v3, v6
	v_cndmask_b32_e64 v4, 0, 1, vcc_lo
	v_cmp_gt_i32_e32 vcc_lo, v3, v5
	v_add_co_ci_u32_e32 v1, vcc_lo, v1, v2, vcc_lo
	s_waitcnt lgkmcnt(5)
	v_cmp_gt_i32_e32 vcc_lo, v3, v8
	v_cndmask_b32_e64 v2, 0, 1, vcc_lo
	v_cmp_gt_i32_e32 vcc_lo, v3, v7
	v_add_co_ci_u32_e32 v1, vcc_lo, v1, v4, vcc_lo
	;; [unrolled: 5-line block ×7, first 2 shown]
	v_cmp_gt_i32_e32 vcc_lo, v3, v19
	s_delay_alu instid0(VALU_DEP_2)
	v_add_co_ci_u32_e32 v1, vcc_lo, v1, v4, vcc_lo
	s_cbranch_scc1 .LBB31_160
; %bb.161:                              ;   in Loop: Header=BB31_158 Depth=1
	v_lshl_add_u32 v2, v0, 5, s5
	s_delay_alu instid0(VALU_DEP_2) | instskip(SKIP_3) | instid1(VALU_DEP_1)
	v_lshlrev_b32_e32 v12, 2, v1
	v_add_nc_u32_e32 v3, s22, v3
	ds_load_2addr_b64 v[4:7], v2 offset1:3
	v_lshlrev_b32_e32 v2, 2, v0
	v_or_b32_e32 v9, s4, v2
	s_delay_alu instid0(VALU_DEP_1) | instskip(SKIP_4) | instid1(VALU_DEP_2)
	v_lshl_add_u32 v13, v9, 3, s5
	s_waitcnt lgkmcnt(0)
	v_mov_b32_e32 v9, v5
	v_or_b32_e32 v8, s2, v2
	v_ashrrev_i32_e32 v2, 31, v1
	v_lshl_add_u32 v10, v8, 3, s5
	v_mov_b32_e32 v8, v4
	s_delay_alu instid0(VALU_DEP_3)
	v_lshlrev_b64 v[1:2], 2, v[1:2]
	ds_load_b64 v[10:11], v10
	ds_load_b64 v[4:5], v13
	v_ashrrev_i32_e32 v13, 31, v12
	v_add_co_u32 v1, vcc_lo, s24, v1
	v_add_co_ci_u32_e32 v2, vcc_lo, s25, v2, vcc_lo
	s_delay_alu instid0(VALU_DEP_3) | instskip(NEXT) | instid1(VALU_DEP_1)
	v_lshlrev_b64 v[12:13], 3, v[12:13]
	v_add_co_u32 v12, vcc_lo, s26, v12
	s_delay_alu instid0(VALU_DEP_2)
	v_add_co_ci_u32_e32 v13, vcc_lo, s27, v13, vcc_lo
	global_store_b32 v[1:2], v3, off
	s_waitcnt lgkmcnt(1)
	global_store_b128 v[12:13], v[8:11], off
	s_waitcnt lgkmcnt(0)
	global_store_b128 v[12:13], v[4:7], off offset:16
	s_branch .LBB31_157
.LBB31_162:
	s_nop 0
	s_sendmsg sendmsg(MSG_DEALLOC_VGPRS)
	s_endpgm
	.section	.rodata,"a",@progbits
	.p2align	6, 0x0
	.amdhsa_kernel _ZN9rocsparseL30bsrgemm_fill_block_per_row_2x2ILj256ELj16ELj512ELj137EiidEEv20rocsparse_direction_T4_S2_PKS2_S4_NS_24const_host_device_scalarIT5_EEPKT3_S4_PKS6_SA_S4_SC_S7_SA_S4_SC_SA_PS2_PS6_21rocsparse_index_base_SF_SF_SF_bbb
		.amdhsa_group_segment_fixed_size 0
		.amdhsa_private_segment_fixed_size 0
		.amdhsa_kernarg_size 164
		.amdhsa_user_sgpr_count 15
		.amdhsa_user_sgpr_dispatch_ptr 0
		.amdhsa_user_sgpr_queue_ptr 0
		.amdhsa_user_sgpr_kernarg_segment_ptr 1
		.amdhsa_user_sgpr_dispatch_id 0
		.amdhsa_user_sgpr_private_segment_size 0
		.amdhsa_wavefront_size32 1
		.amdhsa_uses_dynamic_stack 0
		.amdhsa_enable_private_segment 0
		.amdhsa_system_sgpr_workgroup_id_x 1
		.amdhsa_system_sgpr_workgroup_id_y 0
		.amdhsa_system_sgpr_workgroup_id_z 0
		.amdhsa_system_sgpr_workgroup_info 0
		.amdhsa_system_vgpr_workitem_id 0
		.amdhsa_next_free_vgpr 35
		.amdhsa_next_free_sgpr 46
		.amdhsa_reserve_vcc 1
		.amdhsa_float_round_mode_32 0
		.amdhsa_float_round_mode_16_64 0
		.amdhsa_float_denorm_mode_32 3
		.amdhsa_float_denorm_mode_16_64 3
		.amdhsa_dx10_clamp 1
		.amdhsa_ieee_mode 1
		.amdhsa_fp16_overflow 0
		.amdhsa_workgroup_processor_mode 1
		.amdhsa_memory_ordered 1
		.amdhsa_forward_progress 0
		.amdhsa_shared_vgpr_count 0
		.amdhsa_exception_fp_ieee_invalid_op 0
		.amdhsa_exception_fp_denorm_src 0
		.amdhsa_exception_fp_ieee_div_zero 0
		.amdhsa_exception_fp_ieee_overflow 0
		.amdhsa_exception_fp_ieee_underflow 0
		.amdhsa_exception_fp_ieee_inexact 0
		.amdhsa_exception_int_div_zero 0
	.end_amdhsa_kernel
	.section	.text._ZN9rocsparseL30bsrgemm_fill_block_per_row_2x2ILj256ELj16ELj512ELj137EiidEEv20rocsparse_direction_T4_S2_PKS2_S4_NS_24const_host_device_scalarIT5_EEPKT3_S4_PKS6_SA_S4_SC_S7_SA_S4_SC_SA_PS2_PS6_21rocsparse_index_base_SF_SF_SF_bbb,"axG",@progbits,_ZN9rocsparseL30bsrgemm_fill_block_per_row_2x2ILj256ELj16ELj512ELj137EiidEEv20rocsparse_direction_T4_S2_PKS2_S4_NS_24const_host_device_scalarIT5_EEPKT3_S4_PKS6_SA_S4_SC_S7_SA_S4_SC_SA_PS2_PS6_21rocsparse_index_base_SF_SF_SF_bbb,comdat
.Lfunc_end31:
	.size	_ZN9rocsparseL30bsrgemm_fill_block_per_row_2x2ILj256ELj16ELj512ELj137EiidEEv20rocsparse_direction_T4_S2_PKS2_S4_NS_24const_host_device_scalarIT5_EEPKT3_S4_PKS6_SA_S4_SC_S7_SA_S4_SC_SA_PS2_PS6_21rocsparse_index_base_SF_SF_SF_bbb, .Lfunc_end31-_ZN9rocsparseL30bsrgemm_fill_block_per_row_2x2ILj256ELj16ELj512ELj137EiidEEv20rocsparse_direction_T4_S2_PKS2_S4_NS_24const_host_device_scalarIT5_EEPKT3_S4_PKS6_SA_S4_SC_S7_SA_S4_SC_SA_PS2_PS6_21rocsparse_index_base_SF_SF_SF_bbb
                                        ; -- End function
	.section	.AMDGPU.csdata,"",@progbits
; Kernel info:
; codeLenInByte = 5536
; NumSgprs: 48
; NumVgprs: 35
; ScratchSize: 0
; MemoryBound: 0
; FloatMode: 240
; IeeeMode: 1
; LDSByteSize: 0 bytes/workgroup (compile time only)
; SGPRBlocks: 5
; VGPRBlocks: 4
; NumSGPRsForWavesPerEU: 48
; NumVGPRsForWavesPerEU: 35
; Occupancy: 16
; WaveLimiterHint : 1
; COMPUTE_PGM_RSRC2:SCRATCH_EN: 0
; COMPUTE_PGM_RSRC2:USER_SGPR: 15
; COMPUTE_PGM_RSRC2:TRAP_HANDLER: 0
; COMPUTE_PGM_RSRC2:TGID_X_EN: 1
; COMPUTE_PGM_RSRC2:TGID_Y_EN: 0
; COMPUTE_PGM_RSRC2:TGID_Z_EN: 0
; COMPUTE_PGM_RSRC2:TIDIG_COMP_CNT: 0
	.section	.text._ZN9rocsparseL38bsrgemm_block_per_row_atomic_multipassILj256ELj256ELj2EiidEEv20rocsparse_direction_T3_S2_PKS2_S4_NS_24const_host_device_scalarIT4_EEPKT2_S4_PKS6_SA_S4_SC_S7_SA_S4_SC_SA_PS2_PS6_PS8_21rocsparse_index_base_SG_SG_SG_bbb,"axG",@progbits,_ZN9rocsparseL38bsrgemm_block_per_row_atomic_multipassILj256ELj256ELj2EiidEEv20rocsparse_direction_T3_S2_PKS2_S4_NS_24const_host_device_scalarIT4_EEPKT2_S4_PKS6_SA_S4_SC_S7_SA_S4_SC_SA_PS2_PS6_PS8_21rocsparse_index_base_SG_SG_SG_bbb,comdat
	.globl	_ZN9rocsparseL38bsrgemm_block_per_row_atomic_multipassILj256ELj256ELj2EiidEEv20rocsparse_direction_T3_S2_PKS2_S4_NS_24const_host_device_scalarIT4_EEPKT2_S4_PKS6_SA_S4_SC_S7_SA_S4_SC_SA_PS2_PS6_PS8_21rocsparse_index_base_SG_SG_SG_bbb ; -- Begin function _ZN9rocsparseL38bsrgemm_block_per_row_atomic_multipassILj256ELj256ELj2EiidEEv20rocsparse_direction_T3_S2_PKS2_S4_NS_24const_host_device_scalarIT4_EEPKT2_S4_PKS6_SA_S4_SC_S7_SA_S4_SC_SA_PS2_PS6_PS8_21rocsparse_index_base_SG_SG_SG_bbb
	.p2align	8
	.type	_ZN9rocsparseL38bsrgemm_block_per_row_atomic_multipassILj256ELj256ELj2EiidEEv20rocsparse_direction_T3_S2_PKS2_S4_NS_24const_host_device_scalarIT4_EEPKT2_S4_PKS6_SA_S4_SC_S7_SA_S4_SC_SA_PS2_PS6_PS8_21rocsparse_index_base_SG_SG_SG_bbb,@function
_ZN9rocsparseL38bsrgemm_block_per_row_atomic_multipassILj256ELj256ELj2EiidEEv20rocsparse_direction_T3_S2_PKS2_S4_NS_24const_host_device_scalarIT4_EEPKT2_S4_PKS6_SA_S4_SC_S7_SA_S4_SC_SA_PS2_PS6_PS8_21rocsparse_index_base_SG_SG_SG_bbb: ; @_ZN9rocsparseL38bsrgemm_block_per_row_atomic_multipassILj256ELj256ELj2EiidEEv20rocsparse_direction_T3_S2_PKS2_S4_NS_24const_host_device_scalarIT4_EEPKT2_S4_PKS6_SA_S4_SC_S7_SA_S4_SC_SA_PS2_PS6_PS8_21rocsparse_index_base_SG_SG_SG_bbb
; %bb.0:
	s_clause 0x3
	s_load_b32 s3, s[0:1], 0xa8
	s_load_b64 s[6:7], s[0:1], 0x20
	s_load_b128 s[36:39], s[0:1], 0x98
	s_load_b64 s[4:5], s[0:1], 0x58
	s_mov_b32 s2, s15
	s_waitcnt lgkmcnt(0)
	s_and_b32 s9, 1, s3
	s_bitcmp1_b32 s3, 16
	s_cselect_b32 s8, -1, 0
	s_cmp_eq_u32 s9, 1
	s_cselect_b32 s12, -1, 0
	s_delay_alu instid0(SALU_CYCLE_1)
	s_and_b32 s9, s12, exec_lo
	s_cselect_b32 s11, s7, 0
	s_cselect_b32 s10, s6, 0
	s_xor_b32 s9, s12, -1
	v_dual_mov_b32 v1, s10 :: v_dual_mov_b32 v2, s11
	s_or_b32 s9, s9, s8
	s_delay_alu instid0(SALU_CYCLE_1)
	s_and_b32 vcc_lo, exec_lo, s9
	s_cbranch_vccnz .LBB32_2
; %bb.1:
	v_dual_mov_b32 v1, s6 :: v_dual_mov_b32 v2, s7
	flat_load_b64 v[1:2], v[1:2]
.LBB32_2:
	s_load_b64 s[6:7], s[0:1], 0x18
	s_bitcmp1_b32 s3, 8
	s_cselect_b32 s15, -1, 0
	s_delay_alu instid0(SALU_CYCLE_1)
	s_and_b32 s3, s15, exec_lo
	s_cselect_b32 s11, s5, 0
	s_cselect_b32 s10, s4, 0
	s_xor_b32 s3, s15, -1
	v_dual_mov_b32 v3, s10 :: v_dual_mov_b32 v4, s11
	s_or_b32 s3, s3, s8
	s_delay_alu instid0(SALU_CYCLE_1)
	s_and_b32 vcc_lo, exec_lo, s3
	s_cbranch_vccnz .LBB32_4
; %bb.3:
	v_dual_mov_b32 v3, s4 :: v_dual_mov_b32 v4, s5
	flat_load_b64 v[3:4], v[3:4]
.LBB32_4:
	s_load_b64 s[4:5], s[0:1], 0x28
	s_waitcnt lgkmcnt(0)
	s_cmp_eq_u64 s[6:7], 0
	s_cbranch_scc1 .LBB32_6
; %bb.5:
	s_load_b64 s[8:9], s[0:1], 0x10
	s_waitcnt lgkmcnt(0)
	s_load_b32 s3, s[8:9], 0x0
	s_waitcnt lgkmcnt(0)
	s_add_i32 s2, s3, s2
	s_mov_b32 s3, 0
	s_delay_alu instid0(SALU_CYCLE_1) | instskip(NEXT) | instid1(SALU_CYCLE_1)
	s_lshl_b64 s[2:3], s[2:3], 2
	s_add_u32 s2, s6, s2
	s_addc_u32 s3, s7, s3
	s_load_b32 s2, s[2:3], 0x0
.LBB32_6:
	s_mov_b32 s33, 0
	s_and_not1_b32 vcc_lo, exec_lo, s12
	s_mov_b32 s50, 0
	s_cbranch_vccz .LBB32_9
; %bb.7:
	s_and_not1_b32 vcc_lo, exec_lo, s12
	s_cbranch_vccz .LBB32_10
.LBB32_8:
	s_load_b128 s[40:43], s[0:1], 0x0
	s_waitcnt lgkmcnt(0)
	s_cmp_lt_i32 s41, 1
	s_cbranch_scc0 .LBB32_11
	s_branch .LBB32_99
.LBB32_9:
	s_waitcnt lgkmcnt(0)
	s_ashr_i32 s3, s2, 31
	s_delay_alu instid0(SALU_CYCLE_1) | instskip(NEXT) | instid1(SALU_CYCLE_1)
	s_lshl_b64 s[6:7], s[2:3], 2
	s_add_u32 s6, s4, s6
	s_addc_u32 s7, s5, s7
	s_load_b32 s3, s[6:7], 0x0
	s_waitcnt lgkmcnt(0)
	s_sub_i32 s50, s3, s36
	s_and_not1_b32 vcc_lo, exec_lo, s12
	s_cbranch_vccnz .LBB32_8
.LBB32_10:
	s_waitcnt lgkmcnt(0)
	s_ashr_i32 s3, s2, 31
	s_delay_alu instid0(SALU_CYCLE_1) | instskip(NEXT) | instid1(SALU_CYCLE_1)
	s_lshl_b64 s[6:7], s[2:3], 2
	s_add_u32 s4, s4, s6
	s_addc_u32 s5, s5, s7
	s_load_b32 s3, s[4:5], 0x4
	s_waitcnt lgkmcnt(0)
	s_sub_i32 s33, s3, s36
	s_load_b128 s[40:43], s[0:1], 0x0
	s_waitcnt lgkmcnt(0)
	s_cmp_lt_i32 s41, 1
	s_cbranch_scc1 .LBB32_99
.LBB32_11:
	s_clause 0x4
	s_load_b256 s[16:23], s[0:1], 0x60
	s_load_b64 s[34:35], s[0:1], 0x90
	s_load_b128 s[44:47], s[0:1], 0x80
	s_load_b64 s[48:49], s[0:1], 0x50
	s_load_b256 s[24:31], s[0:1], 0x30
	s_ashr_i32 s3, s2, 31
	v_bfe_u32 v6, v0, 1, 1
	s_lshl_b64 s[52:53], s[2:3], 2
	v_lshrrev_b32_e32 v20, 2, v0
	v_lshlrev_b32_e32 v8, 2, v0
	s_movk_i32 s43, 0x7f0
	v_lshlrev_b32_e32 v11, 3, v6
	v_cmp_gt_u32_e64 s0, 0x100, v0
	v_cmp_eq_u32_e64 s1, 0, v0
	v_cmp_lt_u32_e64 s4, 3, v0
	v_cmp_lt_u32_e64 s5, 7, v0
	;; [unrolled: 1-line block ×6, first 2 shown]
	s_waitcnt lgkmcnt(0)
	s_add_u32 s2, s22, s52
	s_addc_u32 s3, s23, s53
	v_add_co_u32 v9, s22, v0, -1
	s_load_b32 s11, s[2:3], 0x0
	v_cmp_ne_u32_e64 s2, 0, v0
	v_cmp_lt_u32_e64 s3, 1, v0
	s_delay_alu instid0(VALU_DEP_3) | instskip(SKIP_4) | instid1(VALU_DEP_4)
	v_lshl_add_u32 v26, v9, 2, 0x2800
	v_lshlrev_b32_e32 v9, 5, v20
	v_subrev_nc_u32_e32 v24, s39, v20
	v_mov_b32_e32 v39, 1
	v_mov_b32_e32 v41, 0x100
	v_or3_b32 v34, v9, v11, 0x2000
	v_mov_b32_e32 v9, 0
	v_lshlrev_b32_e32 v21, 3, v0
	v_or_b32_e32 v25, 0x2800, v8
	v_add_nc_u32_e32 v27, 0x27f8, v8
	v_add_nc_u32_e32 v28, 0x27f0, v8
	;; [unrolled: 1-line block ×7, first 2 shown]
	s_waitcnt lgkmcnt(0)
	s_sub_i32 s13, s11, s38
	s_delay_alu instid0(SALU_CYCLE_1) | instskip(SKIP_3) | instid1(VALU_DEP_2)
	v_dual_mov_b32 v38, s13 :: v_dual_and_b32 v5, 1, v0
	s_cmp_lt_i32 s50, s33
	v_mov_b32_e32 v40, v9
	s_cselect_b32 s14, -1, 0
	v_max_i32_e32 v10, v5, v6
	s_cmp_eq_u32 s40, 0
	s_cselect_b32 vcc_lo, -1, 0
	v_dual_cndmask_b32 v8, v6, v5 :: v_dual_and_b32 v7, 3, v0
	v_and_b32_e32 v22, 2, v0
	v_cmp_gt_i32_e64 s11, s42, v10
	v_and_b32_e32 v10, 0xfc, v0
	s_delay_alu instid0(VALU_DEP_4)
	v_cmp_eq_u32_e64 s10, 3, v7
	v_cndmask_b32_e32 v7, v5, v6, vcc_lo
	s_cmp_lg_u32 s40, 0
	v_or_b32_e32 v0, 0xffffff00, v0
	v_or3_b32 v12, v10, v22, v5
	s_cselect_b32 s23, -1, 0
	s_cmp_gt_i32 s42, 0
	v_or_b32_e32 v37, 0x2800, v10
	s_cselect_b32 s40, -1, 0
	s_add_u32 s16, s16, s52
	v_lshlrev_b32_e32 v36, 3, v12
	v_mov_b32_e32 v10, v9
	v_or_b32_e32 v23, 0x2000, v21
	v_and_or_b32 v35, v21, s43, 0x2000
	s_addc_u32 s17, s17, s53
	s_and_b32 s43, s12, s14
	s_add_u32 s51, s28, 4
	s_addc_u32 s52, s29, 0
	s_mul_i32 s53, s42, s42
	s_branch .LBB32_13
.LBB32_12:                              ;   in Loop: Header=BB32_13 Depth=1
	s_set_inst_prefetch_distance 0x2
	s_or_b32 exec_lo, exec_lo, s12
	s_waitcnt_vscnt null, 0x0
	s_barrier
	buffer_gl0_inv
	ds_load_b32 v40, v9 offset:11264
	v_add_nc_u32_e32 v38, v13, v38
	s_waitcnt lgkmcnt(0)
	s_barrier
	buffer_gl0_inv
	v_cmp_le_i32_e32 vcc_lo, s41, v40
	v_add_nc_u32_e32 v41, 0x100, v40
	s_cbranch_vccnz .LBB32_99
.LBB32_13:                              ; =>This Loop Header: Depth=1
                                        ;     Child Loop BB32_16 Depth 2
                                        ;     Child Loop BB32_22 Depth 2
                                        ;       Child Loop BB32_34 Depth 3
                                        ;         Child Loop BB32_43 Depth 4
                                        ;         Child Loop BB32_48 Depth 4
	;; [unrolled: 1-line block ×3, first 2 shown]
                                        ;     Child Loop BB32_61 Depth 2
                                        ;       Child Loop BB32_66 Depth 3
                                        ;     Child Loop BB32_71 Depth 2
                                        ;     Child Loop BB32_96 Depth 2
	s_and_saveexec_b32 s12, s0
	s_cbranch_execz .LBB32_15
; %bb.14:                               ;   in Loop: Header=BB32_13 Depth=1
	ds_store_b32 v25, v9
.LBB32_15:                              ;   in Loop: Header=BB32_13 Depth=1
	s_or_b32 exec_lo, exec_lo, s12
	v_dual_mov_b32 v11, v21 :: v_dual_mov_b32 v12, v0
	s_mov_b32 s12, 0
.LBB32_16:                              ;   Parent Loop BB32_13 Depth=1
                                        ; =>  This Inner Loop Header: Depth=2
	s_delay_alu instid0(VALU_DEP_1) | instskip(SKIP_4) | instid1(SALU_CYCLE_1)
	v_add_nc_u32_e32 v12, 0x100, v12
	ds_store_b64 v11, v[9:10]
	v_add_nc_u32_e32 v11, 0x800, v11
	v_cmp_lt_u32_e32 vcc_lo, 0x2ff, v12
	s_or_b32 s12, vcc_lo, s12
	s_and_not1_b32 exec_lo, exec_lo, s12
	s_cbranch_execnz .LBB32_16
; %bb.17:                               ;   in Loop: Header=BB32_13 Depth=1
	s_or_b32 exec_lo, exec_lo, s12
	s_and_saveexec_b32 s12, s1
	s_cbranch_execz .LBB32_19
; %bb.18:                               ;   in Loop: Header=BB32_13 Depth=1
	v_mov_b32_e32 v11, s41
	ds_store_b32 v9, v11 offset:11264
.LBB32_19:                              ;   in Loop: Header=BB32_13 Depth=1
	s_or_b32 exec_lo, exec_lo, s12
	v_mov_b32_e32 v42, s41
	s_and_not1_b32 vcc_lo, exec_lo, s43
	s_waitcnt vmcnt(0) lgkmcnt(0)
	s_barrier
	buffer_gl0_inv
	s_cbranch_vccnz .LBB32_56
; %bb.20:                               ;   in Loop: Header=BB32_13 Depth=1
	v_cmp_ne_u32_e64 s12, 0, v40
	v_mov_b32_e32 v42, s41
	s_mov_b32 s54, s50
	s_branch .LBB32_22
.LBB32_21:                              ;   in Loop: Header=BB32_22 Depth=2
	s_or_b32 exec_lo, exec_lo, s14
	s_add_i32 s54, s54, 64
	s_delay_alu instid0(SALU_CYCLE_1)
	s_cmp_lt_i32 s54, s33
	s_cbranch_scc0 .LBB32_56
.LBB32_22:                              ;   Parent Loop BB32_13 Depth=1
                                        ; =>  This Loop Header: Depth=2
                                        ;       Child Loop BB32_34 Depth 3
                                        ;         Child Loop BB32_43 Depth 4
                                        ;         Child Loop BB32_48 Depth 4
	;; [unrolled: 1-line block ×3, first 2 shown]
	v_add_nc_u32_e32 v11, s54, v20
	s_waitcnt_vscnt null, 0x0
	s_barrier
	buffer_gl0_inv
	v_cmp_gt_i32_e64 s13, s33, v11
	s_delay_alu instid0(VALU_DEP_1)
	s_and_saveexec_b32 s14, s13
	s_cbranch_execz .LBB32_26
; %bb.23:                               ;   in Loop: Header=BB32_22 Depth=2
	v_mov_b32_e32 v12, 0
	v_mov_b32_e32 v13, 0
	s_and_saveexec_b32 s55, s11
	s_cbranch_execz .LBB32_25
; %bb.24:                               ;   in Loop: Header=BB32_22 Depth=2
	v_mad_u64_u32 v[12:13], null, v11, s42, v[6:7]
	s_delay_alu instid0(VALU_DEP_1) | instskip(NEXT) | instid1(VALU_DEP_1)
	v_mad_u64_u32 v[13:14], null, v12, s42, v[5:6]
	v_ashrrev_i32_e32 v14, 31, v13
	s_delay_alu instid0(VALU_DEP_1) | instskip(NEXT) | instid1(VALU_DEP_1)
	v_lshlrev_b64 v[12:13], 3, v[13:14]
	v_add_co_u32 v12, vcc_lo, s26, v12
	s_delay_alu instid0(VALU_DEP_2)
	v_add_co_ci_u32_e32 v13, vcc_lo, s27, v13, vcc_lo
	global_load_b64 v[12:13], v[12:13], off
.LBB32_25:                              ;   in Loop: Header=BB32_22 Depth=2
	s_or_b32 exec_lo, exec_lo, s55
	s_waitcnt vmcnt(0)
	ds_store_b64 v23, v[12:13]
.LBB32_26:                              ;   in Loop: Header=BB32_22 Depth=2
	s_or_b32 exec_lo, exec_lo, s14
	v_mov_b32_e32 v13, 0
	v_ashrrev_i32_e32 v12, 31, v11
	s_waitcnt lgkmcnt(0)
	s_barrier
	buffer_gl0_inv
	s_and_saveexec_b32 s55, s13
	s_cbranch_execz .LBB32_53
; %bb.27:                               ;   in Loop: Header=BB32_22 Depth=2
	v_lshlrev_b64 v[16:17], 2, v[11:12]
	s_delay_alu instid0(VALU_DEP_1) | instskip(NEXT) | instid1(VALU_DEP_2)
	v_add_co_u32 v13, vcc_lo, s24, v16
	v_add_co_ci_u32_e32 v14, vcc_lo, s25, v17, vcc_lo
	s_and_b32 vcc_lo, exec_lo, s12
	global_load_b32 v13, v[13:14], off
	s_waitcnt vmcnt(0)
	v_subrev_nc_u32_e32 v14, s36, v13
	s_delay_alu instid0(VALU_DEP_1)
	v_ashrrev_i32_e32 v15, 31, v14
	s_cbranch_vccz .LBB32_55
; %bb.28:                               ;   in Loop: Header=BB32_22 Depth=2
	v_add_co_u32 v16, vcc_lo, s34, v16
	v_add_co_ci_u32_e32 v17, vcc_lo, s35, v17, vcc_lo
	global_load_b32 v13, v[16:17], off
	s_cbranch_execnz .LBB32_30
.LBB32_29:                              ;   in Loop: Header=BB32_22 Depth=2
	s_delay_alu instid0(VALU_DEP_1) | instskip(NEXT) | instid1(VALU_DEP_1)
	v_lshlrev_b64 v[16:17], 2, v[14:15]
	v_add_co_u32 v16, vcc_lo, s28, v16
	s_delay_alu instid0(VALU_DEP_2)
	v_add_co_ci_u32_e32 v17, vcc_lo, s29, v17, vcc_lo
	global_load_b32 v13, v[16:17], off
	s_waitcnt vmcnt(0)
	v_subrev_nc_u32_e32 v13, s37, v13
.LBB32_30:                              ;   in Loop: Header=BB32_22 Depth=2
	v_lshlrev_b64 v[14:15], 2, v[14:15]
	s_mov_b32 s56, exec_lo
	s_delay_alu instid0(VALU_DEP_1) | instskip(NEXT) | instid1(VALU_DEP_2)
	v_add_co_u32 v14, vcc_lo, s51, v14
	v_add_co_ci_u32_e32 v15, vcc_lo, s52, v15, vcc_lo
	global_load_b32 v14, v[14:15], off
	s_waitcnt vmcnt(0)
	v_subrev_nc_u32_e32 v43, s37, v14
	s_delay_alu instid0(VALU_DEP_1)
	v_cmpx_lt_i32_e64 v13, v43
	s_cbranch_execz .LBB32_52
; %bb.31:                               ;   in Loop: Header=BB32_22 Depth=2
	v_mad_u64_u32 v[14:15], null, s42, v13, v[5:6]
	v_mad_u64_u32 v[15:16], null, s53, v13, v[5:6]
	v_mov_b32_e32 v45, v13
	s_mov_b32 s57, 0
	s_delay_alu instid0(VALU_DEP_3)
	v_mul_lo_u32 v44, s42, v14
	s_branch .LBB32_34
.LBB32_32:                              ;   in Loop: Header=BB32_34 Depth=3
	s_or_b32 exec_lo, exec_lo, s60
	s_delay_alu instid0(SALU_CYCLE_1)
	s_or_b32 s58, s58, exec_lo
.LBB32_33:                              ;   in Loop: Header=BB32_34 Depth=3
	s_or_b32 exec_lo, exec_lo, s59
	v_add_nc_u32_e32 v13, 1, v13
	s_xor_b32 s14, s58, -1
	v_add_nc_u32_e32 v44, s53, v44
	v_add_nc_u32_e32 v15, s53, v15
	s_delay_alu instid0(VALU_DEP_3) | instskip(SKIP_1) | instid1(SALU_CYCLE_1)
	v_cmp_ge_i32_e32 vcc_lo, v13, v43
	s_or_b32 s14, s14, vcc_lo
	s_and_b32 s14, exec_lo, s14
	s_delay_alu instid0(SALU_CYCLE_1) | instskip(NEXT) | instid1(SALU_CYCLE_1)
	s_or_b32 s57, s14, s57
	s_and_not1_b32 exec_lo, exec_lo, s57
	s_cbranch_execz .LBB32_51
.LBB32_34:                              ;   Parent Loop BB32_13 Depth=1
                                        ;     Parent Loop BB32_22 Depth=2
                                        ; =>    This Loop Header: Depth=3
                                        ;         Child Loop BB32_43 Depth 4
                                        ;         Child Loop BB32_48 Depth 4
	;; [unrolled: 1-line block ×3, first 2 shown]
	v_ashrrev_i32_e32 v14, 31, v13
                                        ; implicit-def: $sgpr58
	s_delay_alu instid0(VALU_DEP_1) | instskip(NEXT) | instid1(VALU_DEP_1)
	v_lshlrev_b64 v[16:17], 2, v[13:14]
	v_add_co_u32 v16, vcc_lo, s30, v16
	s_delay_alu instid0(VALU_DEP_2) | instskip(SKIP_3) | instid1(VALU_DEP_1)
	v_add_co_ci_u32_e32 v17, vcc_lo, s31, v17, vcc_lo
	global_load_b32 v14, v[16:17], off
	s_waitcnt vmcnt(0)
	v_subrev_nc_u32_e32 v14, s37, v14
	v_cmp_lt_i32_e64 s14, v14, v40
	v_cmp_ge_i32_e32 vcc_lo, v14, v41
	s_delay_alu instid0(VALU_DEP_2) | instskip(NEXT) | instid1(SALU_CYCLE_1)
	s_or_b32 s14, s14, vcc_lo
	s_and_saveexec_b32 s59, s14
	s_delay_alu instid0(SALU_CYCLE_1)
	s_xor_b32 s14, exec_lo, s59
	s_cbranch_execz .LBB32_38
; %bb.35:                               ;   in Loop: Header=BB32_34 Depth=3
	s_mov_b32 s58, -1
	s_and_saveexec_b32 s59, vcc_lo
; %bb.36:                               ;   in Loop: Header=BB32_34 Depth=3
	v_min_i32_e32 v42, v14, v42
	v_mov_b32_e32 v45, v13
	s_xor_b32 s58, exec_lo, -1
; %bb.37:                               ;   in Loop: Header=BB32_34 Depth=3
	s_or_b32 exec_lo, exec_lo, s59
	s_delay_alu instid0(SALU_CYCLE_1)
	s_and_b32 s58, s58, exec_lo
                                        ; implicit-def: $vgpr14
.LBB32_38:                              ;   in Loop: Header=BB32_34 Depth=3
	s_and_not1_saveexec_b32 s59, s14
	s_cbranch_execz .LBB32_33
; %bb.39:                               ;   in Loop: Header=BB32_34 Depth=3
	v_sub_nc_u32_e32 v14, v14, v40
	s_delay_alu instid0(VALU_DEP_1)
	v_lshlrev_b32_e32 v14, 2, v14
	ds_store_b32 v14, v39 offset:10240
	s_and_saveexec_b32 s60, s11
	s_cbranch_execz .LBB32_32
; %bb.40:                               ;   in Loop: Header=BB32_34 Depth=3
	v_cndmask_b32_e64 v16, 0, 1, s40
	s_and_not1_b32 vcc_lo, exec_lo, s23
	s_delay_alu instid0(VALU_DEP_1)
	v_cmp_ne_u32_e64 s14, 1, v16
	s_cbranch_vccnz .LBB32_45
; %bb.41:                               ;   in Loop: Header=BB32_34 Depth=3
	v_mov_b32_e32 v16, 0
	v_mov_b32_e32 v17, 0
	s_delay_alu instid0(VALU_DEP_3)
	s_and_b32 vcc_lo, exec_lo, s14
	s_cbranch_vccnz .LBB32_44
; %bb.42:                               ;   in Loop: Header=BB32_34 Depth=3
	v_mov_b32_e32 v18, v44
	v_mov_b32_e32 v46, v34
	s_mov_b32 s14, s42
	.p2align	6
.LBB32_43:                              ;   Parent Loop BB32_13 Depth=1
                                        ;     Parent Loop BB32_22 Depth=2
                                        ;       Parent Loop BB32_34 Depth=3
                                        ; =>      This Inner Loop Header: Depth=4
	s_delay_alu instid0(VALU_DEP_2) | instskip(SKIP_3) | instid1(SALU_CYCLE_1)
	v_ashrrev_i32_e32 v19, 31, v18
	ds_load_b64 v[49:50], v46
	v_add_nc_u32_e32 v46, 16, v46
	s_add_i32 s14, s14, -1
	s_cmp_lg_u32 s14, 0
	v_lshlrev_b64 v[47:48], 3, v[18:19]
	v_add_nc_u32_e32 v18, 1, v18
	s_delay_alu instid0(VALU_DEP_2) | instskip(NEXT) | instid1(VALU_DEP_3)
	v_add_co_u32 v47, vcc_lo, s48, v47
	v_add_co_ci_u32_e32 v48, vcc_lo, s49, v48, vcc_lo
	global_load_b64 v[47:48], v[47:48], off
	s_waitcnt vmcnt(0) lgkmcnt(0)
	v_fma_f64 v[16:17], v[49:50], v[47:48], v[16:17]
	s_cbranch_scc1 .LBB32_43
.LBB32_44:                              ;   in Loop: Header=BB32_34 Depth=3
	s_cbranch_execz .LBB32_46
	s_branch .LBB32_49
.LBB32_45:                              ;   in Loop: Header=BB32_34 Depth=3
                                        ; implicit-def: $vgpr16_vgpr17
.LBB32_46:                              ;   in Loop: Header=BB32_34 Depth=3
	v_mov_b32_e32 v16, 0
	v_mov_b32_e32 v17, 0
	s_and_not1_b32 vcc_lo, exec_lo, s40
	s_cbranch_vccnz .LBB32_49
; %bb.47:                               ;   in Loop: Header=BB32_34 Depth=3
	v_mov_b32_e32 v46, v35
	v_mov_b32_e32 v18, v15
	s_mov_b32 s14, s42
	.p2align	6
.LBB32_48:                              ;   Parent Loop BB32_13 Depth=1
                                        ;     Parent Loop BB32_22 Depth=2
                                        ;       Parent Loop BB32_34 Depth=3
                                        ; =>      This Inner Loop Header: Depth=4
	s_delay_alu instid0(VALU_DEP_1) | instskip(SKIP_3) | instid1(SALU_CYCLE_1)
	v_ashrrev_i32_e32 v19, 31, v18
	ds_load_b64 v[49:50], v46
	v_add_nc_u32_e32 v46, 8, v46
	s_add_i32 s14, s14, -1
	s_cmp_eq_u32 s14, 0
	v_lshlrev_b64 v[47:48], 3, v[18:19]
	v_add_nc_u32_e32 v18, s42, v18
	s_delay_alu instid0(VALU_DEP_2) | instskip(NEXT) | instid1(VALU_DEP_3)
	v_add_co_u32 v47, vcc_lo, s48, v47
	v_add_co_ci_u32_e32 v48, vcc_lo, s49, v48, vcc_lo
	global_load_b64 v[47:48], v[47:48], off
	s_waitcnt vmcnt(0) lgkmcnt(0)
	v_fma_f64 v[16:17], v[49:50], v[47:48], v[16:17]
	s_cbranch_scc0 .LBB32_48
.LBB32_49:                              ;   in Loop: Header=BB32_34 Depth=3
	s_delay_alu instid0(VALU_DEP_1) | instskip(SKIP_2) | instid1(VALU_DEP_1)
	v_mul_f64 v[16:17], v[1:2], v[16:17]
	v_or3_b32 v14, v14, v22, v5
	s_mov_b32 s14, 0
	v_lshlrev_b32_e32 v14, 3, v14
	ds_load_b64 v[18:19], v14
.LBB32_50:                              ;   Parent Loop BB32_13 Depth=1
                                        ;     Parent Loop BB32_22 Depth=2
                                        ;       Parent Loop BB32_34 Depth=3
                                        ; =>      This Inner Loop Header: Depth=4
	s_waitcnt lgkmcnt(0)
	v_add_f64 v[46:47], v[18:19], v[16:17]
	ds_cmpstore_rtn_b64 v[46:47], v14, v[46:47], v[18:19]
	s_waitcnt lgkmcnt(0)
	v_cmp_eq_u64_e32 vcc_lo, v[46:47], v[18:19]
	v_dual_mov_b32 v18, v46 :: v_dual_mov_b32 v19, v47
	s_or_b32 s14, vcc_lo, s14
	s_delay_alu instid0(SALU_CYCLE_1)
	s_and_not1_b32 exec_lo, exec_lo, s14
	s_cbranch_execnz .LBB32_50
	s_branch .LBB32_32
.LBB32_51:                              ;   in Loop: Header=BB32_22 Depth=2
	s_or_b32 exec_lo, exec_lo, s57
	v_mov_b32_e32 v13, v45
.LBB32_52:                              ;   in Loop: Header=BB32_22 Depth=2
	s_or_b32 exec_lo, exec_lo, s56
.LBB32_53:                              ;   in Loop: Header=BB32_22 Depth=2
	s_delay_alu instid0(SALU_CYCLE_1)
	s_or_b32 exec_lo, exec_lo, s55
	s_waitcnt lgkmcnt(0)
	s_barrier
	buffer_gl0_inv
	s_and_saveexec_b32 s14, s13
	s_cbranch_execz .LBB32_21
; %bb.54:                               ;   in Loop: Header=BB32_22 Depth=2
	v_lshlrev_b64 v[11:12], 2, v[11:12]
	s_delay_alu instid0(VALU_DEP_1) | instskip(NEXT) | instid1(VALU_DEP_2)
	v_add_co_u32 v11, vcc_lo, s34, v11
	v_add_co_ci_u32_e32 v12, vcc_lo, s35, v12, vcc_lo
	global_store_b32 v[11:12], v13, off
	s_branch .LBB32_21
.LBB32_55:                              ;   in Loop: Header=BB32_22 Depth=2
                                        ; implicit-def: $vgpr13
	s_branch .LBB32_29
.LBB32_56:                              ;   in Loop: Header=BB32_13 Depth=1
	s_and_not1_b32 vcc_lo, exec_lo, s15
	s_cbranch_vccnz .LBB32_69
; %bb.57:                               ;   in Loop: Header=BB32_13 Depth=1
	s_load_b64 s[12:13], s[16:17], 0x0
	s_mov_b32 s14, exec_lo
	s_waitcnt lgkmcnt(0)
	v_add_nc_u32_e32 v11, s12, v24
	s_sub_i32 s54, s13, s39
	s_delay_alu instid0(VALU_DEP_1) | instid1(SALU_CYCLE_1)
	v_cmpx_gt_i32_e64 s54, v11
	s_cbranch_execz .LBB32_68
; %bb.58:                               ;   in Loop: Header=BB32_13 Depth=1
	s_mov_b32 s55, 0
	s_branch .LBB32_61
.LBB32_59:                              ;   in Loop: Header=BB32_61 Depth=2
	s_or_b32 exec_lo, exec_lo, s56
	s_delay_alu instid0(SALU_CYCLE_1)
	s_or_b32 s12, s12, exec_lo
.LBB32_60:                              ;   in Loop: Header=BB32_61 Depth=2
	s_or_b32 exec_lo, exec_lo, s13
	v_add_nc_u32_e32 v11, 64, v11
	s_xor_b32 s12, s12, -1
	s_delay_alu instid0(VALU_DEP_1) | instskip(SKIP_1) | instid1(SALU_CYCLE_1)
	v_cmp_le_i32_e32 vcc_lo, s54, v11
	s_or_b32 s12, vcc_lo, s12
	s_and_b32 s12, exec_lo, s12
	s_delay_alu instid0(SALU_CYCLE_1) | instskip(NEXT) | instid1(SALU_CYCLE_1)
	s_or_b32 s55, s12, s55
	s_and_not1_b32 exec_lo, exec_lo, s55
	s_cbranch_execz .LBB32_67
.LBB32_61:                              ;   Parent Loop BB32_13 Depth=1
                                        ; =>  This Loop Header: Depth=2
                                        ;       Child Loop BB32_66 Depth 3
	v_ashrrev_i32_e32 v12, 31, v11
	s_delay_alu instid0(VALU_DEP_1) | instskip(NEXT) | instid1(VALU_DEP_1)
	v_lshlrev_b64 v[12:13], 2, v[11:12]
	v_add_co_u32 v12, vcc_lo, s18, v12
	s_delay_alu instid0(VALU_DEP_2) | instskip(SKIP_3) | instid1(VALU_DEP_1)
	v_add_co_ci_u32_e32 v13, vcc_lo, s19, v13, vcc_lo
	global_load_b32 v12, v[12:13], off
	s_waitcnt vmcnt(0)
	v_subrev_nc_u32_e32 v12, s39, v12
	v_cmp_lt_i32_e64 s12, v12, v40
	v_cmp_ge_i32_e64 s13, v12, v41
	v_cmp_lt_i32_e32 vcc_lo, v12, v41
	s_delay_alu instid0(VALU_DEP_2) | instskip(NEXT) | instid1(SALU_CYCLE_1)
	s_or_b32 s13, s12, s13
                                        ; implicit-def: $sgpr12
	s_and_saveexec_b32 s56, s13
	s_delay_alu instid0(SALU_CYCLE_1)
	s_xor_b32 s13, exec_lo, s56
; %bb.62:                               ;   in Loop: Header=BB32_61 Depth=2
	v_min_i32_e32 v12, v12, v42
	s_and_b32 s12, vcc_lo, exec_lo
	s_delay_alu instid0(VALU_DEP_1)
	v_cndmask_b32_e32 v42, v12, v42, vcc_lo
                                        ; implicit-def: $vgpr12
; %bb.63:                               ;   in Loop: Header=BB32_61 Depth=2
	s_and_not1_saveexec_b32 s13, s13
	s_cbranch_execz .LBB32_60
; %bb.64:                               ;   in Loop: Header=BB32_61 Depth=2
	v_sub_nc_u32_e32 v12, v12, v40
	s_delay_alu instid0(VALU_DEP_1)
	v_lshlrev_b32_e32 v14, 2, v12
	ds_store_b32 v14, v39 offset:10240
	s_and_saveexec_b32 s56, s11
	s_cbranch_execz .LBB32_59
; %bb.65:                               ;   in Loop: Header=BB32_61 Depth=2
	v_mad_u64_u32 v[12:13], null, v11, s42, v[7:8]
	v_or3_b32 v14, v14, v22, v5
	s_mov_b32 s57, 0
	s_delay_alu instid0(VALU_DEP_2) | instskip(NEXT) | instid1(VALU_DEP_1)
	v_mad_u64_u32 v[15:16], null, v12, s42, v[8:9]
	v_ashrrev_i32_e32 v16, 31, v15
	s_delay_alu instid0(VALU_DEP_1)
	v_lshlrev_b64 v[12:13], 3, v[15:16]
	v_lshlrev_b32_e32 v16, 3, v14
	ds_load_b64 v[14:15], v16
	v_add_co_u32 v12, vcc_lo, s20, v12
	v_add_co_ci_u32_e32 v13, vcc_lo, s21, v13, vcc_lo
	global_load_b64 v[12:13], v[12:13], off
	s_waitcnt vmcnt(0)
	v_mul_f64 v[12:13], v[3:4], v[12:13]
.LBB32_66:                              ;   Parent Loop BB32_13 Depth=1
                                        ;     Parent Loop BB32_61 Depth=2
                                        ; =>    This Inner Loop Header: Depth=3
	s_waitcnt lgkmcnt(0)
	s_delay_alu instid0(VALU_DEP_1)
	v_add_f64 v[17:18], v[14:15], v[12:13]
	ds_cmpstore_rtn_b64 v[17:18], v16, v[17:18], v[14:15]
	s_waitcnt lgkmcnt(0)
	v_cmp_eq_u64_e32 vcc_lo, v[17:18], v[14:15]
	v_dual_mov_b32 v14, v17 :: v_dual_mov_b32 v15, v18
	s_or_b32 s57, vcc_lo, s57
	s_delay_alu instid0(SALU_CYCLE_1)
	s_and_not1_b32 exec_lo, exec_lo, s57
	s_cbranch_execnz .LBB32_66
	s_branch .LBB32_59
.LBB32_67:                              ;   in Loop: Header=BB32_13 Depth=1
	s_or_b32 exec_lo, exec_lo, s55
.LBB32_68:                              ;   in Loop: Header=BB32_13 Depth=1
	s_delay_alu instid0(SALU_CYCLE_1)
	s_or_b32 exec_lo, exec_lo, s14
.LBB32_69:                              ;   in Loop: Header=BB32_13 Depth=1
	s_and_saveexec_b32 s12, s10
	s_cbranch_execz .LBB32_74
; %bb.70:                               ;   in Loop: Header=BB32_13 Depth=1
	s_mov_b32 s14, exec_lo
	s_brev_b32 s13, -2
.LBB32_71:                              ;   Parent Loop BB32_13 Depth=1
                                        ; =>  This Inner Loop Header: Depth=2
	s_ctz_i32_b32 s54, s14
	s_delay_alu instid0(SALU_CYCLE_1) | instskip(SKIP_1) | instid1(SALU_CYCLE_1)
	v_readlane_b32 s55, v42, s54
	s_lshl_b32 s54, 1, s54
	s_and_not1_b32 s14, s14, s54
	s_delay_alu instid0(VALU_DEP_1)
	s_min_i32 s13, s13, s55
	s_cmp_lg_u32 s14, 0
	s_cbranch_scc1 .LBB32_71
; %bb.72:                               ;   in Loop: Header=BB32_13 Depth=1
	v_mbcnt_lo_u32_b32 v11, exec_lo, 0
	s_mov_b32 s14, exec_lo
	s_delay_alu instid0(VALU_DEP_1)
	v_cmpx_eq_u32_e32 0, v11
	s_xor_b32 s14, exec_lo, s14
	s_cbranch_execz .LBB32_74
; %bb.73:                               ;   in Loop: Header=BB32_13 Depth=1
	v_mov_b32_e32 v11, s13
	ds_min_i32 v9, v11 offset:11264
.LBB32_74:                              ;   in Loop: Header=BB32_13 Depth=1
	s_or_b32 exec_lo, exec_lo, s12
	s_waitcnt lgkmcnt(0)
	s_waitcnt_vscnt null, 0x0
	s_barrier
	buffer_gl0_inv
	ds_load_b32 v11, v25
	s_waitcnt lgkmcnt(0)
	s_barrier
	buffer_gl0_inv
	s_and_saveexec_b32 s12, s2
	s_cbranch_execz .LBB32_76
; %bb.75:                               ;   in Loop: Header=BB32_13 Depth=1
	ds_load_b32 v12, v26
	s_waitcnt lgkmcnt(0)
	v_add_nc_u32_e32 v11, v12, v11
.LBB32_76:                              ;   in Loop: Header=BB32_13 Depth=1
	s_or_b32 exec_lo, exec_lo, s12
	s_barrier
	buffer_gl0_inv
	ds_store_b32 v25, v11
	s_waitcnt lgkmcnt(0)
	s_barrier
	buffer_gl0_inv
	s_and_saveexec_b32 s12, s3
	s_cbranch_execz .LBB32_78
; %bb.77:                               ;   in Loop: Header=BB32_13 Depth=1
	ds_load_b32 v12, v27
	s_waitcnt lgkmcnt(0)
	v_add_nc_u32_e32 v11, v12, v11
.LBB32_78:                              ;   in Loop: Header=BB32_13 Depth=1
	s_or_b32 exec_lo, exec_lo, s12
	s_barrier
	buffer_gl0_inv
	ds_store_b32 v25, v11
	;; [unrolled: 14-line block ×8, first 2 shown]
	s_waitcnt lgkmcnt(0)
	s_barrier
	buffer_gl0_inv
	ds_load_b32 v13, v9 offset:11260
	v_mov_b32_e32 v12, 0
	s_and_saveexec_b32 s12, s22
	s_cbranch_execz .LBB32_92
; %bb.91:                               ;   in Loop: Header=BB32_13 Depth=1
	ds_load_b32 v12, v26
.LBB32_92:                              ;   in Loop: Header=BB32_13 Depth=1
	s_or_b32 exec_lo, exec_lo, s12
	s_waitcnt lgkmcnt(0)
	v_cmp_eq_u32_e32 vcc_lo, v11, v12
	s_barrier
	buffer_gl0_inv
	s_and_b32 s13, s22, vcc_lo
	s_delay_alu instid0(SALU_CYCLE_1)
	s_and_saveexec_b32 s12, s13
	s_cbranch_execz .LBB32_94
; %bb.93:                               ;   in Loop: Header=BB32_13 Depth=1
	ds_store_b32 v25, v9
.LBB32_94:                              ;   in Loop: Header=BB32_13 Depth=1
	s_or_b32 exec_lo, exec_lo, s12
	v_dual_mov_b32 v17, v36 :: v_dual_add_nc_u32 v14, -1, v38
	v_dual_mov_b32 v16, v37 :: v_dual_add_nc_u32 v15, s38, v40
	v_mov_b32_e32 v18, v20
	s_mov_b32 s12, 0
	s_waitcnt lgkmcnt(0)
	s_barrier
	buffer_gl0_inv
	s_set_inst_prefetch_distance 0x1
	s_branch .LBB32_96
	.p2align	6
.LBB32_95:                              ;   in Loop: Header=BB32_96 Depth=2
	s_or_b32 exec_lo, exec_lo, s13
	v_add_nc_u32_e32 v11, 64, v18
	v_cmp_lt_u32_e32 vcc_lo, 0xbf, v18
	v_add_nc_u32_e32 v17, 0x800, v17
	v_add_nc_u32_e32 v16, 0x100, v16
	s_delay_alu instid0(VALU_DEP_4) | instskip(SKIP_1) | instid1(SALU_CYCLE_1)
	v_mov_b32_e32 v18, v11
	s_or_b32 s12, vcc_lo, s12
	s_and_not1_b32 exec_lo, exec_lo, s12
	s_cbranch_execz .LBB32_12
.LBB32_96:                              ;   Parent Loop BB32_13 Depth=1
                                        ; =>  This Inner Loop Header: Depth=2
	ds_load_b32 v11, v16
	s_mov_b32 s13, exec_lo
	s_waitcnt lgkmcnt(0)
	v_cmpx_ne_u32_e32 0, v11
	s_cbranch_execz .LBB32_95
; %bb.97:                               ;   in Loop: Header=BB32_96 Depth=2
	v_add_nc_u32_e32 v11, v14, v11
	s_delay_alu instid0(VALU_DEP_1) | instskip(NEXT) | instid1(VALU_DEP_1)
	v_ashrrev_i32_e32 v12, 31, v11
	v_lshlrev_b64 v[40:41], 2, v[11:12]
	v_add_nc_u32_e32 v12, v15, v18
	s_delay_alu instid0(VALU_DEP_2) | instskip(NEXT) | instid1(VALU_DEP_3)
	v_add_co_u32 v40, vcc_lo, s44, v40
	v_add_co_ci_u32_e32 v41, vcc_lo, s45, v41, vcc_lo
	global_store_b32 v[40:41], v12, off
	s_and_b32 exec_lo, exec_lo, s11
	s_cbranch_execz .LBB32_95
; %bb.98:                               ;   in Loop: Header=BB32_96 Depth=2
	v_mad_u64_u32 v[40:41], null, v11, s42, v[7:8]
	s_delay_alu instid0(VALU_DEP_1) | instskip(SKIP_2) | instid1(VALU_DEP_1)
	v_mad_u64_u32 v[11:12], null, v40, s42, v[8:9]
	ds_load_b64 v[40:41], v17
	v_ashrrev_i32_e32 v12, 31, v11
	v_lshlrev_b64 v[11:12], 3, v[11:12]
	s_delay_alu instid0(VALU_DEP_1) | instskip(NEXT) | instid1(VALU_DEP_2)
	v_add_co_u32 v11, vcc_lo, s46, v11
	v_add_co_ci_u32_e32 v12, vcc_lo, s47, v12, vcc_lo
	s_waitcnt lgkmcnt(0)
	global_store_b64 v[11:12], v[40:41], off
	s_branch .LBB32_95
.LBB32_99:
	s_endpgm
	.section	.rodata,"a",@progbits
	.p2align	6, 0x0
	.amdhsa_kernel _ZN9rocsparseL38bsrgemm_block_per_row_atomic_multipassILj256ELj256ELj2EiidEEv20rocsparse_direction_T3_S2_PKS2_S4_NS_24const_host_device_scalarIT4_EEPKT2_S4_PKS6_SA_S4_SC_S7_SA_S4_SC_SA_PS2_PS6_PS8_21rocsparse_index_base_SG_SG_SG_bbb
		.amdhsa_group_segment_fixed_size 11272
		.amdhsa_private_segment_fixed_size 0
		.amdhsa_kernarg_size 172
		.amdhsa_user_sgpr_count 15
		.amdhsa_user_sgpr_dispatch_ptr 0
		.amdhsa_user_sgpr_queue_ptr 0
		.amdhsa_user_sgpr_kernarg_segment_ptr 1
		.amdhsa_user_sgpr_dispatch_id 0
		.amdhsa_user_sgpr_private_segment_size 0
		.amdhsa_wavefront_size32 1
		.amdhsa_uses_dynamic_stack 0
		.amdhsa_enable_private_segment 0
		.amdhsa_system_sgpr_workgroup_id_x 1
		.amdhsa_system_sgpr_workgroup_id_y 0
		.amdhsa_system_sgpr_workgroup_id_z 0
		.amdhsa_system_sgpr_workgroup_info 0
		.amdhsa_system_vgpr_workitem_id 0
		.amdhsa_next_free_vgpr 51
		.amdhsa_next_free_sgpr 61
		.amdhsa_reserve_vcc 1
		.amdhsa_float_round_mode_32 0
		.amdhsa_float_round_mode_16_64 0
		.amdhsa_float_denorm_mode_32 3
		.amdhsa_float_denorm_mode_16_64 3
		.amdhsa_dx10_clamp 1
		.amdhsa_ieee_mode 1
		.amdhsa_fp16_overflow 0
		.amdhsa_workgroup_processor_mode 1
		.amdhsa_memory_ordered 1
		.amdhsa_forward_progress 0
		.amdhsa_shared_vgpr_count 0
		.amdhsa_exception_fp_ieee_invalid_op 0
		.amdhsa_exception_fp_denorm_src 0
		.amdhsa_exception_fp_ieee_div_zero 0
		.amdhsa_exception_fp_ieee_overflow 0
		.amdhsa_exception_fp_ieee_underflow 0
		.amdhsa_exception_fp_ieee_inexact 0
		.amdhsa_exception_int_div_zero 0
	.end_amdhsa_kernel
	.section	.text._ZN9rocsparseL38bsrgemm_block_per_row_atomic_multipassILj256ELj256ELj2EiidEEv20rocsparse_direction_T3_S2_PKS2_S4_NS_24const_host_device_scalarIT4_EEPKT2_S4_PKS6_SA_S4_SC_S7_SA_S4_SC_SA_PS2_PS6_PS8_21rocsparse_index_base_SG_SG_SG_bbb,"axG",@progbits,_ZN9rocsparseL38bsrgemm_block_per_row_atomic_multipassILj256ELj256ELj2EiidEEv20rocsparse_direction_T3_S2_PKS2_S4_NS_24const_host_device_scalarIT4_EEPKT2_S4_PKS6_SA_S4_SC_S7_SA_S4_SC_SA_PS2_PS6_PS8_21rocsparse_index_base_SG_SG_SG_bbb,comdat
.Lfunc_end32:
	.size	_ZN9rocsparseL38bsrgemm_block_per_row_atomic_multipassILj256ELj256ELj2EiidEEv20rocsparse_direction_T3_S2_PKS2_S4_NS_24const_host_device_scalarIT4_EEPKT2_S4_PKS6_SA_S4_SC_S7_SA_S4_SC_SA_PS2_PS6_PS8_21rocsparse_index_base_SG_SG_SG_bbb, .Lfunc_end32-_ZN9rocsparseL38bsrgemm_block_per_row_atomic_multipassILj256ELj256ELj2EiidEEv20rocsparse_direction_T3_S2_PKS2_S4_NS_24const_host_device_scalarIT4_EEPKT2_S4_PKS6_SA_S4_SC_S7_SA_S4_SC_SA_PS2_PS6_PS8_21rocsparse_index_base_SG_SG_SG_bbb
                                        ; -- End function
	.section	.AMDGPU.csdata,"",@progbits
; Kernel info:
; codeLenInByte = 3620
; NumSgprs: 63
; NumVgprs: 51
; ScratchSize: 0
; MemoryBound: 0
; FloatMode: 240
; IeeeMode: 1
; LDSByteSize: 11272 bytes/workgroup (compile time only)
; SGPRBlocks: 7
; VGPRBlocks: 6
; NumSGPRsForWavesPerEU: 63
; NumVGPRsForWavesPerEU: 51
; Occupancy: 16
; WaveLimiterHint : 1
; COMPUTE_PGM_RSRC2:SCRATCH_EN: 0
; COMPUTE_PGM_RSRC2:USER_SGPR: 15
; COMPUTE_PGM_RSRC2:TRAP_HANDLER: 0
; COMPUTE_PGM_RSRC2:TGID_X_EN: 1
; COMPUTE_PGM_RSRC2:TGID_Y_EN: 0
; COMPUTE_PGM_RSRC2:TGID_Z_EN: 0
; COMPUTE_PGM_RSRC2:TIDIG_COMP_CNT: 0
	.section	.text._ZN9rocsparseL23bsrgemm_fill_wf_per_rowILj256ELj64ELj8ELj137ELj4EiidEEv20rocsparse_direction_T5_S2_S2_PKS2_S4_NS_24const_host_device_scalarIT6_EEPKT4_S4_PKS6_SA_S4_SC_S7_SA_S4_SC_SA_PS2_PS6_21rocsparse_index_base_SF_SF_SF_bbb,"axG",@progbits,_ZN9rocsparseL23bsrgemm_fill_wf_per_rowILj256ELj64ELj8ELj137ELj4EiidEEv20rocsparse_direction_T5_S2_S2_PKS2_S4_NS_24const_host_device_scalarIT6_EEPKT4_S4_PKS6_SA_S4_SC_S7_SA_S4_SC_SA_PS2_PS6_21rocsparse_index_base_SF_SF_SF_bbb,comdat
	.globl	_ZN9rocsparseL23bsrgemm_fill_wf_per_rowILj256ELj64ELj8ELj137ELj4EiidEEv20rocsparse_direction_T5_S2_S2_PKS2_S4_NS_24const_host_device_scalarIT6_EEPKT4_S4_PKS6_SA_S4_SC_S7_SA_S4_SC_SA_PS2_PS6_21rocsparse_index_base_SF_SF_SF_bbb ; -- Begin function _ZN9rocsparseL23bsrgemm_fill_wf_per_rowILj256ELj64ELj8ELj137ELj4EiidEEv20rocsparse_direction_T5_S2_S2_PKS2_S4_NS_24const_host_device_scalarIT6_EEPKT4_S4_PKS6_SA_S4_SC_S7_SA_S4_SC_SA_PS2_PS6_21rocsparse_index_base_SF_SF_SF_bbb
	.p2align	8
	.type	_ZN9rocsparseL23bsrgemm_fill_wf_per_rowILj256ELj64ELj8ELj137ELj4EiidEEv20rocsparse_direction_T5_S2_S2_PKS2_S4_NS_24const_host_device_scalarIT6_EEPKT4_S4_PKS6_SA_S4_SC_S7_SA_S4_SC_SA_PS2_PS6_21rocsparse_index_base_SF_SF_SF_bbb,@function
_ZN9rocsparseL23bsrgemm_fill_wf_per_rowILj256ELj64ELj8ELj137ELj4EiidEEv20rocsparse_direction_T5_S2_S2_PKS2_S4_NS_24const_host_device_scalarIT6_EEPKT4_S4_PKS6_SA_S4_SC_S7_SA_S4_SC_SA_PS2_PS6_21rocsparse_index_base_SF_SF_SF_bbb: ; @_ZN9rocsparseL23bsrgemm_fill_wf_per_rowILj256ELj64ELj8ELj137ELj4EiidEEv20rocsparse_direction_T5_S2_S2_PKS2_S4_NS_24const_host_device_scalarIT6_EEPKT4_S4_PKS6_SA_S4_SC_S7_SA_S4_SC_SA_PS2_PS6_21rocsparse_index_base_SF_SF_SF_bbb
; %bb.0:
	s_clause 0x2
	s_load_b32 s6, s[0:1], 0xa0
	s_load_b64 s[4:5], s[0:1], 0x20
	s_load_b64 s[2:3], s[0:1], 0x58
	s_waitcnt lgkmcnt(0)
	s_and_b32 s8, 1, s6
	s_bitcmp1_b32 s6, 16
	s_cselect_b32 s7, -1, 0
	s_cmp_eq_u32 s8, 1
	s_cselect_b32 s13, -1, 0
	s_delay_alu instid0(SALU_CYCLE_1)
	s_and_b32 s8, s13, exec_lo
	s_cselect_b32 s9, s5, 0
	s_cselect_b32 s8, s4, 0
	s_xor_b32 s10, s13, -1
	v_dual_mov_b32 v7, s8 :: v_dual_mov_b32 v8, s9
	s_or_b32 s10, s10, s7
	s_delay_alu instid0(SALU_CYCLE_1)
	s_and_b32 vcc_lo, exec_lo, s10
	s_cbranch_vccnz .LBB33_2
; %bb.1:
	v_dual_mov_b32 v1, s4 :: v_dual_mov_b32 v2, s5
	flat_load_b64 v[7:8], v[1:2]
.LBB33_2:
	s_load_b128 s[36:39], s[0:1], 0x90
	s_bitcmp1_b32 s6, 8
	s_cselect_b32 s12, -1, 0
	s_delay_alu instid0(SALU_CYCLE_1)
	s_and_b32 s4, s12, exec_lo
	s_cselect_b32 s5, s3, 0
	s_cselect_b32 s4, s2, 0
	s_xor_b32 s6, s12, -1
	v_dual_mov_b32 v2, s4 :: v_dual_mov_b32 v3, s5
	s_or_b32 s6, s6, s7
	s_delay_alu instid0(SALU_CYCLE_1)
	s_and_b32 vcc_lo, exec_lo, s6
	s_cbranch_vccnz .LBB33_4
; %bb.3:
	v_dual_mov_b32 v1, s2 :: v_dual_mov_b32 v2, s3
	flat_load_b64 v[2:3], v[1:2]
.LBB33_4:
	s_clause 0x4
	s_load_b128 s[40:43], s[0:1], 0x80
	s_load_b256 s[16:23], s[0:1], 0x60
	s_load_b128 s[44:47], s[0:1], 0x48
	s_load_b256 s[4:11], s[0:1], 0x0
	s_load_b256 s[24:31], s[0:1], 0x28
	v_lshrrev_b32_e32 v28, 6, v0
	v_and_b32_e32 v1, 63, v0
	s_mov_b32 s0, exec_lo
	s_delay_alu instid0(VALU_DEP_2) | instskip(NEXT) | instid1(VALU_DEP_2)
	v_lshl_or_b32 v27, v28, 5, 0x1000
	v_cmpx_gt_u32_e32 8, v1
	s_cbranch_execz .LBB33_6
; %bb.5:
	s_delay_alu instid0(VALU_DEP_2)
	v_lshl_add_u32 v4, v1, 2, v27
	s_waitcnt lgkmcnt(0)
	v_mov_b32_e32 v5, s6
	ds_store_b32 v4, v5
.LBB33_6:
	s_or_b32 exec_lo, exec_lo, s0
	v_dual_mov_b32 v4, 0 :: v_dual_lshlrev_b32 v29, 10, v28
	v_or_b32_e32 v6, 0xffffffc0, v1
	s_mov_b32 s0, 0
	s_delay_alu instid0(VALU_DEP_2) | instskip(NEXT) | instid1(VALU_DEP_3)
	v_lshl_or_b32 v9, v1, 3, v29
	v_mov_b32_e32 v5, v4
.LBB33_7:                               ; =>This Inner Loop Header: Depth=1
	s_delay_alu instid0(VALU_DEP_3) | instskip(NEXT) | instid1(VALU_DEP_1)
	v_add_co_u32 v6, s1, v6, 64
	s_xor_b32 s1, s1, -1
	ds_store_b64 v9, v[4:5]
	v_add_nc_u32_e32 v9, 0x200, v9
	s_and_b32 s1, exec_lo, s1
	s_delay_alu instid0(SALU_CYCLE_1) | instskip(NEXT) | instid1(SALU_CYCLE_1)
	s_or_b32 s0, s1, s0
	s_and_not1_b32 exec_lo, exec_lo, s0
	s_cbranch_execnz .LBB33_7
; %bb.8:
	s_or_b32 exec_lo, exec_lo, s0
	v_lshl_or_b32 v4, s15, 2, v28
	s_waitcnt vmcnt(0) lgkmcnt(0)
	s_barrier
	buffer_gl0_inv
	s_mov_b32 s0, exec_lo
	v_cmpx_gt_i32_e64 s5, v4
	s_cbranch_execz .LBB33_73
; %bb.9:
	s_cmp_eq_u64 s[10:11], 0
	s_cbranch_scc1 .LBB33_11
; %bb.10:
	s_load_b32 s0, s[8:9], 0x0
	s_waitcnt lgkmcnt(0)
	v_add_nc_u32_e32 v4, s0, v4
	s_delay_alu instid0(VALU_DEP_1) | instskip(NEXT) | instid1(VALU_DEP_1)
	v_ashrrev_i32_e32 v5, 31, v4
	v_lshlrev_b64 v[4:5], 2, v[4:5]
	s_delay_alu instid0(VALU_DEP_1) | instskip(NEXT) | instid1(VALU_DEP_2)
	v_add_co_u32 v4, vcc_lo, s10, v4
	v_add_co_ci_u32_e32 v5, vcc_lo, s11, v5, vcc_lo
	global_load_b32 v4, v[4:5], off
.LBB33_11:
	s_waitcnt vmcnt(0)
	v_ashrrev_i32_e32 v5, 31, v4
	v_lshrrev_b32_e32 v30, 4, v1
	v_and_b32_e32 v1, 3, v0
	s_and_not1_b32 vcc_lo, exec_lo, s13
	s_delay_alu instid0(VALU_DEP_3)
	v_lshlrev_b64 v[5:6], 2, v[4:5]
	v_bfe_u32 v4, v0, 2, 2
	s_cbranch_vccnz .LBB33_46
; %bb.12:
	s_delay_alu instid0(VALU_DEP_2) | instskip(NEXT) | instid1(VALU_DEP_3)
	v_add_co_u32 v9, vcc_lo, s24, v5
	v_add_co_ci_u32_e32 v10, vcc_lo, s25, v6, vcc_lo
	v_subrev_nc_u32_e32 v11, s36, v30
	s_mov_b32 s2, exec_lo
	global_load_b64 v[9:10], v[9:10], off
	s_waitcnt vmcnt(0)
	v_subrev_nc_u32_e32 v31, s36, v10
	v_add_nc_u32_e32 v9, v9, v11
	s_delay_alu instid0(VALU_DEP_1)
	v_cmpx_lt_i32_e64 v9, v31
	s_cbranch_execz .LBB33_45
; %bb.13:
	v_mad_u64_u32 v[10:11], null, s7, v9, v[4:5]
	v_max_i32_e32 v12, v1, v4
	s_cmp_lg_u32 s4, 0
	s_mul_i32 s5, s7, s7
	s_cselect_b32 s3, -1, 0
	s_cmp_gt_i32 s7, 0
	v_cmp_gt_i32_e64 s0, s7, v12
	v_mad_u64_u32 v[11:12], null, s5, v9, v[4:5]
	v_mul_lo_u32 v12, s7, v10
	s_cselect_b32 s8, -1, 0
	v_and_b32_e32 v32, 15, v0
	v_cndmask_b32_e64 v33, 0, 1, s8
	s_mov_b32 s9, 0
	s_lshl_b32 s10, s5, 2
	s_branch .LBB33_15
.LBB33_14:                              ;   in Loop: Header=BB33_15 Depth=1
	s_or_b32 exec_lo, exec_lo, s11
	v_add_nc_u32_e32 v9, 4, v9
	v_add_nc_u32_e32 v11, s10, v11
	;; [unrolled: 1-line block ×3, first 2 shown]
	s_delay_alu instid0(VALU_DEP_3) | instskip(SKIP_1) | instid1(SALU_CYCLE_1)
	v_cmp_ge_i32_e32 vcc_lo, v9, v31
	s_or_b32 s9, vcc_lo, s9
	s_and_not1_b32 exec_lo, exec_lo, s9
	s_cbranch_execz .LBB33_45
.LBB33_15:                              ; =>This Loop Header: Depth=1
                                        ;     Child Loop BB33_18 Depth 2
                                        ;       Child Loop BB33_22 Depth 3
                                        ;       Child Loop BB33_28 Depth 3
	;; [unrolled: 1-line block ×3, first 2 shown]
                                        ;         Child Loop BB33_37 Depth 4
                                        ;         Child Loop BB33_43 Depth 4
	v_ashrrev_i32_e32 v10, 31, v9
	s_mov_b32 s11, exec_lo
	s_delay_alu instid0(VALU_DEP_1) | instskip(NEXT) | instid1(VALU_DEP_1)
	v_lshlrev_b64 v[13:14], 2, v[9:10]
	v_add_co_u32 v13, vcc_lo, s26, v13
	s_delay_alu instid0(VALU_DEP_2) | instskip(SKIP_3) | instid1(VALU_DEP_1)
	v_add_co_ci_u32_e32 v14, vcc_lo, s27, v14, vcc_lo
	global_load_b32 v10, v[13:14], off
	s_waitcnt vmcnt(0)
	v_subrev_nc_u32_e32 v13, s36, v10
	v_ashrrev_i32_e32 v14, 31, v13
	s_delay_alu instid0(VALU_DEP_1) | instskip(NEXT) | instid1(VALU_DEP_1)
	v_lshlrev_b64 v[13:14], 2, v[13:14]
	v_add_co_u32 v13, vcc_lo, s30, v13
	s_delay_alu instid0(VALU_DEP_2)
	v_add_co_ci_u32_e32 v14, vcc_lo, s31, v14, vcc_lo
	global_load_b64 v[14:15], v[13:14], off
	s_waitcnt vmcnt(0)
	v_cmpx_lt_i32_e64 v14, v15
	s_cbranch_execz .LBB33_14
; %bb.16:                               ;   in Loop: Header=BB33_15 Depth=1
	v_subrev_nc_u32_e32 v14, s37, v14
	v_ashrrev_i32_e32 v13, 31, v12
	v_subrev_nc_u32_e32 v10, s37, v15
	s_mov_b32 s13, 0
	s_delay_alu instid0(VALU_DEP_3) | instskip(NEXT) | instid1(VALU_DEP_3)
	v_mad_u64_u32 v[18:19], null, s7, v14, v[1:2]
	v_lshlrev_b64 v[19:20], 3, v[12:13]
	v_mad_u64_u32 v[16:17], null, s5, v14, v[1:2]
	s_delay_alu instid0(VALU_DEP_2) | instskip(NEXT) | instid1(VALU_DEP_4)
	v_add_co_u32 v19, vcc_lo, s28, v19
	v_mul_lo_u32 v17, s7, v18
	s_delay_alu instid0(VALU_DEP_4)
	v_add_co_ci_u32_e32 v20, vcc_lo, s29, v20, vcc_lo
	s_branch .LBB33_18
.LBB33_17:                              ;   in Loop: Header=BB33_18 Depth=2
	s_or_b32 exec_lo, exec_lo, s14
	v_add_nc_u32_e32 v14, 1, v14
	s_delay_alu instid0(VALU_DEP_3) | instskip(SKIP_1) | instid1(VALU_DEP_3)
	v_add_nc_u32_e32 v17, s5, v17
	v_add_nc_u32_e32 v16, s5, v16
	v_cmp_ge_i32_e32 vcc_lo, v14, v10
	s_or_b32 s13, vcc_lo, s13
	s_delay_alu instid0(SALU_CYCLE_1)
	s_and_not1_b32 exec_lo, exec_lo, s13
	s_cbranch_execz .LBB33_14
.LBB33_18:                              ;   Parent Loop BB33_15 Depth=1
                                        ; =>  This Loop Header: Depth=2
                                        ;       Child Loop BB33_22 Depth 3
                                        ;       Child Loop BB33_28 Depth 3
	;; [unrolled: 1-line block ×3, first 2 shown]
                                        ;         Child Loop BB33_37 Depth 4
                                        ;         Child Loop BB33_43 Depth 4
	s_and_saveexec_b32 s14, s0
	s_cbranch_execz .LBB33_17
; %bb.19:                               ;   in Loop: Header=BB33_18 Depth=2
	v_ashrrev_i32_e32 v15, 31, v14
	v_cmp_ne_u32_e64 s1, 1, v33
	s_delay_alu instid0(VALU_DEP_2) | instskip(NEXT) | instid1(VALU_DEP_1)
	v_lshlrev_b64 v[21:22], 2, v[14:15]
	v_add_co_u32 v21, vcc_lo, s44, v21
	s_delay_alu instid0(VALU_DEP_2)
	v_add_co_ci_u32_e32 v22, vcc_lo, s45, v22, vcc_lo
	s_and_not1_b32 vcc_lo, exec_lo, s3
	global_load_b32 v13, v[21:22], off
	s_cbranch_vccnz .LBB33_24
; %bb.20:                               ;   in Loop: Header=BB33_18 Depth=2
	s_and_b32 vcc_lo, exec_lo, s1
	s_cbranch_vccnz .LBB33_25
; %bb.21:                               ;   in Loop: Header=BB33_18 Depth=2
	v_ashrrev_i32_e32 v18, 31, v17
	v_mov_b32_e32 v21, 0
	v_dual_mov_b32 v22, 0 :: v_dual_mov_b32 v25, v11
	s_mov_b32 s1, s7
	s_delay_alu instid0(VALU_DEP_3) | instskip(NEXT) | instid1(VALU_DEP_1)
	v_lshlrev_b64 v[23:24], 3, v[17:18]
	v_add_co_u32 v23, vcc_lo, s46, v23
	s_delay_alu instid0(VALU_DEP_2)
	v_add_co_ci_u32_e32 v24, vcc_lo, s47, v24, vcc_lo
	.p2align	6
.LBB33_22:                              ;   Parent Loop BB33_15 Depth=1
                                        ;     Parent Loop BB33_18 Depth=2
                                        ; =>    This Inner Loop Header: Depth=3
	v_ashrrev_i32_e32 v26, 31, v25
	s_add_i32 s1, s1, -1
	s_delay_alu instid0(SALU_CYCLE_1) | instskip(NEXT) | instid1(VALU_DEP_1)
	s_cmp_lg_u32 s1, 0
	v_lshlrev_b64 v[34:35], 3, v[25:26]
	v_add_nc_u32_e32 v25, s7, v25
	s_delay_alu instid0(VALU_DEP_2) | instskip(NEXT) | instid1(VALU_DEP_3)
	v_add_co_u32 v34, vcc_lo, s28, v34
	v_add_co_ci_u32_e32 v35, vcc_lo, s29, v35, vcc_lo
	global_load_b64 v[36:37], v[23:24], off
	global_load_b64 v[34:35], v[34:35], off
	v_add_co_u32 v23, vcc_lo, v23, 8
	v_add_co_ci_u32_e32 v24, vcc_lo, 0, v24, vcc_lo
	s_waitcnt vmcnt(0)
	v_fma_f64 v[21:22], v[34:35], v[36:37], v[21:22]
	s_cbranch_scc1 .LBB33_22
; %bb.23:                               ;   in Loop: Header=BB33_18 Depth=2
	s_cbranch_execz .LBB33_26
	s_branch .LBB33_29
.LBB33_24:                              ;   in Loop: Header=BB33_18 Depth=2
                                        ; implicit-def: $vgpr21_vgpr22
	s_branch .LBB33_26
.LBB33_25:                              ;   in Loop: Header=BB33_18 Depth=2
	v_mov_b32_e32 v21, 0
	v_mov_b32_e32 v22, 0
	s_cbranch_execnz .LBB33_29
.LBB33_26:                              ;   in Loop: Header=BB33_18 Depth=2
	v_mov_b32_e32 v21, 0
	v_mov_b32_e32 v22, 0
	s_and_not1_b32 vcc_lo, exec_lo, s8
	s_cbranch_vccnz .LBB33_29
; %bb.27:                               ;   in Loop: Header=BB33_18 Depth=2
	v_dual_mov_b32 v24, v20 :: v_dual_mov_b32 v23, v19
	v_mov_b32_e32 v25, v16
	s_mov_b32 s1, s7
	.p2align	6
.LBB33_28:                              ;   Parent Loop BB33_15 Depth=1
                                        ;     Parent Loop BB33_18 Depth=2
                                        ; =>    This Inner Loop Header: Depth=3
	s_delay_alu instid0(VALU_DEP_1) | instskip(SKIP_1) | instid1(SALU_CYCLE_1)
	v_ashrrev_i32_e32 v26, 31, v25
	s_add_i32 s1, s1, -1
	s_cmp_eq_u32 s1, 0
	s_delay_alu instid0(VALU_DEP_1) | instskip(SKIP_1) | instid1(VALU_DEP_2)
	v_lshlrev_b64 v[34:35], 3, v[25:26]
	v_add_nc_u32_e32 v25, s7, v25
	v_add_co_u32 v34, vcc_lo, s46, v34
	s_delay_alu instid0(VALU_DEP_3)
	v_add_co_ci_u32_e32 v35, vcc_lo, s47, v35, vcc_lo
	global_load_b64 v[36:37], v[23:24], off
	global_load_b64 v[34:35], v[34:35], off
	v_add_co_u32 v23, vcc_lo, v23, 8
	v_add_co_ci_u32_e32 v24, vcc_lo, 0, v24, vcc_lo
	s_waitcnt vmcnt(0)
	v_fma_f64 v[21:22], v[36:37], v[34:35], v[21:22]
	s_cbranch_scc0 .LBB33_28
.LBB33_29:                              ;   in Loop: Header=BB33_18 Depth=2
	s_delay_alu instid0(VALU_DEP_1) | instskip(SKIP_3) | instid1(VALU_DEP_1)
	v_mul_f64 v[21:22], v[7:8], v[21:22]
	s_waitcnt vmcnt(0)
	v_subrev_nc_u32_e32 v13, s37, v13
	s_mov_b32 s1, 0
	v_and_b32_e32 v15, 7, v13
	s_branch .LBB33_31
.LBB33_30:                              ;   in Loop: Header=BB33_31 Depth=3
	s_or_b32 exec_lo, exec_lo, s15
	s_xor_b32 s15, s24, -1
	s_delay_alu instid0(SALU_CYCLE_1) | instskip(NEXT) | instid1(SALU_CYCLE_1)
	s_and_b32 s15, exec_lo, s15
	s_or_b32 s1, s15, s1
	s_delay_alu instid0(SALU_CYCLE_1)
	s_and_not1_b32 exec_lo, exec_lo, s1
	s_cbranch_execz .LBB33_17
.LBB33_31:                              ;   Parent Loop BB33_15 Depth=1
                                        ;     Parent Loop BB33_18 Depth=2
                                        ; =>    This Loop Header: Depth=3
                                        ;         Child Loop BB33_37 Depth 4
                                        ;         Child Loop BB33_43 Depth 4
	s_delay_alu instid0(VALU_DEP_1)
	v_lshl_add_u32 v18, v15, 2, v27
	s_mov_b32 s15, exec_lo
                                        ; implicit-def: $sgpr24
	ds_load_b32 v23, v18
	s_waitcnt lgkmcnt(0)
	v_cmpx_ne_u32_e64 v23, v13
	s_xor_b32 s15, exec_lo, s15
	s_cbranch_execz .LBB33_41
; %bb.32:                               ;   in Loop: Header=BB33_31 Depth=3
	s_mov_b32 s25, exec_lo
                                        ; implicit-def: $sgpr24
	v_cmpx_ne_u32_e64 s6, v23
	s_xor_b32 s25, exec_lo, s25
; %bb.33:                               ;   in Loop: Header=BB33_31 Depth=3
	v_add_nc_u32_e32 v15, 1, v15
	s_mov_b32 s24, -1
                                        ; implicit-def: $vgpr18
	s_delay_alu instid0(VALU_DEP_1)
	v_and_b32_e32 v15, 7, v15
; %bb.34:                               ;   in Loop: Header=BB33_31 Depth=3
	s_and_not1_saveexec_b32 s25, s25
	s_cbranch_execz .LBB33_40
; %bb.35:                               ;   in Loop: Header=BB33_31 Depth=3
	v_mov_b32_e32 v23, s6
	s_mov_b32 s34, -1
	s_mov_b32 s33, exec_lo
	ds_cmpstore_rtn_b32 v18, v18, v13, v23
	s_waitcnt lgkmcnt(0)
	v_cmpx_eq_u32_e64 s6, v18
	s_cbranch_execz .LBB33_39
; %bb.36:                               ;   in Loop: Header=BB33_31 Depth=3
	v_lshlrev_b32_e32 v18, 3, v32
	s_mov_b32 s34, 0
	s_delay_alu instid0(VALU_DEP_1) | instskip(NEXT) | instid1(VALU_DEP_1)
	v_lshl_or_b32 v18, v15, 7, v18
	v_add_nc_u32_e32 v18, v29, v18
	ds_load_b64 v[23:24], v18
.LBB33_37:                              ;   Parent Loop BB33_15 Depth=1
                                        ;     Parent Loop BB33_18 Depth=2
                                        ;       Parent Loop BB33_31 Depth=3
                                        ; =>      This Inner Loop Header: Depth=4
	s_waitcnt lgkmcnt(0)
	v_add_f64 v[25:26], v[23:24], v[21:22]
	ds_cmpstore_rtn_b64 v[25:26], v18, v[25:26], v[23:24]
	s_waitcnt lgkmcnt(0)
	v_cmp_eq_u64_e32 vcc_lo, v[25:26], v[23:24]
	v_dual_mov_b32 v23, v25 :: v_dual_mov_b32 v24, v26
	s_or_b32 s34, vcc_lo, s34
	s_delay_alu instid0(SALU_CYCLE_1)
	s_and_not1_b32 exec_lo, exec_lo, s34
	s_cbranch_execnz .LBB33_37
; %bb.38:                               ;   in Loop: Header=BB33_31 Depth=3
	s_or_b32 exec_lo, exec_lo, s34
	s_delay_alu instid0(SALU_CYCLE_1)
	s_xor_b32 s34, exec_lo, -1
.LBB33_39:                              ;   in Loop: Header=BB33_31 Depth=3
	s_or_b32 exec_lo, exec_lo, s33
	s_delay_alu instid0(SALU_CYCLE_1) | instskip(SKIP_1) | instid1(SALU_CYCLE_1)
	s_and_not1_b32 s24, s24, exec_lo
	s_and_b32 s33, s34, exec_lo
	s_or_b32 s24, s24, s33
.LBB33_40:                              ;   in Loop: Header=BB33_31 Depth=3
	s_or_b32 exec_lo, exec_lo, s25
	s_delay_alu instid0(SALU_CYCLE_1)
	s_and_b32 s24, s24, exec_lo
.LBB33_41:                              ;   in Loop: Header=BB33_31 Depth=3
	s_and_not1_saveexec_b32 s15, s15
	s_cbranch_execz .LBB33_30
; %bb.42:                               ;   in Loop: Header=BB33_31 Depth=3
	v_lshlrev_b32_e32 v18, 3, v32
	s_mov_b32 s25, 0
	s_delay_alu instid0(VALU_DEP_1) | instskip(NEXT) | instid1(VALU_DEP_1)
	v_lshl_or_b32 v18, v15, 7, v18
	v_add_nc_u32_e32 v18, v29, v18
	ds_load_b64 v[23:24], v18
.LBB33_43:                              ;   Parent Loop BB33_15 Depth=1
                                        ;     Parent Loop BB33_18 Depth=2
                                        ;       Parent Loop BB33_31 Depth=3
                                        ; =>      This Inner Loop Header: Depth=4
	s_waitcnt lgkmcnt(0)
	v_add_f64 v[25:26], v[23:24], v[21:22]
	ds_cmpstore_rtn_b64 v[25:26], v18, v[25:26], v[23:24]
	s_waitcnt lgkmcnt(0)
	v_cmp_eq_u64_e32 vcc_lo, v[25:26], v[23:24]
	v_dual_mov_b32 v23, v25 :: v_dual_mov_b32 v24, v26
	s_or_b32 s25, vcc_lo, s25
	s_delay_alu instid0(SALU_CYCLE_1)
	s_and_not1_b32 exec_lo, exec_lo, s25
	s_cbranch_execnz .LBB33_43
; %bb.44:                               ;   in Loop: Header=BB33_31 Depth=3
	s_or_b32 exec_lo, exec_lo, s25
	s_delay_alu instid0(SALU_CYCLE_1)
	s_and_not1_b32 s24, s24, exec_lo
	s_branch .LBB33_30
.LBB33_45:
	s_or_b32 exec_lo, exec_lo, s2
.LBB33_46:
	s_delay_alu instid0(SALU_CYCLE_1)
	s_and_not1_b32 vcc_lo, exec_lo, s12
	s_barrier
	buffer_gl0_inv
	s_cbranch_vccnz .LBB33_68
; %bb.47:
	v_add_co_u32 v7, vcc_lo, s16, v5
	v_add_co_ci_u32_e32 v8, vcc_lo, s17, v6, vcc_lo
	v_subrev_nc_u32_e32 v9, s39, v30
	s_mov_b32 s1, exec_lo
	global_load_b64 v[7:8], v[7:8], off
	s_waitcnt vmcnt(0)
	v_subrev_nc_u32_e32 v14, s39, v8
	v_add_nc_u32_e32 v7, v7, v9
	s_delay_alu instid0(VALU_DEP_1)
	v_cmpx_lt_i32_e64 v7, v14
	s_cbranch_execz .LBB33_67
; %bb.48:
	v_max_i32_e32 v8, v1, v4
	v_and_b32_e32 v10, 15, v0
	s_cmp_eq_u32 s4, 0
	s_mov_b32 s2, 0
	s_cselect_b32 s0, -1, 0
	v_cmp_gt_i32_e32 vcc_lo, s7, v8
	v_cndmask_b32_e64 v0, v1, v4, s0
	v_cndmask_b32_e64 v9, v4, v1, s0
	v_lshlrev_b32_e32 v15, 3, v10
	s_branch .LBB33_50
.LBB33_49:                              ;   in Loop: Header=BB33_50 Depth=1
	s_or_b32 exec_lo, exec_lo, s3
	v_add_nc_u32_e32 v7, 4, v7
	s_delay_alu instid0(VALU_DEP_1) | instskip(NEXT) | instid1(VALU_DEP_1)
	v_cmp_ge_i32_e64 s0, v7, v14
	s_or_b32 s2, s0, s2
	s_delay_alu instid0(SALU_CYCLE_1)
	s_and_not1_b32 exec_lo, exec_lo, s2
	s_cbranch_execz .LBB33_67
.LBB33_50:                              ; =>This Loop Header: Depth=1
                                        ;     Child Loop BB33_53 Depth 2
                                        ;       Child Loop BB33_59 Depth 3
                                        ;       Child Loop BB33_65 Depth 3
	s_and_saveexec_b32 s3, vcc_lo
	s_cbranch_execz .LBB33_49
; %bb.51:                               ;   in Loop: Header=BB33_50 Depth=1
	v_mad_u64_u32 v[10:11], null, v7, s7, v[0:1]
	v_ashrrev_i32_e32 v8, 31, v7
	s_mov_b32 s5, 0
	s_delay_alu instid0(VALU_DEP_2) | instskip(NEXT) | instid1(VALU_DEP_1)
	v_mad_u64_u32 v[11:12], null, v10, s7, v[9:10]
	v_ashrrev_i32_e32 v12, 31, v11
	s_delay_alu instid0(VALU_DEP_1) | instskip(SKIP_1) | instid1(VALU_DEP_2)
	v_lshlrev_b64 v[10:11], 3, v[11:12]
	v_lshlrev_b64 v[12:13], 2, v[7:8]
	v_add_co_u32 v10, s0, s20, v10
	s_delay_alu instid0(VALU_DEP_1) | instskip(NEXT) | instid1(VALU_DEP_3)
	v_add_co_ci_u32_e64 v11, s0, s21, v11, s0
	v_add_co_u32 v12, s0, s18, v12
	s_delay_alu instid0(VALU_DEP_1)
	v_add_co_ci_u32_e64 v13, s0, s19, v13, s0
	global_load_b64 v[10:11], v[10:11], off
	global_load_b32 v8, v[12:13], off
	s_waitcnt vmcnt(1)
	v_mul_f64 v[10:11], v[2:3], v[10:11]
	s_waitcnt vmcnt(0)
	v_subrev_nc_u32_e32 v8, s39, v8
	s_delay_alu instid0(VALU_DEP_1)
	v_and_b32_e32 v16, 7, v8
	s_branch .LBB33_53
.LBB33_52:                              ;   in Loop: Header=BB33_53 Depth=2
	s_or_b32 exec_lo, exec_lo, s8
	s_xor_b32 s0, s9, -1
	s_delay_alu instid0(SALU_CYCLE_1) | instskip(NEXT) | instid1(SALU_CYCLE_1)
	s_and_b32 s0, exec_lo, s0
	s_or_b32 s5, s0, s5
	s_delay_alu instid0(SALU_CYCLE_1)
	s_and_not1_b32 exec_lo, exec_lo, s5
	s_cbranch_execz .LBB33_49
.LBB33_53:                              ;   Parent Loop BB33_50 Depth=1
                                        ; =>  This Loop Header: Depth=2
                                        ;       Child Loop BB33_59 Depth 3
                                        ;       Child Loop BB33_65 Depth 3
	s_delay_alu instid0(VALU_DEP_1)
	v_lshl_add_u32 v12, v16, 2, v27
	s_mov_b32 s8, exec_lo
                                        ; implicit-def: $sgpr9
	ds_load_b32 v13, v12
	s_waitcnt lgkmcnt(0)
	v_cmpx_ne_u32_e64 v13, v8
	s_xor_b32 s8, exec_lo, s8
	s_cbranch_execz .LBB33_63
; %bb.54:                               ;   in Loop: Header=BB33_53 Depth=2
	v_cmp_ne_u32_e64 s0, s6, v13
                                        ; implicit-def: $sgpr9
	s_delay_alu instid0(VALU_DEP_1) | instskip(NEXT) | instid1(SALU_CYCLE_1)
	s_and_saveexec_b32 s10, s0
	s_xor_b32 s0, exec_lo, s10
; %bb.55:                               ;   in Loop: Header=BB33_53 Depth=2
	v_add_nc_u32_e32 v12, 1, v16
	s_mov_b32 s9, -1
	s_delay_alu instid0(VALU_DEP_1)
	v_and_b32_e32 v16, 7, v12
                                        ; implicit-def: $vgpr12
; %bb.56:                               ;   in Loop: Header=BB33_53 Depth=2
	s_and_not1_saveexec_b32 s10, s0
	s_cbranch_execz .LBB33_62
; %bb.57:                               ;   in Loop: Header=BB33_53 Depth=2
	v_mov_b32_e32 v13, s6
	s_mov_b32 s12, -1
	s_mov_b32 s11, exec_lo
	ds_cmpstore_rtn_b32 v12, v12, v8, v13
	s_waitcnt lgkmcnt(0)
	v_cmpx_eq_u32_e64 s6, v12
	s_cbranch_execz .LBB33_61
; %bb.58:                               ;   in Loop: Header=BB33_53 Depth=2
	v_lshl_or_b32 v12, v16, 7, v15
	s_mov_b32 s12, 0
	s_delay_alu instid0(VALU_DEP_1)
	v_add_nc_u32_e32 v17, v29, v12
	ds_load_b64 v[12:13], v17
.LBB33_59:                              ;   Parent Loop BB33_50 Depth=1
                                        ;     Parent Loop BB33_53 Depth=2
                                        ; =>    This Inner Loop Header: Depth=3
	s_waitcnt lgkmcnt(0)
	v_add_f64 v[18:19], v[12:13], v[10:11]
	ds_cmpstore_rtn_b64 v[18:19], v17, v[18:19], v[12:13]
	s_waitcnt lgkmcnt(0)
	v_cmp_eq_u64_e64 s0, v[18:19], v[12:13]
	v_dual_mov_b32 v12, v18 :: v_dual_mov_b32 v13, v19
	s_delay_alu instid0(VALU_DEP_2) | instskip(NEXT) | instid1(SALU_CYCLE_1)
	s_or_b32 s12, s0, s12
	s_and_not1_b32 exec_lo, exec_lo, s12
	s_cbranch_execnz .LBB33_59
; %bb.60:                               ;   in Loop: Header=BB33_53 Depth=2
	s_or_b32 exec_lo, exec_lo, s12
	s_delay_alu instid0(SALU_CYCLE_1)
	s_xor_b32 s12, exec_lo, -1
.LBB33_61:                              ;   in Loop: Header=BB33_53 Depth=2
	s_or_b32 exec_lo, exec_lo, s11
	s_delay_alu instid0(SALU_CYCLE_1) | instskip(SKIP_1) | instid1(SALU_CYCLE_1)
	s_and_not1_b32 s0, s9, exec_lo
	s_and_b32 s9, s12, exec_lo
	s_or_b32 s9, s0, s9
.LBB33_62:                              ;   in Loop: Header=BB33_53 Depth=2
	s_or_b32 exec_lo, exec_lo, s10
	s_delay_alu instid0(SALU_CYCLE_1)
	s_and_b32 s9, s9, exec_lo
.LBB33_63:                              ;   in Loop: Header=BB33_53 Depth=2
	s_and_not1_saveexec_b32 s8, s8
	s_cbranch_execz .LBB33_52
; %bb.64:                               ;   in Loop: Header=BB33_53 Depth=2
	v_lshl_or_b32 v12, v16, 7, v15
	s_mov_b32 s10, 0
	s_delay_alu instid0(VALU_DEP_1)
	v_add_nc_u32_e32 v17, v29, v12
	ds_load_b64 v[12:13], v17
.LBB33_65:                              ;   Parent Loop BB33_50 Depth=1
                                        ;     Parent Loop BB33_53 Depth=2
                                        ; =>    This Inner Loop Header: Depth=3
	s_waitcnt lgkmcnt(0)
	v_add_f64 v[18:19], v[12:13], v[10:11]
	ds_cmpstore_rtn_b64 v[18:19], v17, v[18:19], v[12:13]
	s_waitcnt lgkmcnt(0)
	v_cmp_eq_u64_e64 s0, v[18:19], v[12:13]
	v_dual_mov_b32 v12, v18 :: v_dual_mov_b32 v13, v19
	s_delay_alu instid0(VALU_DEP_2) | instskip(NEXT) | instid1(SALU_CYCLE_1)
	s_or_b32 s10, s0, s10
	s_and_not1_b32 exec_lo, exec_lo, s10
	s_cbranch_execnz .LBB33_65
; %bb.66:                               ;   in Loop: Header=BB33_53 Depth=2
	s_or_b32 exec_lo, exec_lo, s10
	s_delay_alu instid0(SALU_CYCLE_1)
	s_and_not1_b32 s9, s9, exec_lo
	s_branch .LBB33_52
.LBB33_67:
	s_or_b32 exec_lo, exec_lo, s1
.LBB33_68:
	v_add_co_u32 v2, vcc_lo, s22, v5
	v_add_co_ci_u32_e32 v3, vcc_lo, s23, v6, vcc_lo
	s_barrier
	buffer_gl0_inv
	global_load_b32 v2, v[2:3], off
	s_cmp_eq_u32 s4, 0
	v_max_i32_e32 v5, v1, v4
	s_cselect_b32 vcc_lo, -1, 0
	v_lshlrev_b32_e32 v7, 5, v28
	v_dual_cndmask_b32 v0, v1, v4 :: v_dual_cndmask_b32 v3, v4, v1
	v_lshlrev_b32_e32 v8, 2, v30
	v_cmp_gt_i32_e32 vcc_lo, s7, v5
	s_mov_b32 s1, 0
	s_delay_alu instid0(VALU_DEP_3) | instskip(NEXT) | instid1(VALU_DEP_3)
	v_lshlrev_b32_e32 v3, 3, v3
	v_or3_b32 v7, v7, v8, 0x1000
	s_delay_alu instid0(VALU_DEP_2) | instskip(NEXT) | instid1(VALU_DEP_1)
	v_lshl_or_b32 v3, v30, 7, v3
	v_lshl_or_b32 v3, v0, 5, v3
	v_or_b32_e32 v0, -4, v30
	s_delay_alu instid0(VALU_DEP_2)
	v_add_nc_u32_e32 v5, v29, v3
	s_waitcnt vmcnt(0)
	v_subrev_nc_u32_e32 v6, s38, v2
	s_branch .LBB33_70
.LBB33_69:                              ;   in Loop: Header=BB33_70 Depth=1
	s_or_b32 exec_lo, exec_lo, s2
	v_add_co_u32 v0, s0, v0, 4
	s_delay_alu instid0(VALU_DEP_1) | instskip(SKIP_3) | instid1(SALU_CYCLE_1)
	s_xor_b32 s0, s0, -1
	v_add_nc_u32_e32 v5, 0x200, v5
	v_add_nc_u32_e32 v7, 16, v7
	s_and_b32 s0, exec_lo, s0
	s_or_b32 s1, s0, s1
	s_delay_alu instid0(SALU_CYCLE_1)
	s_and_not1_b32 exec_lo, exec_lo, s1
	s_cbranch_execz .LBB33_73
.LBB33_70:                              ; =>This Inner Loop Header: Depth=1
	ds_load_b32 v8, v7
	s_mov_b32 s2, exec_lo
	s_waitcnt lgkmcnt(0)
	v_cmpx_gt_i32_e64 s6, v8
	s_cbranch_execz .LBB33_69
; %bb.71:                               ;   in Loop: Header=BB33_70 Depth=1
	ds_load_b128 v[9:12], v27
	ds_load_b128 v[13:16], v27 offset:16
	s_waitcnt lgkmcnt(1)
	v_cmp_gt_i32_e64 s0, v8, v9
	s_delay_alu instid0(VALU_DEP_1) | instskip(SKIP_1) | instid1(VALU_DEP_1)
	v_cndmask_b32_e64 v2, 0, 1, s0
	v_cmp_gt_i32_e64 s0, v8, v11
	v_cndmask_b32_e64 v3, 0, 1, s0
	v_cmp_gt_i32_e64 s0, v8, v10
	s_delay_alu instid0(VALU_DEP_1) | instskip(SKIP_2) | instid1(VALU_DEP_1)
	v_add_co_ci_u32_e64 v2, s0, v6, v2, s0
	s_waitcnt lgkmcnt(0)
	v_cmp_gt_i32_e64 s0, v8, v13
	v_cndmask_b32_e64 v9, 0, 1, s0
	v_cmp_gt_i32_e64 s0, v8, v12
	s_delay_alu instid0(VALU_DEP_1) | instskip(SKIP_1) | instid1(VALU_DEP_1)
	v_add_co_ci_u32_e64 v2, s0, v2, v3, s0
	v_cmp_gt_i32_e64 s0, v8, v15
	v_cndmask_b32_e64 v3, 0, 1, s0
	v_cmp_gt_i32_e64 s0, v8, v14
	s_delay_alu instid0(VALU_DEP_1) | instskip(SKIP_1) | instid1(VALU_DEP_1)
	v_add_co_ci_u32_e64 v2, s0, v2, v9, s0
	v_cmp_gt_i32_e64 s0, v8, v16
	v_add_co_ci_u32_e64 v2, s0, v2, v3, s0
	s_delay_alu instid0(VALU_DEP_1) | instskip(NEXT) | instid1(VALU_DEP_1)
	v_ashrrev_i32_e32 v3, 31, v2
	v_lshlrev_b64 v[9:10], 2, v[2:3]
	v_add_nc_u32_e32 v3, s38, v8
	s_delay_alu instid0(VALU_DEP_2) | instskip(NEXT) | instid1(VALU_DEP_1)
	v_add_co_u32 v8, s0, s40, v9
	v_add_co_ci_u32_e64 v9, s0, s41, v10, s0
	global_store_b32 v[8:9], v3, off
	s_and_b32 exec_lo, exec_lo, vcc_lo
	s_cbranch_execz .LBB33_69
; %bb.72:                               ;   in Loop: Header=BB33_70 Depth=1
	v_mad_u64_u32 v[8:9], null, v2, s7, v[4:5]
	s_delay_alu instid0(VALU_DEP_1) | instskip(SKIP_2) | instid1(VALU_DEP_1)
	v_mad_u64_u32 v[2:3], null, v8, s7, v[1:2]
	ds_load_b64 v[8:9], v5
	v_ashrrev_i32_e32 v3, 31, v2
	v_lshlrev_b64 v[2:3], 3, v[2:3]
	s_delay_alu instid0(VALU_DEP_1) | instskip(NEXT) | instid1(VALU_DEP_1)
	v_add_co_u32 v2, s0, s42, v2
	v_add_co_ci_u32_e64 v3, s0, s43, v3, s0
	s_waitcnt lgkmcnt(0)
	global_store_b64 v[2:3], v[8:9], off
	s_branch .LBB33_69
.LBB33_73:
	s_nop 0
	s_sendmsg sendmsg(MSG_DEALLOC_VGPRS)
	s_endpgm
	.section	.rodata,"a",@progbits
	.p2align	6, 0x0
	.amdhsa_kernel _ZN9rocsparseL23bsrgemm_fill_wf_per_rowILj256ELj64ELj8ELj137ELj4EiidEEv20rocsparse_direction_T5_S2_S2_PKS2_S4_NS_24const_host_device_scalarIT6_EEPKT4_S4_PKS6_SA_S4_SC_S7_SA_S4_SC_SA_PS2_PS6_21rocsparse_index_base_SF_SF_SF_bbb
		.amdhsa_group_segment_fixed_size 4224
		.amdhsa_private_segment_fixed_size 0
		.amdhsa_kernarg_size 164
		.amdhsa_user_sgpr_count 15
		.amdhsa_user_sgpr_dispatch_ptr 0
		.amdhsa_user_sgpr_queue_ptr 0
		.amdhsa_user_sgpr_kernarg_segment_ptr 1
		.amdhsa_user_sgpr_dispatch_id 0
		.amdhsa_user_sgpr_private_segment_size 0
		.amdhsa_wavefront_size32 1
		.amdhsa_uses_dynamic_stack 0
		.amdhsa_enable_private_segment 0
		.amdhsa_system_sgpr_workgroup_id_x 1
		.amdhsa_system_sgpr_workgroup_id_y 0
		.amdhsa_system_sgpr_workgroup_id_z 0
		.amdhsa_system_sgpr_workgroup_info 0
		.amdhsa_system_vgpr_workitem_id 0
		.amdhsa_next_free_vgpr 38
		.amdhsa_next_free_sgpr 48
		.amdhsa_reserve_vcc 1
		.amdhsa_float_round_mode_32 0
		.amdhsa_float_round_mode_16_64 0
		.amdhsa_float_denorm_mode_32 3
		.amdhsa_float_denorm_mode_16_64 3
		.amdhsa_dx10_clamp 1
		.amdhsa_ieee_mode 1
		.amdhsa_fp16_overflow 0
		.amdhsa_workgroup_processor_mode 1
		.amdhsa_memory_ordered 1
		.amdhsa_forward_progress 0
		.amdhsa_shared_vgpr_count 0
		.amdhsa_exception_fp_ieee_invalid_op 0
		.amdhsa_exception_fp_denorm_src 0
		.amdhsa_exception_fp_ieee_div_zero 0
		.amdhsa_exception_fp_ieee_overflow 0
		.amdhsa_exception_fp_ieee_underflow 0
		.amdhsa_exception_fp_ieee_inexact 0
		.amdhsa_exception_int_div_zero 0
	.end_amdhsa_kernel
	.section	.text._ZN9rocsparseL23bsrgemm_fill_wf_per_rowILj256ELj64ELj8ELj137ELj4EiidEEv20rocsparse_direction_T5_S2_S2_PKS2_S4_NS_24const_host_device_scalarIT6_EEPKT4_S4_PKS6_SA_S4_SC_S7_SA_S4_SC_SA_PS2_PS6_21rocsparse_index_base_SF_SF_SF_bbb,"axG",@progbits,_ZN9rocsparseL23bsrgemm_fill_wf_per_rowILj256ELj64ELj8ELj137ELj4EiidEEv20rocsparse_direction_T5_S2_S2_PKS2_S4_NS_24const_host_device_scalarIT6_EEPKT4_S4_PKS6_SA_S4_SC_S7_SA_S4_SC_SA_PS2_PS6_21rocsparse_index_base_SF_SF_SF_bbb,comdat
.Lfunc_end33:
	.size	_ZN9rocsparseL23bsrgemm_fill_wf_per_rowILj256ELj64ELj8ELj137ELj4EiidEEv20rocsparse_direction_T5_S2_S2_PKS2_S4_NS_24const_host_device_scalarIT6_EEPKT4_S4_PKS6_SA_S4_SC_S7_SA_S4_SC_SA_PS2_PS6_21rocsparse_index_base_SF_SF_SF_bbb, .Lfunc_end33-_ZN9rocsparseL23bsrgemm_fill_wf_per_rowILj256ELj64ELj8ELj137ELj4EiidEEv20rocsparse_direction_T5_S2_S2_PKS2_S4_NS_24const_host_device_scalarIT6_EEPKT4_S4_PKS6_SA_S4_SC_S7_SA_S4_SC_SA_PS2_PS6_21rocsparse_index_base_SF_SF_SF_bbb
                                        ; -- End function
	.section	.AMDGPU.csdata,"",@progbits
; Kernel info:
; codeLenInByte = 2952
; NumSgprs: 50
; NumVgprs: 38
; ScratchSize: 0
; MemoryBound: 0
; FloatMode: 240
; IeeeMode: 1
; LDSByteSize: 4224 bytes/workgroup (compile time only)
; SGPRBlocks: 6
; VGPRBlocks: 4
; NumSGPRsForWavesPerEU: 50
; NumVGPRsForWavesPerEU: 38
; Occupancy: 16
; WaveLimiterHint : 1
; COMPUTE_PGM_RSRC2:SCRATCH_EN: 0
; COMPUTE_PGM_RSRC2:USER_SGPR: 15
; COMPUTE_PGM_RSRC2:TRAP_HANDLER: 0
; COMPUTE_PGM_RSRC2:TGID_X_EN: 1
; COMPUTE_PGM_RSRC2:TGID_Y_EN: 0
; COMPUTE_PGM_RSRC2:TGID_Z_EN: 0
; COMPUTE_PGM_RSRC2:TIDIG_COMP_CNT: 0
	.section	.text._ZN9rocsparseL23bsrgemm_fill_wf_per_rowILj256ELj64ELj16ELj137ELj4EiidEEv20rocsparse_direction_T5_S2_S2_PKS2_S4_NS_24const_host_device_scalarIT6_EEPKT4_S4_PKS6_SA_S4_SC_S7_SA_S4_SC_SA_PS2_PS6_21rocsparse_index_base_SF_SF_SF_bbb,"axG",@progbits,_ZN9rocsparseL23bsrgemm_fill_wf_per_rowILj256ELj64ELj16ELj137ELj4EiidEEv20rocsparse_direction_T5_S2_S2_PKS2_S4_NS_24const_host_device_scalarIT6_EEPKT4_S4_PKS6_SA_S4_SC_S7_SA_S4_SC_SA_PS2_PS6_21rocsparse_index_base_SF_SF_SF_bbb,comdat
	.globl	_ZN9rocsparseL23bsrgemm_fill_wf_per_rowILj256ELj64ELj16ELj137ELj4EiidEEv20rocsparse_direction_T5_S2_S2_PKS2_S4_NS_24const_host_device_scalarIT6_EEPKT4_S4_PKS6_SA_S4_SC_S7_SA_S4_SC_SA_PS2_PS6_21rocsparse_index_base_SF_SF_SF_bbb ; -- Begin function _ZN9rocsparseL23bsrgemm_fill_wf_per_rowILj256ELj64ELj16ELj137ELj4EiidEEv20rocsparse_direction_T5_S2_S2_PKS2_S4_NS_24const_host_device_scalarIT6_EEPKT4_S4_PKS6_SA_S4_SC_S7_SA_S4_SC_SA_PS2_PS6_21rocsparse_index_base_SF_SF_SF_bbb
	.p2align	8
	.type	_ZN9rocsparseL23bsrgemm_fill_wf_per_rowILj256ELj64ELj16ELj137ELj4EiidEEv20rocsparse_direction_T5_S2_S2_PKS2_S4_NS_24const_host_device_scalarIT6_EEPKT4_S4_PKS6_SA_S4_SC_S7_SA_S4_SC_SA_PS2_PS6_21rocsparse_index_base_SF_SF_SF_bbb,@function
_ZN9rocsparseL23bsrgemm_fill_wf_per_rowILj256ELj64ELj16ELj137ELj4EiidEEv20rocsparse_direction_T5_S2_S2_PKS2_S4_NS_24const_host_device_scalarIT6_EEPKT4_S4_PKS6_SA_S4_SC_S7_SA_S4_SC_SA_PS2_PS6_21rocsparse_index_base_SF_SF_SF_bbb: ; @_ZN9rocsparseL23bsrgemm_fill_wf_per_rowILj256ELj64ELj16ELj137ELj4EiidEEv20rocsparse_direction_T5_S2_S2_PKS2_S4_NS_24const_host_device_scalarIT6_EEPKT4_S4_PKS6_SA_S4_SC_S7_SA_S4_SC_SA_PS2_PS6_21rocsparse_index_base_SF_SF_SF_bbb
; %bb.0:
	s_clause 0x2
	s_load_b32 s6, s[0:1], 0xa0
	s_load_b64 s[4:5], s[0:1], 0x20
	s_load_b64 s[2:3], s[0:1], 0x58
	s_waitcnt lgkmcnt(0)
	s_and_b32 s8, 1, s6
	s_bitcmp1_b32 s6, 16
	s_cselect_b32 s7, -1, 0
	s_cmp_eq_u32 s8, 1
	s_cselect_b32 s13, -1, 0
	s_delay_alu instid0(SALU_CYCLE_1)
	s_and_b32 s8, s13, exec_lo
	s_cselect_b32 s9, s5, 0
	s_cselect_b32 s8, s4, 0
	s_xor_b32 s10, s13, -1
	v_dual_mov_b32 v7, s8 :: v_dual_mov_b32 v8, s9
	s_or_b32 s10, s10, s7
	s_delay_alu instid0(SALU_CYCLE_1)
	s_and_b32 vcc_lo, exec_lo, s10
	s_cbranch_vccnz .LBB34_2
; %bb.1:
	v_dual_mov_b32 v1, s4 :: v_dual_mov_b32 v2, s5
	flat_load_b64 v[7:8], v[1:2]
.LBB34_2:
	s_load_b128 s[36:39], s[0:1], 0x90
	s_bitcmp1_b32 s6, 8
	s_cselect_b32 s12, -1, 0
	s_delay_alu instid0(SALU_CYCLE_1)
	s_and_b32 s4, s12, exec_lo
	s_cselect_b32 s5, s3, 0
	s_cselect_b32 s4, s2, 0
	s_xor_b32 s6, s12, -1
	v_dual_mov_b32 v3, s4 :: v_dual_mov_b32 v4, s5
	s_or_b32 s6, s6, s7
	s_delay_alu instid0(SALU_CYCLE_1)
	s_and_b32 vcc_lo, exec_lo, s6
	s_cbranch_vccnz .LBB34_4
; %bb.3:
	v_dual_mov_b32 v1, s2 :: v_dual_mov_b32 v2, s3
	flat_load_b64 v[3:4], v[1:2]
.LBB34_4:
	s_clause 0x4
	s_load_b128 s[40:43], s[0:1], 0x80
	s_load_b256 s[16:23], s[0:1], 0x60
	s_load_b128 s[44:47], s[0:1], 0x48
	s_load_b256 s[4:11], s[0:1], 0x0
	s_load_b256 s[24:31], s[0:1], 0x28
	s_movk_i32 s0, 0xc0
	v_and_b32_e32 v9, 63, v0
	v_lshrrev_b32_e32 v28, 6, v0
	v_and_or_b32 v27, v0, s0, 0x2000
	s_mov_b32 s0, exec_lo
	s_delay_alu instid0(VALU_DEP_3)
	v_cmpx_gt_u32_e32 16, v9
	s_cbranch_execz .LBB34_6
; %bb.5:
	s_delay_alu instid0(VALU_DEP_2)
	v_lshl_add_u32 v1, v9, 2, v27
	s_waitcnt lgkmcnt(0)
	v_mov_b32_e32 v2, s6
	ds_store_b32 v1, v2
.LBB34_6:
	s_or_b32 exec_lo, exec_lo, s0
	v_mov_b32_e32 v1, 0
	v_lshlrev_b32_e32 v29, 11, v28
	v_or_b32_e32 v5, 0xffffffc0, v9
	s_mov_b32 s0, 0
	s_delay_alu instid0(VALU_DEP_3) | instskip(NEXT) | instid1(VALU_DEP_3)
	v_mov_b32_e32 v2, v1
	v_lshl_or_b32 v6, v9, 3, v29
.LBB34_7:                               ; =>This Inner Loop Header: Depth=1
	s_delay_alu instid0(VALU_DEP_3) | instskip(SKIP_4) | instid1(SALU_CYCLE_1)
	v_add_nc_u32_e32 v5, 64, v5
	ds_store_b64 v6, v[1:2]
	v_add_nc_u32_e32 v6, 0x200, v6
	v_cmp_lt_u32_e32 vcc_lo, 0xbf, v5
	s_or_b32 s0, vcc_lo, s0
	s_and_not1_b32 exec_lo, exec_lo, s0
	s_cbranch_execnz .LBB34_7
; %bb.8:
	s_or_b32 exec_lo, exec_lo, s0
	v_lshl_or_b32 v5, s15, 2, v28
	s_waitcnt vmcnt(0) lgkmcnt(0)
	s_barrier
	buffer_gl0_inv
	s_mov_b32 s0, exec_lo
	v_cmpx_gt_i32_e64 s5, v5
	s_cbranch_execz .LBB34_73
; %bb.9:
	s_cmp_eq_u64 s[10:11], 0
	s_cbranch_scc1 .LBB34_11
; %bb.10:
	s_load_b32 s0, s[8:9], 0x0
	s_waitcnt lgkmcnt(0)
	v_add_nc_u32_e32 v1, s0, v5
	s_delay_alu instid0(VALU_DEP_1) | instskip(NEXT) | instid1(VALU_DEP_1)
	v_ashrrev_i32_e32 v2, 31, v1
	v_lshlrev_b64 v[1:2], 2, v[1:2]
	s_delay_alu instid0(VALU_DEP_1) | instskip(NEXT) | instid1(VALU_DEP_2)
	v_add_co_u32 v1, vcc_lo, s10, v1
	v_add_co_ci_u32_e32 v2, vcc_lo, s11, v2, vcc_lo
	global_load_b32 v5, v[1:2], off
.LBB34_11:
	s_waitcnt vmcnt(0)
	v_ashrrev_i32_e32 v6, 31, v5
	v_lshrrev_b32_e32 v30, 4, v9
	v_and_b32_e32 v1, 3, v0
	v_bfe_u32 v2, v0, 2, 2
	s_and_not1_b32 vcc_lo, exec_lo, s13
	v_lshlrev_b64 v[5:6], 2, v[5:6]
	s_cbranch_vccnz .LBB34_46
; %bb.12:
	s_delay_alu instid0(VALU_DEP_1) | instskip(NEXT) | instid1(VALU_DEP_2)
	v_add_co_u32 v9, vcc_lo, s24, v5
	v_add_co_ci_u32_e32 v10, vcc_lo, s25, v6, vcc_lo
	v_subrev_nc_u32_e32 v11, s36, v30
	s_mov_b32 s2, exec_lo
	global_load_b64 v[9:10], v[9:10], off
	s_waitcnt vmcnt(0)
	v_subrev_nc_u32_e32 v31, s36, v10
	v_add_nc_u32_e32 v9, v9, v11
	s_delay_alu instid0(VALU_DEP_1)
	v_cmpx_lt_i32_e64 v9, v31
	s_cbranch_execz .LBB34_45
; %bb.13:
	v_mad_u64_u32 v[10:11], null, s7, v9, v[2:3]
	v_max_i32_e32 v12, v1, v2
	s_cmp_lg_u32 s4, 0
	s_mul_i32 s5, s7, s7
	s_cselect_b32 s3, -1, 0
	s_cmp_gt_i32 s7, 0
	v_cmp_gt_i32_e64 s0, s7, v12
	v_mad_u64_u32 v[11:12], null, s5, v9, v[2:3]
	v_mul_lo_u32 v12, s7, v10
	s_cselect_b32 s8, -1, 0
	v_and_b32_e32 v32, 15, v0
	v_cndmask_b32_e64 v33, 0, 1, s8
	s_mov_b32 s9, 0
	s_lshl_b32 s10, s5, 2
	s_branch .LBB34_15
.LBB34_14:                              ;   in Loop: Header=BB34_15 Depth=1
	s_or_b32 exec_lo, exec_lo, s11
	v_add_nc_u32_e32 v9, 4, v9
	v_add_nc_u32_e32 v11, s10, v11
	v_add_nc_u32_e32 v12, s10, v12
	s_delay_alu instid0(VALU_DEP_3) | instskip(SKIP_1) | instid1(SALU_CYCLE_1)
	v_cmp_ge_i32_e32 vcc_lo, v9, v31
	s_or_b32 s9, vcc_lo, s9
	s_and_not1_b32 exec_lo, exec_lo, s9
	s_cbranch_execz .LBB34_45
.LBB34_15:                              ; =>This Loop Header: Depth=1
                                        ;     Child Loop BB34_18 Depth 2
                                        ;       Child Loop BB34_22 Depth 3
                                        ;       Child Loop BB34_28 Depth 3
	;; [unrolled: 1-line block ×3, first 2 shown]
                                        ;         Child Loop BB34_37 Depth 4
                                        ;         Child Loop BB34_43 Depth 4
	v_ashrrev_i32_e32 v10, 31, v9
	s_mov_b32 s11, exec_lo
	s_delay_alu instid0(VALU_DEP_1) | instskip(NEXT) | instid1(VALU_DEP_1)
	v_lshlrev_b64 v[13:14], 2, v[9:10]
	v_add_co_u32 v13, vcc_lo, s26, v13
	s_delay_alu instid0(VALU_DEP_2) | instskip(SKIP_3) | instid1(VALU_DEP_1)
	v_add_co_ci_u32_e32 v14, vcc_lo, s27, v14, vcc_lo
	global_load_b32 v10, v[13:14], off
	s_waitcnt vmcnt(0)
	v_subrev_nc_u32_e32 v13, s36, v10
	v_ashrrev_i32_e32 v14, 31, v13
	s_delay_alu instid0(VALU_DEP_1) | instskip(NEXT) | instid1(VALU_DEP_1)
	v_lshlrev_b64 v[13:14], 2, v[13:14]
	v_add_co_u32 v13, vcc_lo, s30, v13
	s_delay_alu instid0(VALU_DEP_2)
	v_add_co_ci_u32_e32 v14, vcc_lo, s31, v14, vcc_lo
	global_load_b64 v[14:15], v[13:14], off
	s_waitcnt vmcnt(0)
	v_cmpx_lt_i32_e64 v14, v15
	s_cbranch_execz .LBB34_14
; %bb.16:                               ;   in Loop: Header=BB34_15 Depth=1
	v_subrev_nc_u32_e32 v14, s37, v14
	v_ashrrev_i32_e32 v13, 31, v12
	v_subrev_nc_u32_e32 v10, s37, v15
	s_mov_b32 s13, 0
	s_delay_alu instid0(VALU_DEP_3) | instskip(NEXT) | instid1(VALU_DEP_3)
	v_mad_u64_u32 v[18:19], null, s7, v14, v[1:2]
	v_lshlrev_b64 v[19:20], 3, v[12:13]
	v_mad_u64_u32 v[16:17], null, s5, v14, v[1:2]
	s_delay_alu instid0(VALU_DEP_2) | instskip(NEXT) | instid1(VALU_DEP_4)
	v_add_co_u32 v19, vcc_lo, s28, v19
	v_mul_lo_u32 v17, s7, v18
	s_delay_alu instid0(VALU_DEP_4)
	v_add_co_ci_u32_e32 v20, vcc_lo, s29, v20, vcc_lo
	s_branch .LBB34_18
.LBB34_17:                              ;   in Loop: Header=BB34_18 Depth=2
	s_or_b32 exec_lo, exec_lo, s14
	v_add_nc_u32_e32 v14, 1, v14
	s_delay_alu instid0(VALU_DEP_3) | instskip(SKIP_1) | instid1(VALU_DEP_3)
	v_add_nc_u32_e32 v17, s5, v17
	v_add_nc_u32_e32 v16, s5, v16
	v_cmp_ge_i32_e32 vcc_lo, v14, v10
	s_or_b32 s13, vcc_lo, s13
	s_delay_alu instid0(SALU_CYCLE_1)
	s_and_not1_b32 exec_lo, exec_lo, s13
	s_cbranch_execz .LBB34_14
.LBB34_18:                              ;   Parent Loop BB34_15 Depth=1
                                        ; =>  This Loop Header: Depth=2
                                        ;       Child Loop BB34_22 Depth 3
                                        ;       Child Loop BB34_28 Depth 3
	;; [unrolled: 1-line block ×3, first 2 shown]
                                        ;         Child Loop BB34_37 Depth 4
                                        ;         Child Loop BB34_43 Depth 4
	s_and_saveexec_b32 s14, s0
	s_cbranch_execz .LBB34_17
; %bb.19:                               ;   in Loop: Header=BB34_18 Depth=2
	v_ashrrev_i32_e32 v15, 31, v14
	v_cmp_ne_u32_e64 s1, 1, v33
	s_delay_alu instid0(VALU_DEP_2) | instskip(NEXT) | instid1(VALU_DEP_1)
	v_lshlrev_b64 v[21:22], 2, v[14:15]
	v_add_co_u32 v21, vcc_lo, s44, v21
	s_delay_alu instid0(VALU_DEP_2)
	v_add_co_ci_u32_e32 v22, vcc_lo, s45, v22, vcc_lo
	s_and_not1_b32 vcc_lo, exec_lo, s3
	global_load_b32 v13, v[21:22], off
	s_cbranch_vccnz .LBB34_24
; %bb.20:                               ;   in Loop: Header=BB34_18 Depth=2
	s_and_b32 vcc_lo, exec_lo, s1
	s_cbranch_vccnz .LBB34_25
; %bb.21:                               ;   in Loop: Header=BB34_18 Depth=2
	v_ashrrev_i32_e32 v18, 31, v17
	v_mov_b32_e32 v21, 0
	v_dual_mov_b32 v22, 0 :: v_dual_mov_b32 v25, v11
	s_mov_b32 s1, s7
	s_delay_alu instid0(VALU_DEP_3) | instskip(NEXT) | instid1(VALU_DEP_1)
	v_lshlrev_b64 v[23:24], 3, v[17:18]
	v_add_co_u32 v23, vcc_lo, s46, v23
	s_delay_alu instid0(VALU_DEP_2)
	v_add_co_ci_u32_e32 v24, vcc_lo, s47, v24, vcc_lo
	.p2align	6
.LBB34_22:                              ;   Parent Loop BB34_15 Depth=1
                                        ;     Parent Loop BB34_18 Depth=2
                                        ; =>    This Inner Loop Header: Depth=3
	v_ashrrev_i32_e32 v26, 31, v25
	s_add_i32 s1, s1, -1
	s_delay_alu instid0(SALU_CYCLE_1) | instskip(NEXT) | instid1(VALU_DEP_1)
	s_cmp_lg_u32 s1, 0
	v_lshlrev_b64 v[34:35], 3, v[25:26]
	v_add_nc_u32_e32 v25, s7, v25
	s_delay_alu instid0(VALU_DEP_2) | instskip(NEXT) | instid1(VALU_DEP_3)
	v_add_co_u32 v34, vcc_lo, s28, v34
	v_add_co_ci_u32_e32 v35, vcc_lo, s29, v35, vcc_lo
	global_load_b64 v[36:37], v[23:24], off
	global_load_b64 v[34:35], v[34:35], off
	v_add_co_u32 v23, vcc_lo, v23, 8
	v_add_co_ci_u32_e32 v24, vcc_lo, 0, v24, vcc_lo
	s_waitcnt vmcnt(0)
	v_fma_f64 v[21:22], v[34:35], v[36:37], v[21:22]
	s_cbranch_scc1 .LBB34_22
; %bb.23:                               ;   in Loop: Header=BB34_18 Depth=2
	s_cbranch_execz .LBB34_26
	s_branch .LBB34_29
.LBB34_24:                              ;   in Loop: Header=BB34_18 Depth=2
                                        ; implicit-def: $vgpr21_vgpr22
	s_branch .LBB34_26
.LBB34_25:                              ;   in Loop: Header=BB34_18 Depth=2
	v_mov_b32_e32 v21, 0
	v_mov_b32_e32 v22, 0
	s_cbranch_execnz .LBB34_29
.LBB34_26:                              ;   in Loop: Header=BB34_18 Depth=2
	v_mov_b32_e32 v21, 0
	v_mov_b32_e32 v22, 0
	s_and_not1_b32 vcc_lo, exec_lo, s8
	s_cbranch_vccnz .LBB34_29
; %bb.27:                               ;   in Loop: Header=BB34_18 Depth=2
	v_dual_mov_b32 v24, v20 :: v_dual_mov_b32 v23, v19
	v_mov_b32_e32 v25, v16
	s_mov_b32 s1, s7
	.p2align	6
.LBB34_28:                              ;   Parent Loop BB34_15 Depth=1
                                        ;     Parent Loop BB34_18 Depth=2
                                        ; =>    This Inner Loop Header: Depth=3
	s_delay_alu instid0(VALU_DEP_1) | instskip(SKIP_1) | instid1(SALU_CYCLE_1)
	v_ashrrev_i32_e32 v26, 31, v25
	s_add_i32 s1, s1, -1
	s_cmp_eq_u32 s1, 0
	s_delay_alu instid0(VALU_DEP_1) | instskip(SKIP_1) | instid1(VALU_DEP_2)
	v_lshlrev_b64 v[34:35], 3, v[25:26]
	v_add_nc_u32_e32 v25, s7, v25
	v_add_co_u32 v34, vcc_lo, s46, v34
	s_delay_alu instid0(VALU_DEP_3)
	v_add_co_ci_u32_e32 v35, vcc_lo, s47, v35, vcc_lo
	global_load_b64 v[36:37], v[23:24], off
	global_load_b64 v[34:35], v[34:35], off
	v_add_co_u32 v23, vcc_lo, v23, 8
	v_add_co_ci_u32_e32 v24, vcc_lo, 0, v24, vcc_lo
	s_waitcnt vmcnt(0)
	v_fma_f64 v[21:22], v[36:37], v[34:35], v[21:22]
	s_cbranch_scc0 .LBB34_28
.LBB34_29:                              ;   in Loop: Header=BB34_18 Depth=2
	s_delay_alu instid0(VALU_DEP_1) | instskip(SKIP_3) | instid1(VALU_DEP_1)
	v_mul_f64 v[21:22], v[7:8], v[21:22]
	s_waitcnt vmcnt(0)
	v_subrev_nc_u32_e32 v13, s37, v13
	s_mov_b32 s1, 0
	v_lshl_add_u32 v15, v13, 3, v13
	s_delay_alu instid0(VALU_DEP_1)
	v_and_b32_e32 v15, 15, v15
	s_branch .LBB34_31
.LBB34_30:                              ;   in Loop: Header=BB34_31 Depth=3
	s_or_b32 exec_lo, exec_lo, s15
	s_xor_b32 s15, s24, -1
	s_delay_alu instid0(SALU_CYCLE_1) | instskip(NEXT) | instid1(SALU_CYCLE_1)
	s_and_b32 s15, exec_lo, s15
	s_or_b32 s1, s15, s1
	s_delay_alu instid0(SALU_CYCLE_1)
	s_and_not1_b32 exec_lo, exec_lo, s1
	s_cbranch_execz .LBB34_17
.LBB34_31:                              ;   Parent Loop BB34_15 Depth=1
                                        ;     Parent Loop BB34_18 Depth=2
                                        ; =>    This Loop Header: Depth=3
                                        ;         Child Loop BB34_37 Depth 4
                                        ;         Child Loop BB34_43 Depth 4
	s_delay_alu instid0(VALU_DEP_1)
	v_lshl_add_u32 v18, v15, 2, v27
	s_mov_b32 s15, exec_lo
                                        ; implicit-def: $sgpr24
	ds_load_b32 v23, v18
	s_waitcnt lgkmcnt(0)
	v_cmpx_ne_u32_e64 v23, v13
	s_xor_b32 s15, exec_lo, s15
	s_cbranch_execz .LBB34_41
; %bb.32:                               ;   in Loop: Header=BB34_31 Depth=3
	s_mov_b32 s25, exec_lo
                                        ; implicit-def: $sgpr24
	v_cmpx_ne_u32_e64 s6, v23
	s_xor_b32 s25, exec_lo, s25
; %bb.33:                               ;   in Loop: Header=BB34_31 Depth=3
	v_add_nc_u32_e32 v15, 1, v15
	s_mov_b32 s24, -1
                                        ; implicit-def: $vgpr18
	s_delay_alu instid0(VALU_DEP_1)
	v_and_b32_e32 v15, 15, v15
; %bb.34:                               ;   in Loop: Header=BB34_31 Depth=3
	s_and_not1_saveexec_b32 s25, s25
	s_cbranch_execz .LBB34_40
; %bb.35:                               ;   in Loop: Header=BB34_31 Depth=3
	v_mov_b32_e32 v23, s6
	s_mov_b32 s34, -1
	s_mov_b32 s33, exec_lo
	ds_cmpstore_rtn_b32 v18, v18, v13, v23
	s_waitcnt lgkmcnt(0)
	v_cmpx_eq_u32_e64 s6, v18
	s_cbranch_execz .LBB34_39
; %bb.36:                               ;   in Loop: Header=BB34_31 Depth=3
	v_lshlrev_b32_e32 v18, 3, v32
	s_mov_b32 s34, 0
	s_delay_alu instid0(VALU_DEP_1) | instskip(NEXT) | instid1(VALU_DEP_1)
	v_lshl_or_b32 v18, v15, 7, v18
	v_add_nc_u32_e32 v18, v29, v18
	ds_load_b64 v[23:24], v18
.LBB34_37:                              ;   Parent Loop BB34_15 Depth=1
                                        ;     Parent Loop BB34_18 Depth=2
                                        ;       Parent Loop BB34_31 Depth=3
                                        ; =>      This Inner Loop Header: Depth=4
	s_waitcnt lgkmcnt(0)
	v_add_f64 v[25:26], v[23:24], v[21:22]
	ds_cmpstore_rtn_b64 v[25:26], v18, v[25:26], v[23:24]
	s_waitcnt lgkmcnt(0)
	v_cmp_eq_u64_e32 vcc_lo, v[25:26], v[23:24]
	v_dual_mov_b32 v23, v25 :: v_dual_mov_b32 v24, v26
	s_or_b32 s34, vcc_lo, s34
	s_delay_alu instid0(SALU_CYCLE_1)
	s_and_not1_b32 exec_lo, exec_lo, s34
	s_cbranch_execnz .LBB34_37
; %bb.38:                               ;   in Loop: Header=BB34_31 Depth=3
	s_or_b32 exec_lo, exec_lo, s34
	s_delay_alu instid0(SALU_CYCLE_1)
	s_xor_b32 s34, exec_lo, -1
.LBB34_39:                              ;   in Loop: Header=BB34_31 Depth=3
	s_or_b32 exec_lo, exec_lo, s33
	s_delay_alu instid0(SALU_CYCLE_1) | instskip(SKIP_1) | instid1(SALU_CYCLE_1)
	s_and_not1_b32 s24, s24, exec_lo
	s_and_b32 s33, s34, exec_lo
	s_or_b32 s24, s24, s33
.LBB34_40:                              ;   in Loop: Header=BB34_31 Depth=3
	s_or_b32 exec_lo, exec_lo, s25
	s_delay_alu instid0(SALU_CYCLE_1)
	s_and_b32 s24, s24, exec_lo
.LBB34_41:                              ;   in Loop: Header=BB34_31 Depth=3
	s_and_not1_saveexec_b32 s15, s15
	s_cbranch_execz .LBB34_30
; %bb.42:                               ;   in Loop: Header=BB34_31 Depth=3
	v_lshlrev_b32_e32 v18, 3, v32
	s_mov_b32 s25, 0
	s_delay_alu instid0(VALU_DEP_1) | instskip(NEXT) | instid1(VALU_DEP_1)
	v_lshl_or_b32 v18, v15, 7, v18
	v_add_nc_u32_e32 v18, v29, v18
	ds_load_b64 v[23:24], v18
.LBB34_43:                              ;   Parent Loop BB34_15 Depth=1
                                        ;     Parent Loop BB34_18 Depth=2
                                        ;       Parent Loop BB34_31 Depth=3
                                        ; =>      This Inner Loop Header: Depth=4
	s_waitcnt lgkmcnt(0)
	v_add_f64 v[25:26], v[23:24], v[21:22]
	ds_cmpstore_rtn_b64 v[25:26], v18, v[25:26], v[23:24]
	s_waitcnt lgkmcnt(0)
	v_cmp_eq_u64_e32 vcc_lo, v[25:26], v[23:24]
	v_dual_mov_b32 v23, v25 :: v_dual_mov_b32 v24, v26
	s_or_b32 s25, vcc_lo, s25
	s_delay_alu instid0(SALU_CYCLE_1)
	s_and_not1_b32 exec_lo, exec_lo, s25
	s_cbranch_execnz .LBB34_43
; %bb.44:                               ;   in Loop: Header=BB34_31 Depth=3
	s_or_b32 exec_lo, exec_lo, s25
	s_delay_alu instid0(SALU_CYCLE_1)
	s_and_not1_b32 s24, s24, exec_lo
	s_branch .LBB34_30
.LBB34_45:
	s_or_b32 exec_lo, exec_lo, s2
.LBB34_46:
	s_delay_alu instid0(SALU_CYCLE_1)
	s_and_not1_b32 vcc_lo, exec_lo, s12
	s_barrier
	buffer_gl0_inv
	s_cbranch_vccnz .LBB34_68
; %bb.47:
	v_add_co_u32 v7, vcc_lo, s16, v5
	v_add_co_ci_u32_e32 v8, vcc_lo, s17, v6, vcc_lo
	v_subrev_nc_u32_e32 v9, s39, v30
	s_mov_b32 s1, exec_lo
	global_load_b64 v[7:8], v[7:8], off
	s_waitcnt vmcnt(0)
	v_subrev_nc_u32_e32 v14, s39, v8
	v_add_nc_u32_e32 v7, v7, v9
	s_delay_alu instid0(VALU_DEP_1)
	v_cmpx_lt_i32_e64 v7, v14
	s_cbranch_execz .LBB34_67
; %bb.48:
	v_max_i32_e32 v8, v1, v2
	v_and_b32_e32 v10, 15, v0
	s_cmp_eq_u32 s4, 0
	s_mov_b32 s2, 0
	s_cselect_b32 s0, -1, 0
	v_cmp_gt_i32_e32 vcc_lo, s7, v8
	v_cndmask_b32_e64 v0, v1, v2, s0
	v_cndmask_b32_e64 v9, v2, v1, s0
	v_lshlrev_b32_e32 v15, 3, v10
	s_branch .LBB34_50
.LBB34_49:                              ;   in Loop: Header=BB34_50 Depth=1
	s_or_b32 exec_lo, exec_lo, s3
	v_add_nc_u32_e32 v7, 4, v7
	s_delay_alu instid0(VALU_DEP_1) | instskip(NEXT) | instid1(VALU_DEP_1)
	v_cmp_ge_i32_e64 s0, v7, v14
	s_or_b32 s2, s0, s2
	s_delay_alu instid0(SALU_CYCLE_1)
	s_and_not1_b32 exec_lo, exec_lo, s2
	s_cbranch_execz .LBB34_67
.LBB34_50:                              ; =>This Loop Header: Depth=1
                                        ;     Child Loop BB34_53 Depth 2
                                        ;       Child Loop BB34_59 Depth 3
                                        ;       Child Loop BB34_65 Depth 3
	s_and_saveexec_b32 s3, vcc_lo
	s_cbranch_execz .LBB34_49
; %bb.51:                               ;   in Loop: Header=BB34_50 Depth=1
	v_mad_u64_u32 v[10:11], null, v7, s7, v[0:1]
	v_ashrrev_i32_e32 v8, 31, v7
	s_mov_b32 s5, 0
	s_delay_alu instid0(VALU_DEP_2) | instskip(NEXT) | instid1(VALU_DEP_1)
	v_mad_u64_u32 v[11:12], null, v10, s7, v[9:10]
	v_ashrrev_i32_e32 v12, 31, v11
	s_delay_alu instid0(VALU_DEP_1) | instskip(SKIP_1) | instid1(VALU_DEP_2)
	v_lshlrev_b64 v[10:11], 3, v[11:12]
	v_lshlrev_b64 v[12:13], 2, v[7:8]
	v_add_co_u32 v10, s0, s20, v10
	s_delay_alu instid0(VALU_DEP_1) | instskip(NEXT) | instid1(VALU_DEP_3)
	v_add_co_ci_u32_e64 v11, s0, s21, v11, s0
	v_add_co_u32 v12, s0, s18, v12
	s_delay_alu instid0(VALU_DEP_1)
	v_add_co_ci_u32_e64 v13, s0, s19, v13, s0
	global_load_b64 v[10:11], v[10:11], off
	global_load_b32 v8, v[12:13], off
	s_waitcnt vmcnt(1)
	v_mul_f64 v[10:11], v[3:4], v[10:11]
	s_waitcnt vmcnt(0)
	v_subrev_nc_u32_e32 v8, s39, v8
	s_delay_alu instid0(VALU_DEP_1) | instskip(NEXT) | instid1(VALU_DEP_1)
	v_lshl_add_u32 v12, v8, 3, v8
	v_and_b32_e32 v16, 15, v12
	s_branch .LBB34_53
.LBB34_52:                              ;   in Loop: Header=BB34_53 Depth=2
	s_or_b32 exec_lo, exec_lo, s8
	s_xor_b32 s0, s9, -1
	s_delay_alu instid0(SALU_CYCLE_1) | instskip(NEXT) | instid1(SALU_CYCLE_1)
	s_and_b32 s0, exec_lo, s0
	s_or_b32 s5, s0, s5
	s_delay_alu instid0(SALU_CYCLE_1)
	s_and_not1_b32 exec_lo, exec_lo, s5
	s_cbranch_execz .LBB34_49
.LBB34_53:                              ;   Parent Loop BB34_50 Depth=1
                                        ; =>  This Loop Header: Depth=2
                                        ;       Child Loop BB34_59 Depth 3
                                        ;       Child Loop BB34_65 Depth 3
	s_delay_alu instid0(VALU_DEP_1)
	v_lshl_add_u32 v12, v16, 2, v27
	s_mov_b32 s8, exec_lo
                                        ; implicit-def: $sgpr9
	ds_load_b32 v13, v12
	s_waitcnt lgkmcnt(0)
	v_cmpx_ne_u32_e64 v13, v8
	s_xor_b32 s8, exec_lo, s8
	s_cbranch_execz .LBB34_63
; %bb.54:                               ;   in Loop: Header=BB34_53 Depth=2
	v_cmp_ne_u32_e64 s0, s6, v13
                                        ; implicit-def: $sgpr9
	s_delay_alu instid0(VALU_DEP_1) | instskip(NEXT) | instid1(SALU_CYCLE_1)
	s_and_saveexec_b32 s10, s0
	s_xor_b32 s0, exec_lo, s10
; %bb.55:                               ;   in Loop: Header=BB34_53 Depth=2
	v_add_nc_u32_e32 v12, 1, v16
	s_mov_b32 s9, -1
	s_delay_alu instid0(VALU_DEP_1)
	v_and_b32_e32 v16, 15, v12
                                        ; implicit-def: $vgpr12
; %bb.56:                               ;   in Loop: Header=BB34_53 Depth=2
	s_and_not1_saveexec_b32 s10, s0
	s_cbranch_execz .LBB34_62
; %bb.57:                               ;   in Loop: Header=BB34_53 Depth=2
	v_mov_b32_e32 v13, s6
	s_mov_b32 s12, -1
	s_mov_b32 s11, exec_lo
	ds_cmpstore_rtn_b32 v12, v12, v8, v13
	s_waitcnt lgkmcnt(0)
	v_cmpx_eq_u32_e64 s6, v12
	s_cbranch_execz .LBB34_61
; %bb.58:                               ;   in Loop: Header=BB34_53 Depth=2
	v_lshl_or_b32 v12, v16, 7, v15
	s_mov_b32 s12, 0
	s_delay_alu instid0(VALU_DEP_1)
	v_add_nc_u32_e32 v17, v29, v12
	ds_load_b64 v[12:13], v17
.LBB34_59:                              ;   Parent Loop BB34_50 Depth=1
                                        ;     Parent Loop BB34_53 Depth=2
                                        ; =>    This Inner Loop Header: Depth=3
	s_waitcnt lgkmcnt(0)
	v_add_f64 v[18:19], v[12:13], v[10:11]
	ds_cmpstore_rtn_b64 v[18:19], v17, v[18:19], v[12:13]
	s_waitcnt lgkmcnt(0)
	v_cmp_eq_u64_e64 s0, v[18:19], v[12:13]
	v_dual_mov_b32 v12, v18 :: v_dual_mov_b32 v13, v19
	s_delay_alu instid0(VALU_DEP_2) | instskip(NEXT) | instid1(SALU_CYCLE_1)
	s_or_b32 s12, s0, s12
	s_and_not1_b32 exec_lo, exec_lo, s12
	s_cbranch_execnz .LBB34_59
; %bb.60:                               ;   in Loop: Header=BB34_53 Depth=2
	s_or_b32 exec_lo, exec_lo, s12
	s_delay_alu instid0(SALU_CYCLE_1)
	s_xor_b32 s12, exec_lo, -1
.LBB34_61:                              ;   in Loop: Header=BB34_53 Depth=2
	s_or_b32 exec_lo, exec_lo, s11
	s_delay_alu instid0(SALU_CYCLE_1) | instskip(SKIP_1) | instid1(SALU_CYCLE_1)
	s_and_not1_b32 s0, s9, exec_lo
	s_and_b32 s9, s12, exec_lo
	s_or_b32 s9, s0, s9
.LBB34_62:                              ;   in Loop: Header=BB34_53 Depth=2
	s_or_b32 exec_lo, exec_lo, s10
	s_delay_alu instid0(SALU_CYCLE_1)
	s_and_b32 s9, s9, exec_lo
.LBB34_63:                              ;   in Loop: Header=BB34_53 Depth=2
	s_and_not1_saveexec_b32 s8, s8
	s_cbranch_execz .LBB34_52
; %bb.64:                               ;   in Loop: Header=BB34_53 Depth=2
	v_lshl_or_b32 v12, v16, 7, v15
	s_mov_b32 s10, 0
	s_delay_alu instid0(VALU_DEP_1)
	v_add_nc_u32_e32 v17, v29, v12
	ds_load_b64 v[12:13], v17
.LBB34_65:                              ;   Parent Loop BB34_50 Depth=1
                                        ;     Parent Loop BB34_53 Depth=2
                                        ; =>    This Inner Loop Header: Depth=3
	s_waitcnt lgkmcnt(0)
	v_add_f64 v[18:19], v[12:13], v[10:11]
	ds_cmpstore_rtn_b64 v[18:19], v17, v[18:19], v[12:13]
	s_waitcnt lgkmcnt(0)
	v_cmp_eq_u64_e64 s0, v[18:19], v[12:13]
	v_dual_mov_b32 v12, v18 :: v_dual_mov_b32 v13, v19
	s_delay_alu instid0(VALU_DEP_2) | instskip(NEXT) | instid1(SALU_CYCLE_1)
	s_or_b32 s10, s0, s10
	s_and_not1_b32 exec_lo, exec_lo, s10
	s_cbranch_execnz .LBB34_65
; %bb.66:                               ;   in Loop: Header=BB34_53 Depth=2
	s_or_b32 exec_lo, exec_lo, s10
	s_delay_alu instid0(SALU_CYCLE_1)
	s_and_not1_b32 s9, s9, exec_lo
	s_branch .LBB34_52
.LBB34_67:
	s_or_b32 exec_lo, exec_lo, s1
.LBB34_68:
	v_add_co_u32 v3, vcc_lo, s22, v5
	v_add_co_ci_u32_e32 v4, vcc_lo, s23, v6, vcc_lo
	s_barrier
	buffer_gl0_inv
	global_load_b32 v3, v[3:4], off
	s_cmp_eq_u32 s4, 0
	v_max_i32_e32 v5, v1, v2
	s_cselect_b32 vcc_lo, -1, 0
	v_dual_cndmask_b32 v4, v2, v1 :: v_dual_lshlrev_b32 v7, 6, v28
	v_cndmask_b32_e32 v0, v1, v2, vcc_lo
	v_lshlrev_b32_e32 v8, 2, v30
	v_cmp_gt_i32_e32 vcc_lo, s7, v5
	s_mov_b32 s1, 0
	v_lshlrev_b32_e32 v4, 3, v4
	s_delay_alu instid0(VALU_DEP_3) | instskip(NEXT) | instid1(VALU_DEP_2)
	v_or3_b32 v7, v7, v8, 0x2000
	v_lshl_or_b32 v4, v30, 7, v4
	s_delay_alu instid0(VALU_DEP_1) | instskip(SKIP_1) | instid1(VALU_DEP_2)
	v_lshl_or_b32 v4, v0, 5, v4
	v_or_b32_e32 v0, -4, v30
	v_add_nc_u32_e32 v5, v29, v4
	s_waitcnt vmcnt(0)
	v_subrev_nc_u32_e32 v6, s38, v3
	s_branch .LBB34_70
.LBB34_69:                              ;   in Loop: Header=BB34_70 Depth=1
	s_or_b32 exec_lo, exec_lo, s2
	v_add_nc_u32_e32 v0, 4, v0
	v_add_nc_u32_e32 v5, 0x200, v5
	;; [unrolled: 1-line block ×3, first 2 shown]
	s_delay_alu instid0(VALU_DEP_3) | instskip(NEXT) | instid1(VALU_DEP_1)
	v_cmp_lt_u32_e64 s0, 11, v0
	s_or_b32 s1, s0, s1
	s_delay_alu instid0(SALU_CYCLE_1)
	s_and_not1_b32 exec_lo, exec_lo, s1
	s_cbranch_execz .LBB34_73
.LBB34_70:                              ; =>This Inner Loop Header: Depth=1
	ds_load_b32 v8, v7
	s_mov_b32 s2, exec_lo
	s_waitcnt lgkmcnt(0)
	v_cmpx_gt_i32_e64 s6, v8
	s_cbranch_execz .LBB34_69
; %bb.71:                               ;   in Loop: Header=BB34_70 Depth=1
	ds_load_b128 v[9:12], v27
	ds_load_b128 v[13:16], v27 offset:16
	ds_load_b128 v[17:20], v27 offset:32
	;; [unrolled: 1-line block ×3, first 2 shown]
	s_waitcnt lgkmcnt(3)
	v_cmp_gt_i32_e64 s0, v8, v9
	s_delay_alu instid0(VALU_DEP_1) | instskip(SKIP_1) | instid1(VALU_DEP_1)
	v_cndmask_b32_e64 v3, 0, 1, s0
	v_cmp_gt_i32_e64 s0, v8, v11
	v_cndmask_b32_e64 v4, 0, 1, s0
	v_cmp_gt_i32_e64 s0, v8, v10
	s_delay_alu instid0(VALU_DEP_1) | instskip(SKIP_2) | instid1(VALU_DEP_1)
	v_add_co_ci_u32_e64 v3, s0, v6, v3, s0
	s_waitcnt lgkmcnt(2)
	v_cmp_gt_i32_e64 s0, v8, v13
	v_cndmask_b32_e64 v9, 0, 1, s0
	v_cmp_gt_i32_e64 s0, v8, v12
	s_delay_alu instid0(VALU_DEP_1) | instskip(SKIP_1) | instid1(VALU_DEP_1)
	v_add_co_ci_u32_e64 v3, s0, v3, v4, s0
	v_cmp_gt_i32_e64 s0, v8, v15
	v_cndmask_b32_e64 v4, 0, 1, s0
	v_cmp_gt_i32_e64 s0, v8, v14
	s_delay_alu instid0(VALU_DEP_1) | instskip(SKIP_2) | instid1(VALU_DEP_1)
	v_add_co_ci_u32_e64 v3, s0, v3, v9, s0
	s_waitcnt lgkmcnt(1)
	v_cmp_gt_i32_e64 s0, v8, v17
	v_cndmask_b32_e64 v9, 0, 1, s0
	v_cmp_gt_i32_e64 s0, v8, v16
	s_delay_alu instid0(VALU_DEP_1) | instskip(SKIP_1) | instid1(VALU_DEP_1)
	v_add_co_ci_u32_e64 v3, s0, v3, v4, s0
	;; [unrolled: 11-line block ×3, first 2 shown]
	v_cmp_gt_i32_e64 s0, v8, v23
	v_cndmask_b32_e64 v4, 0, 1, s0
	v_cmp_gt_i32_e64 s0, v8, v22
	s_delay_alu instid0(VALU_DEP_1) | instskip(SKIP_1) | instid1(VALU_DEP_1)
	v_add_co_ci_u32_e64 v3, s0, v3, v9, s0
	v_cmp_gt_i32_e64 s0, v8, v24
	v_add_co_ci_u32_e64 v3, s0, v3, v4, s0
	s_delay_alu instid0(VALU_DEP_1) | instskip(NEXT) | instid1(VALU_DEP_1)
	v_ashrrev_i32_e32 v4, 31, v3
	v_lshlrev_b64 v[9:10], 2, v[3:4]
	v_add_nc_u32_e32 v4, s38, v8
	s_delay_alu instid0(VALU_DEP_2) | instskip(NEXT) | instid1(VALU_DEP_1)
	v_add_co_u32 v8, s0, s40, v9
	v_add_co_ci_u32_e64 v9, s0, s41, v10, s0
	global_store_b32 v[8:9], v4, off
	s_and_b32 exec_lo, exec_lo, vcc_lo
	s_cbranch_execz .LBB34_69
; %bb.72:                               ;   in Loop: Header=BB34_70 Depth=1
	v_mad_u64_u32 v[8:9], null, v3, s7, v[2:3]
	s_delay_alu instid0(VALU_DEP_1) | instskip(SKIP_2) | instid1(VALU_DEP_1)
	v_mad_u64_u32 v[3:4], null, v8, s7, v[1:2]
	ds_load_b64 v[8:9], v5
	v_ashrrev_i32_e32 v4, 31, v3
	v_lshlrev_b64 v[3:4], 3, v[3:4]
	s_delay_alu instid0(VALU_DEP_1) | instskip(NEXT) | instid1(VALU_DEP_1)
	v_add_co_u32 v3, s0, s42, v3
	v_add_co_ci_u32_e64 v4, s0, s43, v4, s0
	s_waitcnt lgkmcnt(0)
	global_store_b64 v[3:4], v[8:9], off
	s_branch .LBB34_69
.LBB34_73:
	s_nop 0
	s_sendmsg sendmsg(MSG_DEALLOC_VGPRS)
	s_endpgm
	.section	.rodata,"a",@progbits
	.p2align	6, 0x0
	.amdhsa_kernel _ZN9rocsparseL23bsrgemm_fill_wf_per_rowILj256ELj64ELj16ELj137ELj4EiidEEv20rocsparse_direction_T5_S2_S2_PKS2_S4_NS_24const_host_device_scalarIT6_EEPKT4_S4_PKS6_SA_S4_SC_S7_SA_S4_SC_SA_PS2_PS6_21rocsparse_index_base_SF_SF_SF_bbb
		.amdhsa_group_segment_fixed_size 8448
		.amdhsa_private_segment_fixed_size 0
		.amdhsa_kernarg_size 164
		.amdhsa_user_sgpr_count 15
		.amdhsa_user_sgpr_dispatch_ptr 0
		.amdhsa_user_sgpr_queue_ptr 0
		.amdhsa_user_sgpr_kernarg_segment_ptr 1
		.amdhsa_user_sgpr_dispatch_id 0
		.amdhsa_user_sgpr_private_segment_size 0
		.amdhsa_wavefront_size32 1
		.amdhsa_uses_dynamic_stack 0
		.amdhsa_enable_private_segment 0
		.amdhsa_system_sgpr_workgroup_id_x 1
		.amdhsa_system_sgpr_workgroup_id_y 0
		.amdhsa_system_sgpr_workgroup_id_z 0
		.amdhsa_system_sgpr_workgroup_info 0
		.amdhsa_system_vgpr_workitem_id 0
		.amdhsa_next_free_vgpr 38
		.amdhsa_next_free_sgpr 48
		.amdhsa_reserve_vcc 1
		.amdhsa_float_round_mode_32 0
		.amdhsa_float_round_mode_16_64 0
		.amdhsa_float_denorm_mode_32 3
		.amdhsa_float_denorm_mode_16_64 3
		.amdhsa_dx10_clamp 1
		.amdhsa_ieee_mode 1
		.amdhsa_fp16_overflow 0
		.amdhsa_workgroup_processor_mode 1
		.amdhsa_memory_ordered 1
		.amdhsa_forward_progress 0
		.amdhsa_shared_vgpr_count 0
		.amdhsa_exception_fp_ieee_invalid_op 0
		.amdhsa_exception_fp_denorm_src 0
		.amdhsa_exception_fp_ieee_div_zero 0
		.amdhsa_exception_fp_ieee_overflow 0
		.amdhsa_exception_fp_ieee_underflow 0
		.amdhsa_exception_fp_ieee_inexact 0
		.amdhsa_exception_int_div_zero 0
	.end_amdhsa_kernel
	.section	.text._ZN9rocsparseL23bsrgemm_fill_wf_per_rowILj256ELj64ELj16ELj137ELj4EiidEEv20rocsparse_direction_T5_S2_S2_PKS2_S4_NS_24const_host_device_scalarIT6_EEPKT4_S4_PKS6_SA_S4_SC_S7_SA_S4_SC_SA_PS2_PS6_21rocsparse_index_base_SF_SF_SF_bbb,"axG",@progbits,_ZN9rocsparseL23bsrgemm_fill_wf_per_rowILj256ELj64ELj16ELj137ELj4EiidEEv20rocsparse_direction_T5_S2_S2_PKS2_S4_NS_24const_host_device_scalarIT6_EEPKT4_S4_PKS6_SA_S4_SC_S7_SA_S4_SC_SA_PS2_PS6_21rocsparse_index_base_SF_SF_SF_bbb,comdat
.Lfunc_end34:
	.size	_ZN9rocsparseL23bsrgemm_fill_wf_per_rowILj256ELj64ELj16ELj137ELj4EiidEEv20rocsparse_direction_T5_S2_S2_PKS2_S4_NS_24const_host_device_scalarIT6_EEPKT4_S4_PKS6_SA_S4_SC_S7_SA_S4_SC_SA_PS2_PS6_21rocsparse_index_base_SF_SF_SF_bbb, .Lfunc_end34-_ZN9rocsparseL23bsrgemm_fill_wf_per_rowILj256ELj64ELj16ELj137ELj4EiidEEv20rocsparse_direction_T5_S2_S2_PKS2_S4_NS_24const_host_device_scalarIT6_EEPKT4_S4_PKS6_SA_S4_SC_S7_SA_S4_SC_SA_PS2_PS6_21rocsparse_index_base_SF_SF_SF_bbb
                                        ; -- End function
	.section	.AMDGPU.csdata,"",@progbits
; Kernel info:
; codeLenInByte = 3124
; NumSgprs: 50
; NumVgprs: 38
; ScratchSize: 0
; MemoryBound: 0
; FloatMode: 240
; IeeeMode: 1
; LDSByteSize: 8448 bytes/workgroup (compile time only)
; SGPRBlocks: 6
; VGPRBlocks: 4
; NumSGPRsForWavesPerEU: 50
; NumVGPRsForWavesPerEU: 38
; Occupancy: 16
; WaveLimiterHint : 1
; COMPUTE_PGM_RSRC2:SCRATCH_EN: 0
; COMPUTE_PGM_RSRC2:USER_SGPR: 15
; COMPUTE_PGM_RSRC2:TRAP_HANDLER: 0
; COMPUTE_PGM_RSRC2:TGID_X_EN: 1
; COMPUTE_PGM_RSRC2:TGID_Y_EN: 0
; COMPUTE_PGM_RSRC2:TGID_Z_EN: 0
; COMPUTE_PGM_RSRC2:TIDIG_COMP_CNT: 0
	.section	.text._ZN9rocsparseL38bsrgemm_block_per_row_atomic_multipassILj256ELj32ELj4EiidEEv20rocsparse_direction_T3_S2_PKS2_S4_NS_24const_host_device_scalarIT4_EEPKT2_S4_PKS6_SA_S4_SC_S7_SA_S4_SC_SA_PS2_PS6_PS8_21rocsparse_index_base_SG_SG_SG_bbb,"axG",@progbits,_ZN9rocsparseL38bsrgemm_block_per_row_atomic_multipassILj256ELj32ELj4EiidEEv20rocsparse_direction_T3_S2_PKS2_S4_NS_24const_host_device_scalarIT4_EEPKT2_S4_PKS6_SA_S4_SC_S7_SA_S4_SC_SA_PS2_PS6_PS8_21rocsparse_index_base_SG_SG_SG_bbb,comdat
	.globl	_ZN9rocsparseL38bsrgemm_block_per_row_atomic_multipassILj256ELj32ELj4EiidEEv20rocsparse_direction_T3_S2_PKS2_S4_NS_24const_host_device_scalarIT4_EEPKT2_S4_PKS6_SA_S4_SC_S7_SA_S4_SC_SA_PS2_PS6_PS8_21rocsparse_index_base_SG_SG_SG_bbb ; -- Begin function _ZN9rocsparseL38bsrgemm_block_per_row_atomic_multipassILj256ELj32ELj4EiidEEv20rocsparse_direction_T3_S2_PKS2_S4_NS_24const_host_device_scalarIT4_EEPKT2_S4_PKS6_SA_S4_SC_S7_SA_S4_SC_SA_PS2_PS6_PS8_21rocsparse_index_base_SG_SG_SG_bbb
	.p2align	8
	.type	_ZN9rocsparseL38bsrgemm_block_per_row_atomic_multipassILj256ELj32ELj4EiidEEv20rocsparse_direction_T3_S2_PKS2_S4_NS_24const_host_device_scalarIT4_EEPKT2_S4_PKS6_SA_S4_SC_S7_SA_S4_SC_SA_PS2_PS6_PS8_21rocsparse_index_base_SG_SG_SG_bbb,@function
_ZN9rocsparseL38bsrgemm_block_per_row_atomic_multipassILj256ELj32ELj4EiidEEv20rocsparse_direction_T3_S2_PKS2_S4_NS_24const_host_device_scalarIT4_EEPKT2_S4_PKS6_SA_S4_SC_S7_SA_S4_SC_SA_PS2_PS6_PS8_21rocsparse_index_base_SG_SG_SG_bbb: ; @_ZN9rocsparseL38bsrgemm_block_per_row_atomic_multipassILj256ELj32ELj4EiidEEv20rocsparse_direction_T3_S2_PKS2_S4_NS_24const_host_device_scalarIT4_EEPKT2_S4_PKS6_SA_S4_SC_S7_SA_S4_SC_SA_PS2_PS6_PS8_21rocsparse_index_base_SG_SG_SG_bbb
; %bb.0:
	s_clause 0x3
	s_load_b32 s5, s[0:1], 0xa8
	s_load_b64 s[6:7], s[0:1], 0x20
	s_load_b128 s[28:31], s[0:1], 0x98
	s_load_b64 s[2:3], s[0:1], 0x58
	s_mov_b32 s4, s15
	s_waitcnt lgkmcnt(0)
	s_and_b32 s9, 1, s5
	s_bitcmp1_b32 s5, 16
	s_cselect_b32 s8, -1, 0
	s_cmp_eq_u32 s9, 1
	s_cselect_b32 s10, -1, 0
	s_delay_alu instid0(SALU_CYCLE_1)
	s_and_b32 s9, s10, exec_lo
	s_cselect_b32 s13, s7, 0
	s_cselect_b32 s12, s6, 0
	s_xor_b32 s9, s10, -1
	v_dual_mov_b32 v1, s12 :: v_dual_mov_b32 v2, s13
	s_or_b32 s9, s9, s8
	s_delay_alu instid0(SALU_CYCLE_1)
	s_and_b32 vcc_lo, exec_lo, s9
	s_cbranch_vccnz .LBB35_2
; %bb.1:
	v_dual_mov_b32 v1, s6 :: v_dual_mov_b32 v2, s7
	flat_load_b64 v[1:2], v[1:2]
.LBB35_2:
	s_load_b64 s[6:7], s[0:1], 0x18
	s_bitcmp1_b32 s5, 8
	s_cselect_b32 s33, -1, 0
	s_delay_alu instid0(SALU_CYCLE_1)
	s_and_b32 s5, s33, exec_lo
	s_cselect_b32 s13, s3, 0
	s_cselect_b32 s12, s2, 0
	s_xor_b32 s5, s33, -1
	v_dual_mov_b32 v3, s12 :: v_dual_mov_b32 v4, s13
	s_or_b32 s5, s5, s8
	s_delay_alu instid0(SALU_CYCLE_1)
	s_and_b32 vcc_lo, exec_lo, s5
	s_cbranch_vccnz .LBB35_4
; %bb.3:
	v_dual_mov_b32 v4, s3 :: v_dual_mov_b32 v3, s2
	flat_load_b64 v[3:4], v[3:4]
.LBB35_4:
	s_load_b64 s[2:3], s[0:1], 0x28
	s_waitcnt lgkmcnt(0)
	s_cmp_eq_u64 s[6:7], 0
	s_cbranch_scc1 .LBB35_6
; %bb.5:
	s_load_b64 s[8:9], s[0:1], 0x10
	s_waitcnt lgkmcnt(0)
	s_load_b32 s5, s[8:9], 0x0
	s_waitcnt lgkmcnt(0)
	s_add_i32 s4, s5, s4
	s_mov_b32 s5, 0
	s_delay_alu instid0(SALU_CYCLE_1) | instskip(NEXT) | instid1(SALU_CYCLE_1)
	s_lshl_b64 s[4:5], s[4:5], 2
	s_add_u32 s4, s6, s4
	s_addc_u32 s5, s7, s5
	s_load_b32 s4, s[4:5], 0x0
.LBB35_6:
	s_mov_b32 s46, 0
	s_and_not1_b32 vcc_lo, exec_lo, s10
	s_mov_b32 s47, 0
	s_cbranch_vccz .LBB35_9
; %bb.7:
	s_and_not1_b32 vcc_lo, exec_lo, s10
	s_cbranch_vccz .LBB35_10
.LBB35_8:
	s_load_b128 s[36:39], s[0:1], 0x0
	s_waitcnt lgkmcnt(0)
	s_cmp_lt_i32 s37, 1
	s_cbranch_scc0 .LBB35_11
	s_branch .LBB35_95
.LBB35_9:
	s_waitcnt lgkmcnt(0)
	s_ashr_i32 s5, s4, 31
	s_delay_alu instid0(SALU_CYCLE_1) | instskip(NEXT) | instid1(SALU_CYCLE_1)
	s_lshl_b64 s[6:7], s[4:5], 2
	s_add_u32 s6, s2, s6
	s_addc_u32 s7, s3, s7
	s_load_b32 s5, s[6:7], 0x0
	s_waitcnt lgkmcnt(0)
	s_sub_i32 s47, s5, s28
	s_and_not1_b32 vcc_lo, exec_lo, s10
	s_cbranch_vccnz .LBB35_8
.LBB35_10:
	s_waitcnt lgkmcnt(0)
	s_ashr_i32 s5, s4, 31
	s_delay_alu instid0(SALU_CYCLE_1) | instskip(NEXT) | instid1(SALU_CYCLE_1)
	s_lshl_b64 s[6:7], s[4:5], 2
	s_add_u32 s2, s2, s6
	s_addc_u32 s3, s3, s7
	s_load_b32 s2, s[2:3], 0x4
	s_waitcnt lgkmcnt(0)
	s_sub_i32 s46, s2, s28
	s_load_b128 s[36:39], s[0:1], 0x0
	s_waitcnt lgkmcnt(0)
	s_cmp_lt_i32 s37, 1
	s_cbranch_scc1 .LBB35_95
.LBB35_11:
	s_clause 0x4
	s_load_b256 s[12:19], s[0:1], 0x60
	s_load_b64 s[34:35], s[0:1], 0x90
	s_load_b128 s[40:43], s[0:1], 0x80
	s_load_b64 s[44:45], s[0:1], 0x50
	s_load_b256 s[20:27], s[0:1], 0x30
	s_ashr_i32 s5, s4, 31
	v_dual_mov_b32 v38, 32 :: v_dual_and_b32 v5, 3, v0
	s_lshl_b64 s[50:51], s[4:5], 2
	v_bfe_u32 v6, v0, 2, 2
	v_lshrrev_b32_e32 v19, 4, v0
	v_and_b32_e32 v8, 31, v0
	v_cmp_gt_u32_e64 s0, 32, v0
	v_cmp_gt_u32_e64 s1, 0x200, v0
	v_max_i32_e32 v9, v5, v6
	v_lshlrev_b32_e32 v11, 7, v19
	v_dual_mov_b32 v35, 0 :: v_dual_lshlrev_b32 v12, 3, v6
	v_cmp_eq_u32_e64 s2, 0, v0
	s_delay_alu instid0(VALU_DEP_4)
	v_cmp_gt_i32_e64 s9, s38, v9
	s_waitcnt lgkmcnt(0)
	s_add_u32 s4, s18, s50
	s_addc_u32 s5, s19, s51
	v_mov_b32_e32 v9, 0
	s_load_b32 s11, s[4:5], 0x0
	v_add_co_u32 v10, s39, v8, -1
	v_lshl_or_b32 v22, v0, 2, 0x1800
	v_subrev_nc_u32_e32 v24, s31, v19
	v_cmp_ne_u32_e64 s4, 0, v8
	v_cmp_lt_u32_e64 s5, 1, v8
	v_cmp_lt_u32_e64 s6, 3, v8
	;; [unrolled: 1-line block ×4, first 2 shown]
	v_lshl_add_u32 v26, v10, 2, 0x1800
	v_or3_b32 v31, v11, v12, 0x1000
	v_lshl_or_b32 v33, v19, 2, 0x1800
	v_dual_mov_b32 v36, 1 :: v_dual_mov_b32 v37, 0
	s_waitcnt lgkmcnt(0)
	s_sub_i32 s11, s11, s30
	s_cmp_lt_i32 s47, s46
	v_dual_mov_b32 v34, s11 :: v_dual_and_b32 v21, 12, v0
	s_cselect_b32 s49, -1, 0
	s_cmp_eq_u32 s36, 0
	s_cselect_b32 vcc_lo, -1, 0
	v_and_b32_e32 v7, 15, v0
	s_cmp_lg_u32 s36, 0
	v_lshlrev_b32_e32 v20, 3, v0
	s_cselect_b32 s36, -1, 0
	s_cmp_gt_i32 s38, 0
	v_cmp_eq_u32_e64 s3, 15, v7
	v_lshlrev_b32_e32 v7, 2, v8
	s_cselect_b32 s48, -1, 0
	s_add_u32 s18, s12, s50
	s_movk_i32 s12, 0x7e0
	v_cndmask_b32_e32 v8, v6, v5, vcc_lo
	v_or_b32_e32 v25, 0x1800, v7
	v_add_nc_u32_e32 v27, 0x17f8, v7
	v_add_nc_u32_e32 v28, 0x17f0, v7
	;; [unrolled: 1-line block ×3, first 2 shown]
	v_dual_cndmask_b32 v7, v5, v6 :: v_dual_add_nc_u32 v30, 0x17c0, v7
	v_or_b32_e32 v23, 0x1000, v20
	v_or_b32_e32 v0, 0xffffff00, v0
	v_and_or_b32 v32, v20, s12, 0x1000
	s_addc_u32 s19, s13, s51
	s_and_b32 s13, s10, s49
	s_add_u32 s49, s24, 4
	s_addc_u32 s50, s25, 0
	s_mul_i32 s51, s38, s38
	s_branch .LBB35_13
.LBB35_12:                              ;   in Loop: Header=BB35_13 Depth=1
	s_set_inst_prefetch_distance 0x2
	s_or_b32 exec_lo, exec_lo, s10
	s_waitcnt_vscnt null, 0x0
	s_barrier
	buffer_gl0_inv
	ds_load_b32 v37, v35 offset:6272
	v_add_nc_u32_e32 v34, v12, v34
	s_waitcnt lgkmcnt(0)
	s_barrier
	buffer_gl0_inv
	v_cmp_le_i32_e32 vcc_lo, s37, v37
	v_add_nc_u32_e32 v38, 32, v37
	s_cbranch_vccnz .LBB35_95
.LBB35_13:                              ; =>This Loop Header: Depth=1
                                        ;     Child Loop BB35_17 Depth 2
                                        ;     Child Loop BB35_23 Depth 2
                                        ;       Child Loop BB35_35 Depth 3
                                        ;         Child Loop BB35_44 Depth 4
                                        ;         Child Loop BB35_49 Depth 4
	;; [unrolled: 1-line block ×3, first 2 shown]
                                        ;     Child Loop BB35_62 Depth 2
                                        ;       Child Loop BB35_67 Depth 3
                                        ;     Child Loop BB35_72 Depth 2
                                        ;     Child Loop BB35_92 Depth 2
	s_and_saveexec_b32 s10, s0
	s_cbranch_execz .LBB35_15
; %bb.14:                               ;   in Loop: Header=BB35_13 Depth=1
	ds_store_b32 v22, v35
.LBB35_15:                              ;   in Loop: Header=BB35_13 Depth=1
	s_or_b32 exec_lo, exec_lo, s10
	s_and_saveexec_b32 s10, s1
	s_cbranch_execz .LBB35_18
; %bb.16:                               ;   in Loop: Header=BB35_13 Depth=1
	v_mov_b32_e32 v11, v20
	v_mov_b32_e32 v12, v0
	s_mov_b32 s11, 0
.LBB35_17:                              ;   Parent Loop BB35_13 Depth=1
                                        ; =>  This Inner Loop Header: Depth=2
	v_mov_b32_e32 v10, v9
	s_delay_alu instid0(VALU_DEP_2) | instskip(NEXT) | instid1(VALU_DEP_1)
	v_add_co_u32 v12, s12, 0x100, v12
	s_xor_b32 s12, s12, -1
	s_delay_alu instid0(SALU_CYCLE_1) | instskip(SKIP_3) | instid1(SALU_CYCLE_1)
	s_and_b32 s12, exec_lo, s12
	ds_store_b64 v11, v[9:10]
	v_add_nc_u32_e32 v11, 0x800, v11
	s_or_b32 s11, s12, s11
	s_and_not1_b32 exec_lo, exec_lo, s11
	s_cbranch_execnz .LBB35_17
.LBB35_18:                              ;   in Loop: Header=BB35_13 Depth=1
	s_or_b32 exec_lo, exec_lo, s10
	s_and_saveexec_b32 s10, s2
	s_cbranch_execz .LBB35_20
; %bb.19:                               ;   in Loop: Header=BB35_13 Depth=1
	v_mov_b32_e32 v10, s37
	ds_store_b32 v35, v10 offset:6272
.LBB35_20:                              ;   in Loop: Header=BB35_13 Depth=1
	s_or_b32 exec_lo, exec_lo, s10
	v_mov_b32_e32 v39, s37
	s_and_not1_b32 vcc_lo, exec_lo, s13
	s_waitcnt vmcnt(0) lgkmcnt(0)
	s_barrier
	buffer_gl0_inv
	s_cbranch_vccnz .LBB35_57
; %bb.21:                               ;   in Loop: Header=BB35_13 Depth=1
	v_cmp_ne_u32_e64 s10, 0, v37
	v_mov_b32_e32 v39, s37
	s_mov_b32 s52, s47
	s_branch .LBB35_23
.LBB35_22:                              ;   in Loop: Header=BB35_23 Depth=2
	s_or_b32 exec_lo, exec_lo, s12
	s_add_i32 s52, s52, 16
	s_delay_alu instid0(SALU_CYCLE_1)
	s_cmp_lt_i32 s52, s46
	s_cbranch_scc0 .LBB35_57
.LBB35_23:                              ;   Parent Loop BB35_13 Depth=1
                                        ; =>  This Loop Header: Depth=2
                                        ;       Child Loop BB35_35 Depth 3
                                        ;         Child Loop BB35_44 Depth 4
                                        ;         Child Loop BB35_49 Depth 4
	;; [unrolled: 1-line block ×3, first 2 shown]
	v_add_nc_u32_e32 v10, s52, v19
	s_waitcnt_vscnt null, 0x0
	s_barrier
	buffer_gl0_inv
	v_cmp_gt_i32_e64 s11, s46, v10
	s_delay_alu instid0(VALU_DEP_1)
	s_and_saveexec_b32 s12, s11
	s_cbranch_execz .LBB35_27
; %bb.24:                               ;   in Loop: Header=BB35_23 Depth=2
	v_mov_b32_e32 v11, 0
	v_mov_b32_e32 v12, 0
	s_and_saveexec_b32 s53, s9
	s_cbranch_execz .LBB35_26
; %bb.25:                               ;   in Loop: Header=BB35_23 Depth=2
	v_mad_u64_u32 v[11:12], null, v10, s38, v[6:7]
	s_delay_alu instid0(VALU_DEP_1) | instskip(NEXT) | instid1(VALU_DEP_1)
	v_mad_u64_u32 v[12:13], null, v11, s38, v[5:6]
	v_ashrrev_i32_e32 v13, 31, v12
	s_delay_alu instid0(VALU_DEP_1) | instskip(NEXT) | instid1(VALU_DEP_1)
	v_lshlrev_b64 v[11:12], 3, v[12:13]
	v_add_co_u32 v11, vcc_lo, s22, v11
	s_delay_alu instid0(VALU_DEP_2)
	v_add_co_ci_u32_e32 v12, vcc_lo, s23, v12, vcc_lo
	global_load_b64 v[11:12], v[11:12], off
.LBB35_26:                              ;   in Loop: Header=BB35_23 Depth=2
	s_or_b32 exec_lo, exec_lo, s53
	s_waitcnt vmcnt(0)
	ds_store_b64 v23, v[11:12]
.LBB35_27:                              ;   in Loop: Header=BB35_23 Depth=2
	s_or_b32 exec_lo, exec_lo, s12
	v_mov_b32_e32 v12, 0
	v_ashrrev_i32_e32 v11, 31, v10
	s_waitcnt lgkmcnt(0)
	s_barrier
	buffer_gl0_inv
	s_and_saveexec_b32 s53, s11
	s_cbranch_execz .LBB35_54
; %bb.28:                               ;   in Loop: Header=BB35_23 Depth=2
	v_lshlrev_b64 v[15:16], 2, v[10:11]
	s_delay_alu instid0(VALU_DEP_1) | instskip(NEXT) | instid1(VALU_DEP_2)
	v_add_co_u32 v12, vcc_lo, s20, v15
	v_add_co_ci_u32_e32 v13, vcc_lo, s21, v16, vcc_lo
	s_and_b32 vcc_lo, exec_lo, s10
	global_load_b32 v12, v[12:13], off
	s_waitcnt vmcnt(0)
	v_subrev_nc_u32_e32 v13, s28, v12
	s_delay_alu instid0(VALU_DEP_1)
	v_ashrrev_i32_e32 v14, 31, v13
	s_cbranch_vccz .LBB35_56
; %bb.29:                               ;   in Loop: Header=BB35_23 Depth=2
	v_add_co_u32 v15, vcc_lo, s34, v15
	v_add_co_ci_u32_e32 v16, vcc_lo, s35, v16, vcc_lo
	global_load_b32 v12, v[15:16], off
	s_cbranch_execnz .LBB35_31
.LBB35_30:                              ;   in Loop: Header=BB35_23 Depth=2
	s_delay_alu instid0(VALU_DEP_1) | instskip(NEXT) | instid1(VALU_DEP_1)
	v_lshlrev_b64 v[15:16], 2, v[13:14]
	v_add_co_u32 v15, vcc_lo, s24, v15
	s_delay_alu instid0(VALU_DEP_2)
	v_add_co_ci_u32_e32 v16, vcc_lo, s25, v16, vcc_lo
	global_load_b32 v12, v[15:16], off
	s_waitcnt vmcnt(0)
	v_subrev_nc_u32_e32 v12, s29, v12
.LBB35_31:                              ;   in Loop: Header=BB35_23 Depth=2
	v_lshlrev_b64 v[13:14], 2, v[13:14]
	s_mov_b32 s54, exec_lo
	s_delay_alu instid0(VALU_DEP_1) | instskip(NEXT) | instid1(VALU_DEP_2)
	v_add_co_u32 v13, vcc_lo, s49, v13
	v_add_co_ci_u32_e32 v14, vcc_lo, s50, v14, vcc_lo
	global_load_b32 v13, v[13:14], off
	s_waitcnt vmcnt(0)
	v_subrev_nc_u32_e32 v40, s29, v13
	s_delay_alu instid0(VALU_DEP_1)
	v_cmpx_lt_i32_e64 v12, v40
	s_cbranch_execz .LBB35_53
; %bb.32:                               ;   in Loop: Header=BB35_23 Depth=2
	v_mad_u64_u32 v[13:14], null, s38, v12, v[5:6]
	v_mad_u64_u32 v[14:15], null, s51, v12, v[5:6]
	v_mov_b32_e32 v42, v12
	s_mov_b32 s55, 0
	s_delay_alu instid0(VALU_DEP_3)
	v_mul_lo_u32 v41, s38, v13
	s_branch .LBB35_35
.LBB35_33:                              ;   in Loop: Header=BB35_35 Depth=3
	s_or_b32 exec_lo, exec_lo, s58
	s_delay_alu instid0(SALU_CYCLE_1)
	s_or_b32 s56, s56, exec_lo
.LBB35_34:                              ;   in Loop: Header=BB35_35 Depth=3
	s_or_b32 exec_lo, exec_lo, s57
	v_add_nc_u32_e32 v12, 1, v12
	s_xor_b32 s12, s56, -1
	v_add_nc_u32_e32 v41, s51, v41
	v_add_nc_u32_e32 v14, s51, v14
	s_delay_alu instid0(VALU_DEP_3) | instskip(SKIP_1) | instid1(SALU_CYCLE_1)
	v_cmp_ge_i32_e32 vcc_lo, v12, v40
	s_or_b32 s12, s12, vcc_lo
	s_and_b32 s12, exec_lo, s12
	s_delay_alu instid0(SALU_CYCLE_1) | instskip(NEXT) | instid1(SALU_CYCLE_1)
	s_or_b32 s55, s12, s55
	s_and_not1_b32 exec_lo, exec_lo, s55
	s_cbranch_execz .LBB35_52
.LBB35_35:                              ;   Parent Loop BB35_13 Depth=1
                                        ;     Parent Loop BB35_23 Depth=2
                                        ; =>    This Loop Header: Depth=3
                                        ;         Child Loop BB35_44 Depth 4
                                        ;         Child Loop BB35_49 Depth 4
	;; [unrolled: 1-line block ×3, first 2 shown]
	v_ashrrev_i32_e32 v13, 31, v12
                                        ; implicit-def: $sgpr56
	s_delay_alu instid0(VALU_DEP_1) | instskip(NEXT) | instid1(VALU_DEP_1)
	v_lshlrev_b64 v[15:16], 2, v[12:13]
	v_add_co_u32 v15, vcc_lo, s26, v15
	s_delay_alu instid0(VALU_DEP_2) | instskip(SKIP_3) | instid1(VALU_DEP_1)
	v_add_co_ci_u32_e32 v16, vcc_lo, s27, v16, vcc_lo
	global_load_b32 v13, v[15:16], off
	s_waitcnt vmcnt(0)
	v_subrev_nc_u32_e32 v13, s29, v13
	v_cmp_lt_i32_e64 s12, v13, v37
	v_cmp_ge_i32_e32 vcc_lo, v13, v38
	s_delay_alu instid0(VALU_DEP_2) | instskip(NEXT) | instid1(SALU_CYCLE_1)
	s_or_b32 s12, s12, vcc_lo
	s_and_saveexec_b32 s57, s12
	s_delay_alu instid0(SALU_CYCLE_1)
	s_xor_b32 s12, exec_lo, s57
	s_cbranch_execz .LBB35_39
; %bb.36:                               ;   in Loop: Header=BB35_35 Depth=3
	s_mov_b32 s56, -1
	s_and_saveexec_b32 s57, vcc_lo
; %bb.37:                               ;   in Loop: Header=BB35_35 Depth=3
	v_min_i32_e32 v39, v13, v39
	v_mov_b32_e32 v42, v12
	s_xor_b32 s56, exec_lo, -1
; %bb.38:                               ;   in Loop: Header=BB35_35 Depth=3
	s_or_b32 exec_lo, exec_lo, s57
	s_delay_alu instid0(SALU_CYCLE_1)
	s_and_b32 s56, s56, exec_lo
                                        ; implicit-def: $vgpr13
.LBB35_39:                              ;   in Loop: Header=BB35_35 Depth=3
	s_and_not1_saveexec_b32 s57, s12
	s_cbranch_execz .LBB35_34
; %bb.40:                               ;   in Loop: Header=BB35_35 Depth=3
	v_sub_nc_u32_e32 v13, v13, v37
	s_delay_alu instid0(VALU_DEP_1)
	v_lshlrev_b32_e32 v15, 2, v13
	ds_store_b32 v15, v36 offset:6144
	s_and_saveexec_b32 s58, s9
	s_cbranch_execz .LBB35_33
; %bb.41:                               ;   in Loop: Header=BB35_35 Depth=3
	v_cndmask_b32_e64 v15, 0, 1, s48
	s_and_not1_b32 vcc_lo, exec_lo, s36
	s_delay_alu instid0(VALU_DEP_1)
	v_cmp_ne_u32_e64 s12, 1, v15
	s_cbranch_vccnz .LBB35_46
; %bb.42:                               ;   in Loop: Header=BB35_35 Depth=3
	v_mov_b32_e32 v15, 0
	v_mov_b32_e32 v16, 0
	s_delay_alu instid0(VALU_DEP_3)
	s_and_b32 vcc_lo, exec_lo, s12
	s_cbranch_vccnz .LBB35_45
; %bb.43:                               ;   in Loop: Header=BB35_35 Depth=3
	v_mov_b32_e32 v17, v41
	v_mov_b32_e32 v43, v31
	s_mov_b32 s12, s38
	.p2align	6
.LBB35_44:                              ;   Parent Loop BB35_13 Depth=1
                                        ;     Parent Loop BB35_23 Depth=2
                                        ;       Parent Loop BB35_35 Depth=3
                                        ; =>      This Inner Loop Header: Depth=4
	s_delay_alu instid0(VALU_DEP_2) | instskip(SKIP_3) | instid1(SALU_CYCLE_1)
	v_ashrrev_i32_e32 v18, 31, v17
	ds_load_b64 v[46:47], v43
	v_add_nc_u32_e32 v43, 32, v43
	s_add_i32 s12, s12, -1
	s_cmp_lg_u32 s12, 0
	v_lshlrev_b64 v[44:45], 3, v[17:18]
	v_add_nc_u32_e32 v17, 1, v17
	s_delay_alu instid0(VALU_DEP_2) | instskip(NEXT) | instid1(VALU_DEP_3)
	v_add_co_u32 v44, vcc_lo, s44, v44
	v_add_co_ci_u32_e32 v45, vcc_lo, s45, v45, vcc_lo
	global_load_b64 v[44:45], v[44:45], off
	s_waitcnt vmcnt(0) lgkmcnt(0)
	v_fma_f64 v[15:16], v[46:47], v[44:45], v[15:16]
	s_cbranch_scc1 .LBB35_44
.LBB35_45:                              ;   in Loop: Header=BB35_35 Depth=3
	s_cbranch_execz .LBB35_47
	s_branch .LBB35_50
.LBB35_46:                              ;   in Loop: Header=BB35_35 Depth=3
                                        ; implicit-def: $vgpr15_vgpr16
.LBB35_47:                              ;   in Loop: Header=BB35_35 Depth=3
	v_mov_b32_e32 v15, 0
	v_mov_b32_e32 v16, 0
	s_and_not1_b32 vcc_lo, exec_lo, s48
	s_cbranch_vccnz .LBB35_50
; %bb.48:                               ;   in Loop: Header=BB35_35 Depth=3
	v_mov_b32_e32 v43, v32
	v_mov_b32_e32 v17, v14
	s_mov_b32 s12, s38
	.p2align	6
.LBB35_49:                              ;   Parent Loop BB35_13 Depth=1
                                        ;     Parent Loop BB35_23 Depth=2
                                        ;       Parent Loop BB35_35 Depth=3
                                        ; =>      This Inner Loop Header: Depth=4
	s_delay_alu instid0(VALU_DEP_1) | instskip(SKIP_3) | instid1(SALU_CYCLE_1)
	v_ashrrev_i32_e32 v18, 31, v17
	ds_load_b64 v[46:47], v43
	v_add_nc_u32_e32 v43, 8, v43
	s_add_i32 s12, s12, -1
	s_cmp_eq_u32 s12, 0
	v_lshlrev_b64 v[44:45], 3, v[17:18]
	v_add_nc_u32_e32 v17, s38, v17
	s_delay_alu instid0(VALU_DEP_2) | instskip(NEXT) | instid1(VALU_DEP_3)
	v_add_co_u32 v44, vcc_lo, s44, v44
	v_add_co_ci_u32_e32 v45, vcc_lo, s45, v45, vcc_lo
	global_load_b64 v[44:45], v[44:45], off
	s_waitcnt vmcnt(0) lgkmcnt(0)
	v_fma_f64 v[15:16], v[46:47], v[44:45], v[15:16]
	s_cbranch_scc0 .LBB35_49
.LBB35_50:                              ;   in Loop: Header=BB35_35 Depth=3
	s_delay_alu instid0(VALU_DEP_1) | instskip(SKIP_2) | instid1(VALU_DEP_1)
	v_mul_f64 v[15:16], v[1:2], v[15:16]
	v_lshlrev_b32_e32 v13, 4, v13
	s_mov_b32 s12, 0
	v_or3_b32 v13, v13, v21, v5
	s_delay_alu instid0(VALU_DEP_1)
	v_lshlrev_b32_e32 v13, 3, v13
	ds_load_b64 v[17:18], v13
.LBB35_51:                              ;   Parent Loop BB35_13 Depth=1
                                        ;     Parent Loop BB35_23 Depth=2
                                        ;       Parent Loop BB35_35 Depth=3
                                        ; =>      This Inner Loop Header: Depth=4
	s_waitcnt lgkmcnt(0)
	v_add_f64 v[43:44], v[17:18], v[15:16]
	ds_cmpstore_rtn_b64 v[43:44], v13, v[43:44], v[17:18]
	s_waitcnt lgkmcnt(0)
	v_cmp_eq_u64_e32 vcc_lo, v[43:44], v[17:18]
	v_dual_mov_b32 v17, v43 :: v_dual_mov_b32 v18, v44
	s_or_b32 s12, vcc_lo, s12
	s_delay_alu instid0(SALU_CYCLE_1)
	s_and_not1_b32 exec_lo, exec_lo, s12
	s_cbranch_execnz .LBB35_51
	s_branch .LBB35_33
.LBB35_52:                              ;   in Loop: Header=BB35_23 Depth=2
	s_or_b32 exec_lo, exec_lo, s55
	v_mov_b32_e32 v12, v42
.LBB35_53:                              ;   in Loop: Header=BB35_23 Depth=2
	s_or_b32 exec_lo, exec_lo, s54
.LBB35_54:                              ;   in Loop: Header=BB35_23 Depth=2
	s_delay_alu instid0(SALU_CYCLE_1)
	s_or_b32 exec_lo, exec_lo, s53
	s_waitcnt lgkmcnt(0)
	s_barrier
	buffer_gl0_inv
	s_and_saveexec_b32 s12, s11
	s_cbranch_execz .LBB35_22
; %bb.55:                               ;   in Loop: Header=BB35_23 Depth=2
	v_lshlrev_b64 v[10:11], 2, v[10:11]
	s_delay_alu instid0(VALU_DEP_1) | instskip(NEXT) | instid1(VALU_DEP_2)
	v_add_co_u32 v10, vcc_lo, s34, v10
	v_add_co_ci_u32_e32 v11, vcc_lo, s35, v11, vcc_lo
	global_store_b32 v[10:11], v12, off
	s_branch .LBB35_22
.LBB35_56:                              ;   in Loop: Header=BB35_23 Depth=2
                                        ; implicit-def: $vgpr12
	s_branch .LBB35_30
.LBB35_57:                              ;   in Loop: Header=BB35_13 Depth=1
	s_and_not1_b32 vcc_lo, exec_lo, s33
	s_cbranch_vccnz .LBB35_70
; %bb.58:                               ;   in Loop: Header=BB35_13 Depth=1
	s_load_b64 s[10:11], s[18:19], 0x0
	s_mov_b32 s12, exec_lo
	s_waitcnt lgkmcnt(0)
	v_add_nc_u32_e32 v10, s10, v24
	s_sub_i32 s52, s11, s31
	s_delay_alu instid0(VALU_DEP_1) | instid1(SALU_CYCLE_1)
	v_cmpx_gt_i32_e64 s52, v10
	s_cbranch_execz .LBB35_69
; %bb.59:                               ;   in Loop: Header=BB35_13 Depth=1
	s_mov_b32 s53, 0
	s_branch .LBB35_62
.LBB35_60:                              ;   in Loop: Header=BB35_62 Depth=2
	s_or_b32 exec_lo, exec_lo, s54
	s_delay_alu instid0(SALU_CYCLE_1)
	s_or_b32 s10, s10, exec_lo
.LBB35_61:                              ;   in Loop: Header=BB35_62 Depth=2
	s_or_b32 exec_lo, exec_lo, s11
	v_add_nc_u32_e32 v10, 16, v10
	s_xor_b32 s10, s10, -1
	s_delay_alu instid0(VALU_DEP_1) | instskip(SKIP_1) | instid1(SALU_CYCLE_1)
	v_cmp_le_i32_e32 vcc_lo, s52, v10
	s_or_b32 s10, vcc_lo, s10
	s_and_b32 s10, exec_lo, s10
	s_delay_alu instid0(SALU_CYCLE_1) | instskip(NEXT) | instid1(SALU_CYCLE_1)
	s_or_b32 s53, s10, s53
	s_and_not1_b32 exec_lo, exec_lo, s53
	s_cbranch_execz .LBB35_68
.LBB35_62:                              ;   Parent Loop BB35_13 Depth=1
                                        ; =>  This Loop Header: Depth=2
                                        ;       Child Loop BB35_67 Depth 3
	v_ashrrev_i32_e32 v11, 31, v10
	s_delay_alu instid0(VALU_DEP_1) | instskip(NEXT) | instid1(VALU_DEP_1)
	v_lshlrev_b64 v[11:12], 2, v[10:11]
	v_add_co_u32 v11, vcc_lo, s14, v11
	s_delay_alu instid0(VALU_DEP_2) | instskip(SKIP_3) | instid1(VALU_DEP_1)
	v_add_co_ci_u32_e32 v12, vcc_lo, s15, v12, vcc_lo
	global_load_b32 v11, v[11:12], off
	s_waitcnt vmcnt(0)
	v_subrev_nc_u32_e32 v11, s31, v11
	v_cmp_lt_i32_e64 s10, v11, v37
	v_cmp_ge_i32_e64 s11, v11, v38
	v_cmp_lt_i32_e32 vcc_lo, v11, v38
	s_delay_alu instid0(VALU_DEP_2) | instskip(NEXT) | instid1(SALU_CYCLE_1)
	s_or_b32 s11, s10, s11
                                        ; implicit-def: $sgpr10
	s_and_saveexec_b32 s54, s11
	s_delay_alu instid0(SALU_CYCLE_1)
	s_xor_b32 s11, exec_lo, s54
; %bb.63:                               ;   in Loop: Header=BB35_62 Depth=2
	v_min_i32_e32 v11, v11, v39
	s_and_b32 s10, vcc_lo, exec_lo
	s_delay_alu instid0(VALU_DEP_1)
	v_cndmask_b32_e32 v39, v11, v39, vcc_lo
                                        ; implicit-def: $vgpr11
; %bb.64:                               ;   in Loop: Header=BB35_62 Depth=2
	s_and_not1_saveexec_b32 s11, s11
	s_cbranch_execz .LBB35_61
; %bb.65:                               ;   in Loop: Header=BB35_62 Depth=2
	v_sub_nc_u32_e32 v13, v11, v37
	s_delay_alu instid0(VALU_DEP_1)
	v_lshlrev_b32_e32 v11, 2, v13
	ds_store_b32 v11, v36 offset:6144
	s_and_saveexec_b32 s54, s9
	s_cbranch_execz .LBB35_60
; %bb.66:                               ;   in Loop: Header=BB35_62 Depth=2
	v_mad_u64_u32 v[11:12], null, v10, s38, v[7:8]
	v_lshlrev_b32_e32 v13, 4, v13
	s_mov_b32 s55, 0
	s_delay_alu instid0(VALU_DEP_1) | instskip(NEXT) | instid1(VALU_DEP_3)
	v_or3_b32 v13, v13, v21, v5
	v_mad_u64_u32 v[14:15], null, v11, s38, v[8:9]
	s_delay_alu instid0(VALU_DEP_1) | instskip(NEXT) | instid1(VALU_DEP_1)
	v_ashrrev_i32_e32 v15, 31, v14
	v_lshlrev_b64 v[11:12], 3, v[14:15]
	s_delay_alu instid0(VALU_DEP_4)
	v_lshlrev_b32_e32 v15, 3, v13
	ds_load_b64 v[13:14], v15
	v_add_co_u32 v11, vcc_lo, s16, v11
	v_add_co_ci_u32_e32 v12, vcc_lo, s17, v12, vcc_lo
	global_load_b64 v[11:12], v[11:12], off
	s_waitcnt vmcnt(0)
	v_mul_f64 v[11:12], v[3:4], v[11:12]
.LBB35_67:                              ;   Parent Loop BB35_13 Depth=1
                                        ;     Parent Loop BB35_62 Depth=2
                                        ; =>    This Inner Loop Header: Depth=3
	s_waitcnt lgkmcnt(0)
	s_delay_alu instid0(VALU_DEP_1)
	v_add_f64 v[16:17], v[13:14], v[11:12]
	ds_cmpstore_rtn_b64 v[16:17], v15, v[16:17], v[13:14]
	s_waitcnt lgkmcnt(0)
	v_cmp_eq_u64_e32 vcc_lo, v[16:17], v[13:14]
	v_dual_mov_b32 v13, v16 :: v_dual_mov_b32 v14, v17
	s_or_b32 s55, vcc_lo, s55
	s_delay_alu instid0(SALU_CYCLE_1)
	s_and_not1_b32 exec_lo, exec_lo, s55
	s_cbranch_execnz .LBB35_67
	s_branch .LBB35_60
.LBB35_68:                              ;   in Loop: Header=BB35_13 Depth=1
	s_or_b32 exec_lo, exec_lo, s53
.LBB35_69:                              ;   in Loop: Header=BB35_13 Depth=1
	s_delay_alu instid0(SALU_CYCLE_1)
	s_or_b32 exec_lo, exec_lo, s12
.LBB35_70:                              ;   in Loop: Header=BB35_13 Depth=1
	s_and_saveexec_b32 s10, s3
	s_cbranch_execz .LBB35_75
; %bb.71:                               ;   in Loop: Header=BB35_13 Depth=1
	s_mov_b32 s12, exec_lo
	s_brev_b32 s11, -2
.LBB35_72:                              ;   Parent Loop BB35_13 Depth=1
                                        ; =>  This Inner Loop Header: Depth=2
	s_ctz_i32_b32 s52, s12
	s_delay_alu instid0(SALU_CYCLE_1) | instskip(SKIP_1) | instid1(SALU_CYCLE_1)
	v_readlane_b32 s53, v39, s52
	s_lshl_b32 s52, 1, s52
	s_and_not1_b32 s12, s12, s52
	s_delay_alu instid0(VALU_DEP_1)
	s_min_i32 s11, s11, s53
	s_cmp_lg_u32 s12, 0
	s_cbranch_scc1 .LBB35_72
; %bb.73:                               ;   in Loop: Header=BB35_13 Depth=1
	v_mbcnt_lo_u32_b32 v10, exec_lo, 0
	s_mov_b32 s12, exec_lo
	s_delay_alu instid0(VALU_DEP_1)
	v_cmpx_eq_u32_e32 0, v10
	s_xor_b32 s12, exec_lo, s12
	s_cbranch_execz .LBB35_75
; %bb.74:                               ;   in Loop: Header=BB35_13 Depth=1
	v_mov_b32_e32 v10, s11
	ds_min_i32 v35, v10 offset:6272
.LBB35_75:                              ;   in Loop: Header=BB35_13 Depth=1
	s_or_b32 exec_lo, exec_lo, s10
	s_waitcnt lgkmcnt(0)
	s_waitcnt_vscnt null, 0x0
	s_barrier
	buffer_gl0_inv
	ds_load_b32 v10, v25
	s_waitcnt lgkmcnt(0)
	s_barrier
	buffer_gl0_inv
	s_and_saveexec_b32 s10, s4
	s_cbranch_execz .LBB35_77
; %bb.76:                               ;   in Loop: Header=BB35_13 Depth=1
	ds_load_b32 v11, v26
	s_waitcnt lgkmcnt(0)
	v_add_nc_u32_e32 v10, v11, v10
.LBB35_77:                              ;   in Loop: Header=BB35_13 Depth=1
	s_or_b32 exec_lo, exec_lo, s10
	s_barrier
	buffer_gl0_inv
	ds_store_b32 v25, v10
	s_waitcnt lgkmcnt(0)
	s_barrier
	buffer_gl0_inv
	s_and_saveexec_b32 s10, s5
	s_cbranch_execz .LBB35_79
; %bb.78:                               ;   in Loop: Header=BB35_13 Depth=1
	ds_load_b32 v11, v27
	s_waitcnt lgkmcnt(0)
	v_add_nc_u32_e32 v10, v11, v10
.LBB35_79:                              ;   in Loop: Header=BB35_13 Depth=1
	s_or_b32 exec_lo, exec_lo, s10
	s_barrier
	buffer_gl0_inv
	ds_store_b32 v25, v10
	;; [unrolled: 14-line block ×5, first 2 shown]
	s_waitcnt lgkmcnt(0)
	s_barrier
	buffer_gl0_inv
	ds_load_b32 v12, v35 offset:6268
	v_mov_b32_e32 v11, 0
	s_and_saveexec_b32 s10, s39
	s_cbranch_execz .LBB35_87
; %bb.86:                               ;   in Loop: Header=BB35_13 Depth=1
	ds_load_b32 v11, v26
.LBB35_87:                              ;   in Loop: Header=BB35_13 Depth=1
	s_or_b32 exec_lo, exec_lo, s10
	s_waitcnt lgkmcnt(0)
	v_cmp_eq_u32_e32 vcc_lo, v10, v11
	s_barrier
	buffer_gl0_inv
	s_and_b32 s11, s39, vcc_lo
	s_delay_alu instid0(SALU_CYCLE_1)
	s_and_saveexec_b32 s10, s11
	s_cbranch_execz .LBB35_89
; %bb.88:                               ;   in Loop: Header=BB35_13 Depth=1
	ds_store_b32 v25, v35
.LBB35_89:                              ;   in Loop: Header=BB35_13 Depth=1
	s_or_b32 exec_lo, exec_lo, s10
	s_waitcnt lgkmcnt(0)
	s_barrier
	buffer_gl0_inv
	s_and_saveexec_b32 s10, s1
	s_cbranch_execz .LBB35_12
; %bb.90:                               ;   in Loop: Header=BB35_13 Depth=1
	v_dual_mov_b32 v16, v20 :: v_dual_add_nc_u32 v13, -1, v34
	v_dual_mov_b32 v15, v33 :: v_dual_add_nc_u32 v14, s30, v37
	v_mov_b32_e32 v17, v19
	s_mov_b32 s11, 0
	s_set_inst_prefetch_distance 0x1
	s_branch .LBB35_92
	.p2align	6
.LBB35_91:                              ;   in Loop: Header=BB35_92 Depth=2
	s_or_b32 exec_lo, exec_lo, s12
	v_add_nc_u32_e32 v10, 16, v17
	v_cmp_lt_u32_e32 vcc_lo, 15, v17
	v_add_nc_u32_e32 v16, 0x800, v16
	v_add_nc_u32_e32 v15, 64, v15
	s_delay_alu instid0(VALU_DEP_4) | instskip(SKIP_1) | instid1(SALU_CYCLE_1)
	v_mov_b32_e32 v17, v10
	s_or_b32 s11, vcc_lo, s11
	s_and_not1_b32 exec_lo, exec_lo, s11
	s_cbranch_execz .LBB35_12
.LBB35_92:                              ;   Parent Loop BB35_13 Depth=1
                                        ; =>  This Inner Loop Header: Depth=2
	ds_load_b32 v10, v15
	s_mov_b32 s12, exec_lo
	s_waitcnt lgkmcnt(0)
	v_cmpx_ne_u32_e32 0, v10
	s_cbranch_execz .LBB35_91
; %bb.93:                               ;   in Loop: Header=BB35_92 Depth=2
	v_add_nc_u32_e32 v10, v13, v10
	s_delay_alu instid0(VALU_DEP_1) | instskip(NEXT) | instid1(VALU_DEP_1)
	v_ashrrev_i32_e32 v11, 31, v10
	v_lshlrev_b64 v[37:38], 2, v[10:11]
	v_add_nc_u32_e32 v11, v14, v17
	s_delay_alu instid0(VALU_DEP_2) | instskip(NEXT) | instid1(VALU_DEP_3)
	v_add_co_u32 v37, vcc_lo, s40, v37
	v_add_co_ci_u32_e32 v38, vcc_lo, s41, v38, vcc_lo
	global_store_b32 v[37:38], v11, off
	s_and_b32 exec_lo, exec_lo, s9
	s_cbranch_execz .LBB35_91
; %bb.94:                               ;   in Loop: Header=BB35_92 Depth=2
	v_mad_u64_u32 v[37:38], null, v10, s38, v[7:8]
	s_delay_alu instid0(VALU_DEP_1) | instskip(SKIP_2) | instid1(VALU_DEP_1)
	v_mad_u64_u32 v[10:11], null, v37, s38, v[8:9]
	ds_load_b64 v[37:38], v16
	v_ashrrev_i32_e32 v11, 31, v10
	v_lshlrev_b64 v[10:11], 3, v[10:11]
	s_delay_alu instid0(VALU_DEP_1) | instskip(NEXT) | instid1(VALU_DEP_2)
	v_add_co_u32 v10, vcc_lo, s42, v10
	v_add_co_ci_u32_e32 v11, vcc_lo, s43, v11, vcc_lo
	s_waitcnt lgkmcnt(0)
	global_store_b64 v[10:11], v[37:38], off
	s_branch .LBB35_91
.LBB35_95:
	s_endpgm
	.section	.rodata,"a",@progbits
	.p2align	6, 0x0
	.amdhsa_kernel _ZN9rocsparseL38bsrgemm_block_per_row_atomic_multipassILj256ELj32ELj4EiidEEv20rocsparse_direction_T3_S2_PKS2_S4_NS_24const_host_device_scalarIT4_EEPKT2_S4_PKS6_SA_S4_SC_S7_SA_S4_SC_SA_PS2_PS6_PS8_21rocsparse_index_base_SG_SG_SG_bbb
		.amdhsa_group_segment_fixed_size 6280
		.amdhsa_private_segment_fixed_size 0
		.amdhsa_kernarg_size 172
		.amdhsa_user_sgpr_count 15
		.amdhsa_user_sgpr_dispatch_ptr 0
		.amdhsa_user_sgpr_queue_ptr 0
		.amdhsa_user_sgpr_kernarg_segment_ptr 1
		.amdhsa_user_sgpr_dispatch_id 0
		.amdhsa_user_sgpr_private_segment_size 0
		.amdhsa_wavefront_size32 1
		.amdhsa_uses_dynamic_stack 0
		.amdhsa_enable_private_segment 0
		.amdhsa_system_sgpr_workgroup_id_x 1
		.amdhsa_system_sgpr_workgroup_id_y 0
		.amdhsa_system_sgpr_workgroup_id_z 0
		.amdhsa_system_sgpr_workgroup_info 0
		.amdhsa_system_vgpr_workitem_id 0
		.amdhsa_next_free_vgpr 48
		.amdhsa_next_free_sgpr 59
		.amdhsa_reserve_vcc 1
		.amdhsa_float_round_mode_32 0
		.amdhsa_float_round_mode_16_64 0
		.amdhsa_float_denorm_mode_32 3
		.amdhsa_float_denorm_mode_16_64 3
		.amdhsa_dx10_clamp 1
		.amdhsa_ieee_mode 1
		.amdhsa_fp16_overflow 0
		.amdhsa_workgroup_processor_mode 1
		.amdhsa_memory_ordered 1
		.amdhsa_forward_progress 0
		.amdhsa_shared_vgpr_count 0
		.amdhsa_exception_fp_ieee_invalid_op 0
		.amdhsa_exception_fp_denorm_src 0
		.amdhsa_exception_fp_ieee_div_zero 0
		.amdhsa_exception_fp_ieee_overflow 0
		.amdhsa_exception_fp_ieee_underflow 0
		.amdhsa_exception_fp_ieee_inexact 0
		.amdhsa_exception_int_div_zero 0
	.end_amdhsa_kernel
	.section	.text._ZN9rocsparseL38bsrgemm_block_per_row_atomic_multipassILj256ELj32ELj4EiidEEv20rocsparse_direction_T3_S2_PKS2_S4_NS_24const_host_device_scalarIT4_EEPKT2_S4_PKS6_SA_S4_SC_S7_SA_S4_SC_SA_PS2_PS6_PS8_21rocsparse_index_base_SG_SG_SG_bbb,"axG",@progbits,_ZN9rocsparseL38bsrgemm_block_per_row_atomic_multipassILj256ELj32ELj4EiidEEv20rocsparse_direction_T3_S2_PKS2_S4_NS_24const_host_device_scalarIT4_EEPKT2_S4_PKS6_SA_S4_SC_S7_SA_S4_SC_SA_PS2_PS6_PS8_21rocsparse_index_base_SG_SG_SG_bbb,comdat
.Lfunc_end35:
	.size	_ZN9rocsparseL38bsrgemm_block_per_row_atomic_multipassILj256ELj32ELj4EiidEEv20rocsparse_direction_T3_S2_PKS2_S4_NS_24const_host_device_scalarIT4_EEPKT2_S4_PKS6_SA_S4_SC_S7_SA_S4_SC_SA_PS2_PS6_PS8_21rocsparse_index_base_SG_SG_SG_bbb, .Lfunc_end35-_ZN9rocsparseL38bsrgemm_block_per_row_atomic_multipassILj256ELj32ELj4EiidEEv20rocsparse_direction_T3_S2_PKS2_S4_NS_24const_host_device_scalarIT4_EEPKT2_S4_PKS6_SA_S4_SC_S7_SA_S4_SC_SA_PS2_PS6_PS8_21rocsparse_index_base_SG_SG_SG_bbb
                                        ; -- End function
	.section	.AMDGPU.csdata,"",@progbits
; Kernel info:
; codeLenInByte = 3404
; NumSgprs: 61
; NumVgprs: 48
; ScratchSize: 0
; MemoryBound: 0
; FloatMode: 240
; IeeeMode: 1
; LDSByteSize: 6280 bytes/workgroup (compile time only)
; SGPRBlocks: 7
; VGPRBlocks: 5
; NumSGPRsForWavesPerEU: 61
; NumVGPRsForWavesPerEU: 48
; Occupancy: 16
; WaveLimiterHint : 1
; COMPUTE_PGM_RSRC2:SCRATCH_EN: 0
; COMPUTE_PGM_RSRC2:USER_SGPR: 15
; COMPUTE_PGM_RSRC2:TRAP_HANDLER: 0
; COMPUTE_PGM_RSRC2:TGID_X_EN: 1
; COMPUTE_PGM_RSRC2:TGID_Y_EN: 0
; COMPUTE_PGM_RSRC2:TGID_Z_EN: 0
; COMPUTE_PGM_RSRC2:TIDIG_COMP_CNT: 0
	.section	.text._ZN9rocsparseL38bsrgemm_block_per_row_atomic_multipassILj256ELj64ELj4EiidEEv20rocsparse_direction_T3_S2_PKS2_S4_NS_24const_host_device_scalarIT4_EEPKT2_S4_PKS6_SA_S4_SC_S7_SA_S4_SC_SA_PS2_PS6_PS8_21rocsparse_index_base_SG_SG_SG_bbb,"axG",@progbits,_ZN9rocsparseL38bsrgemm_block_per_row_atomic_multipassILj256ELj64ELj4EiidEEv20rocsparse_direction_T3_S2_PKS2_S4_NS_24const_host_device_scalarIT4_EEPKT2_S4_PKS6_SA_S4_SC_S7_SA_S4_SC_SA_PS2_PS6_PS8_21rocsparse_index_base_SG_SG_SG_bbb,comdat
	.globl	_ZN9rocsparseL38bsrgemm_block_per_row_atomic_multipassILj256ELj64ELj4EiidEEv20rocsparse_direction_T3_S2_PKS2_S4_NS_24const_host_device_scalarIT4_EEPKT2_S4_PKS6_SA_S4_SC_S7_SA_S4_SC_SA_PS2_PS6_PS8_21rocsparse_index_base_SG_SG_SG_bbb ; -- Begin function _ZN9rocsparseL38bsrgemm_block_per_row_atomic_multipassILj256ELj64ELj4EiidEEv20rocsparse_direction_T3_S2_PKS2_S4_NS_24const_host_device_scalarIT4_EEPKT2_S4_PKS6_SA_S4_SC_S7_SA_S4_SC_SA_PS2_PS6_PS8_21rocsparse_index_base_SG_SG_SG_bbb
	.p2align	8
	.type	_ZN9rocsparseL38bsrgemm_block_per_row_atomic_multipassILj256ELj64ELj4EiidEEv20rocsparse_direction_T3_S2_PKS2_S4_NS_24const_host_device_scalarIT4_EEPKT2_S4_PKS6_SA_S4_SC_S7_SA_S4_SC_SA_PS2_PS6_PS8_21rocsparse_index_base_SG_SG_SG_bbb,@function
_ZN9rocsparseL38bsrgemm_block_per_row_atomic_multipassILj256ELj64ELj4EiidEEv20rocsparse_direction_T3_S2_PKS2_S4_NS_24const_host_device_scalarIT4_EEPKT2_S4_PKS6_SA_S4_SC_S7_SA_S4_SC_SA_PS2_PS6_PS8_21rocsparse_index_base_SG_SG_SG_bbb: ; @_ZN9rocsparseL38bsrgemm_block_per_row_atomic_multipassILj256ELj64ELj4EiidEEv20rocsparse_direction_T3_S2_PKS2_S4_NS_24const_host_device_scalarIT4_EEPKT2_S4_PKS6_SA_S4_SC_S7_SA_S4_SC_SA_PS2_PS6_PS8_21rocsparse_index_base_SG_SG_SG_bbb
; %bb.0:
	s_clause 0x3
	s_load_b32 s3, s[0:1], 0xa8
	s_load_b64 s[6:7], s[0:1], 0x20
	s_load_b128 s[28:31], s[0:1], 0x98
	s_load_b64 s[4:5], s[0:1], 0x58
	s_mov_b32 s2, s15
	s_waitcnt lgkmcnt(0)
	s_and_b32 s9, 1, s3
	s_bitcmp1_b32 s3, 16
	s_cselect_b32 s8, -1, 0
	s_cmp_eq_u32 s9, 1
	s_cselect_b32 s10, -1, 0
	s_delay_alu instid0(SALU_CYCLE_1)
	s_and_b32 s9, s10, exec_lo
	s_cselect_b32 s13, s7, 0
	s_cselect_b32 s12, s6, 0
	s_xor_b32 s9, s10, -1
	v_dual_mov_b32 v1, s12 :: v_dual_mov_b32 v2, s13
	s_or_b32 s9, s9, s8
	s_delay_alu instid0(SALU_CYCLE_1)
	s_and_b32 vcc_lo, exec_lo, s9
	s_cbranch_vccnz .LBB36_2
; %bb.1:
	v_dual_mov_b32 v1, s6 :: v_dual_mov_b32 v2, s7
	flat_load_b64 v[1:2], v[1:2]
.LBB36_2:
	s_load_b64 s[6:7], s[0:1], 0x18
	s_bitcmp1_b32 s3, 8
	s_cselect_b32 s33, -1, 0
	s_delay_alu instid0(SALU_CYCLE_1)
	s_and_b32 s3, s33, exec_lo
	s_cselect_b32 s13, s5, 0
	s_cselect_b32 s12, s4, 0
	s_xor_b32 s3, s33, -1
	v_dual_mov_b32 v3, s12 :: v_dual_mov_b32 v4, s13
	s_or_b32 s3, s3, s8
	s_delay_alu instid0(SALU_CYCLE_1)
	s_and_b32 vcc_lo, exec_lo, s3
	s_cbranch_vccnz .LBB36_4
; %bb.3:
	v_dual_mov_b32 v3, s4 :: v_dual_mov_b32 v4, s5
	flat_load_b64 v[3:4], v[3:4]
.LBB36_4:
	s_load_b64 s[4:5], s[0:1], 0x28
	s_waitcnt lgkmcnt(0)
	s_cmp_eq_u64 s[6:7], 0
	s_cbranch_scc1 .LBB36_6
; %bb.5:
	s_load_b64 s[8:9], s[0:1], 0x10
	s_waitcnt lgkmcnt(0)
	s_load_b32 s3, s[8:9], 0x0
	s_waitcnt lgkmcnt(0)
	s_add_i32 s2, s3, s2
	s_mov_b32 s3, 0
	s_delay_alu instid0(SALU_CYCLE_1) | instskip(NEXT) | instid1(SALU_CYCLE_1)
	s_lshl_b64 s[2:3], s[2:3], 2
	s_add_u32 s2, s6, s2
	s_addc_u32 s3, s7, s3
	s_load_b32 s2, s[2:3], 0x0
.LBB36_6:
	s_mov_b32 s46, 0
	s_and_not1_b32 vcc_lo, exec_lo, s10
	s_mov_b32 s47, 0
	s_cbranch_vccz .LBB36_9
; %bb.7:
	s_and_not1_b32 vcc_lo, exec_lo, s10
	s_cbranch_vccz .LBB36_10
.LBB36_8:
	s_load_b128 s[36:39], s[0:1], 0x0
	s_waitcnt lgkmcnt(0)
	s_cmp_lt_i32 s37, 1
	s_cbranch_scc0 .LBB36_11
	s_branch .LBB36_95
.LBB36_9:
	s_waitcnt lgkmcnt(0)
	s_ashr_i32 s3, s2, 31
	s_delay_alu instid0(SALU_CYCLE_1) | instskip(NEXT) | instid1(SALU_CYCLE_1)
	s_lshl_b64 s[6:7], s[2:3], 2
	s_add_u32 s6, s4, s6
	s_addc_u32 s7, s5, s7
	s_load_b32 s3, s[6:7], 0x0
	s_waitcnt lgkmcnt(0)
	s_sub_i32 s47, s3, s28
	s_and_not1_b32 vcc_lo, exec_lo, s10
	s_cbranch_vccnz .LBB36_8
.LBB36_10:
	s_waitcnt lgkmcnt(0)
	s_ashr_i32 s3, s2, 31
	s_delay_alu instid0(SALU_CYCLE_1) | instskip(NEXT) | instid1(SALU_CYCLE_1)
	s_lshl_b64 s[6:7], s[2:3], 2
	s_add_u32 s4, s4, s6
	s_addc_u32 s5, s5, s7
	s_load_b32 s3, s[4:5], 0x4
	s_waitcnt lgkmcnt(0)
	s_sub_i32 s46, s3, s28
	s_load_b128 s[36:39], s[0:1], 0x0
	s_waitcnt lgkmcnt(0)
	s_cmp_lt_i32 s37, 1
	s_cbranch_scc1 .LBB36_95
.LBB36_11:
	s_clause 0x4
	s_load_b256 s[12:19], s[0:1], 0x60
	s_load_b64 s[34:35], s[0:1], 0x90
	s_load_b128 s[40:43], s[0:1], 0x80
	s_load_b64 s[44:45], s[0:1], 0x50
	s_load_b256 s[20:27], s[0:1], 0x30
	s_ashr_i32 s3, s2, 31
	v_bfe_u32 v6, v0, 2, 2
	s_lshl_b64 s[50:51], s[2:3], 2
	v_lshrrev_b32_e32 v20, 4, v0
	v_and_b32_e32 v8, 63, v0
	v_cmp_gt_u32_e64 s0, 64, v0
	v_dual_mov_b32 v39, 64 :: v_dual_lshlrev_b32 v12, 3, v6
	s_delay_alu instid0(VALU_DEP_4)
	v_lshlrev_b32_e32 v11, 7, v20
	v_cmp_eq_u32_e64 s1, 0, v0
	v_lshl_or_b32 v23, v0, 2, 0x2800
	v_subrev_nc_u32_e32 v25, s31, v20
	v_lshl_or_b32 v35, v20, 2, 0x2800
	v_or3_b32 v33, v11, v12, 0x2000
	v_mov_b32_e32 v37, 1
	s_waitcnt lgkmcnt(0)
	s_add_u32 s2, s18, s50
	s_addc_u32 s3, s19, s51
	s_load_b32 s11, s[2:3], 0x0
	s_waitcnt lgkmcnt(0)
	s_sub_i32 s11, s11, s30
	s_delay_alu instid0(SALU_CYCLE_1) | instskip(SKIP_3) | instid1(VALU_DEP_1)
	v_dual_mov_b32 v36, s11 :: v_dual_and_b32 v5, 3, v0
	s_cmp_lt_i32 s47, s46
	s_cselect_b32 s49, -1, 0
	s_cmp_eq_u32 s36, 0
	v_max_i32_e32 v9, v5, v6
	s_cselect_b32 vcc_lo, -1, 0
	v_and_b32_e32 v7, 15, v0
	s_cmp_lg_u32 s36, 0
	v_and_b32_e32 v22, 12, v0
	v_cmp_gt_i32_e64 s9, s38, v9
	v_mov_b32_e32 v9, 0
	v_lshlrev_b32_e32 v21, 3, v0
	v_cmp_eq_u32_e64 s2, 15, v7
	v_lshlrev_b32_e32 v7, 2, v8
	v_add_co_u32 v10, s39, v8, -1
	v_mov_b32_e32 v38, v9
	s_cselect_b32 s36, -1, 0
	s_cmp_gt_i32 s38, 0
	v_cmp_ne_u32_e64 s3, 0, v8
	s_cselect_b32 s48, -1, 0
	s_add_u32 s18, s12, s50
	s_movk_i32 s12, 0x7e0
	v_cmp_lt_u32_e64 s4, 1, v8
	v_cmp_lt_u32_e64 s5, 3, v8
	v_cmp_lt_u32_e64 s6, 7, v8
	v_cmp_lt_u32_e64 s7, 15, v8
	v_cmp_lt_u32_e64 s8, 31, v8
	v_or_b32_e32 v26, 0x2800, v7
	v_lshl_add_u32 v27, v10, 2, 0x2800
	v_add_nc_u32_e32 v28, 0x27f8, v7
	v_add_nc_u32_e32 v29, 0x27f0, v7
	;; [unrolled: 1-line block ×4, first 2 shown]
	v_dual_cndmask_b32 v7, v5, v6 :: v_dual_add_nc_u32 v32, 0x2780, v7
	v_cndmask_b32_e32 v8, v6, v5, vcc_lo
	v_or_b32_e32 v0, 0xffffff00, v0
	v_mov_b32_e32 v10, v9
	v_or_b32_e32 v24, 0x2000, v21
	v_and_or_b32 v34, v21, s12, 0x2000
	s_addc_u32 s19, s13, s51
	s_and_b32 s13, s10, s49
	s_add_u32 s49, s24, 4
	s_addc_u32 s50, s25, 0
	s_mul_i32 s51, s38, s38
	s_branch .LBB36_13
.LBB36_12:                              ;   in Loop: Header=BB36_13 Depth=1
	s_set_inst_prefetch_distance 0x2
	s_or_b32 exec_lo, exec_lo, s10
	s_waitcnt_vscnt null, 0x0
	s_barrier
	buffer_gl0_inv
	ds_load_b32 v38, v9 offset:10496
	v_add_nc_u32_e32 v36, v13, v36
	s_waitcnt lgkmcnt(0)
	s_barrier
	buffer_gl0_inv
	v_cmp_le_i32_e32 vcc_lo, s37, v38
	v_add_nc_u32_e32 v39, 64, v38
	s_cbranch_vccnz .LBB36_95
.LBB36_13:                              ; =>This Loop Header: Depth=1
                                        ;     Child Loop BB36_16 Depth 2
                                        ;     Child Loop BB36_22 Depth 2
                                        ;       Child Loop BB36_34 Depth 3
                                        ;         Child Loop BB36_43 Depth 4
                                        ;         Child Loop BB36_48 Depth 4
	;; [unrolled: 1-line block ×3, first 2 shown]
                                        ;     Child Loop BB36_61 Depth 2
                                        ;       Child Loop BB36_66 Depth 3
                                        ;     Child Loop BB36_71 Depth 2
                                        ;     Child Loop BB36_92 Depth 2
	s_and_saveexec_b32 s10, s0
	s_cbranch_execz .LBB36_15
; %bb.14:                               ;   in Loop: Header=BB36_13 Depth=1
	ds_store_b32 v23, v9
.LBB36_15:                              ;   in Loop: Header=BB36_13 Depth=1
	s_or_b32 exec_lo, exec_lo, s10
	v_dual_mov_b32 v11, v21 :: v_dual_mov_b32 v12, v0
	s_mov_b32 s10, 0
.LBB36_16:                              ;   Parent Loop BB36_13 Depth=1
                                        ; =>  This Inner Loop Header: Depth=2
	s_delay_alu instid0(VALU_DEP_1) | instskip(SKIP_4) | instid1(SALU_CYCLE_1)
	v_add_nc_u32_e32 v12, 0x100, v12
	ds_store_b64 v11, v[9:10]
	v_add_nc_u32_e32 v11, 0x800, v11
	v_cmp_lt_u32_e32 vcc_lo, 0x2ff, v12
	s_or_b32 s10, vcc_lo, s10
	s_and_not1_b32 exec_lo, exec_lo, s10
	s_cbranch_execnz .LBB36_16
; %bb.17:                               ;   in Loop: Header=BB36_13 Depth=1
	s_or_b32 exec_lo, exec_lo, s10
	s_and_saveexec_b32 s10, s1
	s_cbranch_execz .LBB36_19
; %bb.18:                               ;   in Loop: Header=BB36_13 Depth=1
	v_mov_b32_e32 v11, s37
	ds_store_b32 v9, v11 offset:10496
.LBB36_19:                              ;   in Loop: Header=BB36_13 Depth=1
	s_or_b32 exec_lo, exec_lo, s10
	v_mov_b32_e32 v40, s37
	s_and_not1_b32 vcc_lo, exec_lo, s13
	s_waitcnt vmcnt(0) lgkmcnt(0)
	s_barrier
	buffer_gl0_inv
	s_cbranch_vccnz .LBB36_56
; %bb.20:                               ;   in Loop: Header=BB36_13 Depth=1
	v_cmp_ne_u32_e64 s10, 0, v38
	v_mov_b32_e32 v40, s37
	s_mov_b32 s52, s47
	s_branch .LBB36_22
.LBB36_21:                              ;   in Loop: Header=BB36_22 Depth=2
	s_or_b32 exec_lo, exec_lo, s12
	s_add_i32 s52, s52, 16
	s_delay_alu instid0(SALU_CYCLE_1)
	s_cmp_lt_i32 s52, s46
	s_cbranch_scc0 .LBB36_56
.LBB36_22:                              ;   Parent Loop BB36_13 Depth=1
                                        ; =>  This Loop Header: Depth=2
                                        ;       Child Loop BB36_34 Depth 3
                                        ;         Child Loop BB36_43 Depth 4
                                        ;         Child Loop BB36_48 Depth 4
	;; [unrolled: 1-line block ×3, first 2 shown]
	v_add_nc_u32_e32 v11, s52, v20
	s_waitcnt_vscnt null, 0x0
	s_barrier
	buffer_gl0_inv
	v_cmp_gt_i32_e64 s11, s46, v11
	s_delay_alu instid0(VALU_DEP_1)
	s_and_saveexec_b32 s12, s11
	s_cbranch_execz .LBB36_26
; %bb.23:                               ;   in Loop: Header=BB36_22 Depth=2
	v_mov_b32_e32 v12, 0
	v_mov_b32_e32 v13, 0
	s_and_saveexec_b32 s53, s9
	s_cbranch_execz .LBB36_25
; %bb.24:                               ;   in Loop: Header=BB36_22 Depth=2
	v_mad_u64_u32 v[12:13], null, v11, s38, v[6:7]
	s_delay_alu instid0(VALU_DEP_1) | instskip(NEXT) | instid1(VALU_DEP_1)
	v_mad_u64_u32 v[13:14], null, v12, s38, v[5:6]
	v_ashrrev_i32_e32 v14, 31, v13
	s_delay_alu instid0(VALU_DEP_1) | instskip(NEXT) | instid1(VALU_DEP_1)
	v_lshlrev_b64 v[12:13], 3, v[13:14]
	v_add_co_u32 v12, vcc_lo, s22, v12
	s_delay_alu instid0(VALU_DEP_2)
	v_add_co_ci_u32_e32 v13, vcc_lo, s23, v13, vcc_lo
	global_load_b64 v[12:13], v[12:13], off
.LBB36_25:                              ;   in Loop: Header=BB36_22 Depth=2
	s_or_b32 exec_lo, exec_lo, s53
	s_waitcnt vmcnt(0)
	ds_store_b64 v24, v[12:13]
.LBB36_26:                              ;   in Loop: Header=BB36_22 Depth=2
	s_or_b32 exec_lo, exec_lo, s12
	v_mov_b32_e32 v13, 0
	v_ashrrev_i32_e32 v12, 31, v11
	s_waitcnt lgkmcnt(0)
	s_barrier
	buffer_gl0_inv
	s_and_saveexec_b32 s53, s11
	s_cbranch_execz .LBB36_53
; %bb.27:                               ;   in Loop: Header=BB36_22 Depth=2
	v_lshlrev_b64 v[16:17], 2, v[11:12]
	s_delay_alu instid0(VALU_DEP_1) | instskip(NEXT) | instid1(VALU_DEP_2)
	v_add_co_u32 v13, vcc_lo, s20, v16
	v_add_co_ci_u32_e32 v14, vcc_lo, s21, v17, vcc_lo
	s_and_b32 vcc_lo, exec_lo, s10
	global_load_b32 v13, v[13:14], off
	s_waitcnt vmcnt(0)
	v_subrev_nc_u32_e32 v14, s28, v13
	s_delay_alu instid0(VALU_DEP_1)
	v_ashrrev_i32_e32 v15, 31, v14
	s_cbranch_vccz .LBB36_55
; %bb.28:                               ;   in Loop: Header=BB36_22 Depth=2
	v_add_co_u32 v16, vcc_lo, s34, v16
	v_add_co_ci_u32_e32 v17, vcc_lo, s35, v17, vcc_lo
	global_load_b32 v13, v[16:17], off
	s_cbranch_execnz .LBB36_30
.LBB36_29:                              ;   in Loop: Header=BB36_22 Depth=2
	s_delay_alu instid0(VALU_DEP_1) | instskip(NEXT) | instid1(VALU_DEP_1)
	v_lshlrev_b64 v[16:17], 2, v[14:15]
	v_add_co_u32 v16, vcc_lo, s24, v16
	s_delay_alu instid0(VALU_DEP_2)
	v_add_co_ci_u32_e32 v17, vcc_lo, s25, v17, vcc_lo
	global_load_b32 v13, v[16:17], off
	s_waitcnt vmcnt(0)
	v_subrev_nc_u32_e32 v13, s29, v13
.LBB36_30:                              ;   in Loop: Header=BB36_22 Depth=2
	v_lshlrev_b64 v[14:15], 2, v[14:15]
	s_mov_b32 s54, exec_lo
	s_delay_alu instid0(VALU_DEP_1) | instskip(NEXT) | instid1(VALU_DEP_2)
	v_add_co_u32 v14, vcc_lo, s49, v14
	v_add_co_ci_u32_e32 v15, vcc_lo, s50, v15, vcc_lo
	global_load_b32 v14, v[14:15], off
	s_waitcnt vmcnt(0)
	v_subrev_nc_u32_e32 v41, s29, v14
	s_delay_alu instid0(VALU_DEP_1)
	v_cmpx_lt_i32_e64 v13, v41
	s_cbranch_execz .LBB36_52
; %bb.31:                               ;   in Loop: Header=BB36_22 Depth=2
	v_mad_u64_u32 v[14:15], null, s38, v13, v[5:6]
	v_mad_u64_u32 v[15:16], null, s51, v13, v[5:6]
	v_mov_b32_e32 v43, v13
	s_mov_b32 s55, 0
	s_delay_alu instid0(VALU_DEP_3)
	v_mul_lo_u32 v42, s38, v14
	s_branch .LBB36_34
.LBB36_32:                              ;   in Loop: Header=BB36_34 Depth=3
	s_or_b32 exec_lo, exec_lo, s58
	s_delay_alu instid0(SALU_CYCLE_1)
	s_or_b32 s56, s56, exec_lo
.LBB36_33:                              ;   in Loop: Header=BB36_34 Depth=3
	s_or_b32 exec_lo, exec_lo, s57
	v_add_nc_u32_e32 v13, 1, v13
	s_xor_b32 s12, s56, -1
	v_add_nc_u32_e32 v42, s51, v42
	v_add_nc_u32_e32 v15, s51, v15
	s_delay_alu instid0(VALU_DEP_3) | instskip(SKIP_1) | instid1(SALU_CYCLE_1)
	v_cmp_ge_i32_e32 vcc_lo, v13, v41
	s_or_b32 s12, s12, vcc_lo
	s_and_b32 s12, exec_lo, s12
	s_delay_alu instid0(SALU_CYCLE_1) | instskip(NEXT) | instid1(SALU_CYCLE_1)
	s_or_b32 s55, s12, s55
	s_and_not1_b32 exec_lo, exec_lo, s55
	s_cbranch_execz .LBB36_51
.LBB36_34:                              ;   Parent Loop BB36_13 Depth=1
                                        ;     Parent Loop BB36_22 Depth=2
                                        ; =>    This Loop Header: Depth=3
                                        ;         Child Loop BB36_43 Depth 4
                                        ;         Child Loop BB36_48 Depth 4
	;; [unrolled: 1-line block ×3, first 2 shown]
	v_ashrrev_i32_e32 v14, 31, v13
                                        ; implicit-def: $sgpr56
	s_delay_alu instid0(VALU_DEP_1) | instskip(NEXT) | instid1(VALU_DEP_1)
	v_lshlrev_b64 v[16:17], 2, v[13:14]
	v_add_co_u32 v16, vcc_lo, s26, v16
	s_delay_alu instid0(VALU_DEP_2) | instskip(SKIP_3) | instid1(VALU_DEP_1)
	v_add_co_ci_u32_e32 v17, vcc_lo, s27, v17, vcc_lo
	global_load_b32 v14, v[16:17], off
	s_waitcnt vmcnt(0)
	v_subrev_nc_u32_e32 v14, s29, v14
	v_cmp_lt_i32_e64 s12, v14, v38
	v_cmp_ge_i32_e32 vcc_lo, v14, v39
	s_delay_alu instid0(VALU_DEP_2) | instskip(NEXT) | instid1(SALU_CYCLE_1)
	s_or_b32 s12, s12, vcc_lo
	s_and_saveexec_b32 s57, s12
	s_delay_alu instid0(SALU_CYCLE_1)
	s_xor_b32 s12, exec_lo, s57
	s_cbranch_execz .LBB36_38
; %bb.35:                               ;   in Loop: Header=BB36_34 Depth=3
	s_mov_b32 s56, -1
	s_and_saveexec_b32 s57, vcc_lo
; %bb.36:                               ;   in Loop: Header=BB36_34 Depth=3
	v_min_i32_e32 v40, v14, v40
	v_mov_b32_e32 v43, v13
	s_xor_b32 s56, exec_lo, -1
; %bb.37:                               ;   in Loop: Header=BB36_34 Depth=3
	s_or_b32 exec_lo, exec_lo, s57
	s_delay_alu instid0(SALU_CYCLE_1)
	s_and_b32 s56, s56, exec_lo
                                        ; implicit-def: $vgpr14
.LBB36_38:                              ;   in Loop: Header=BB36_34 Depth=3
	s_and_not1_saveexec_b32 s57, s12
	s_cbranch_execz .LBB36_33
; %bb.39:                               ;   in Loop: Header=BB36_34 Depth=3
	v_sub_nc_u32_e32 v14, v14, v38
	s_delay_alu instid0(VALU_DEP_1)
	v_lshlrev_b32_e32 v16, 2, v14
	ds_store_b32 v16, v37 offset:10240
	s_and_saveexec_b32 s58, s9
	s_cbranch_execz .LBB36_32
; %bb.40:                               ;   in Loop: Header=BB36_34 Depth=3
	v_cndmask_b32_e64 v16, 0, 1, s48
	s_and_not1_b32 vcc_lo, exec_lo, s36
	s_delay_alu instid0(VALU_DEP_1)
	v_cmp_ne_u32_e64 s12, 1, v16
	s_cbranch_vccnz .LBB36_45
; %bb.41:                               ;   in Loop: Header=BB36_34 Depth=3
	v_mov_b32_e32 v16, 0
	v_mov_b32_e32 v17, 0
	s_delay_alu instid0(VALU_DEP_3)
	s_and_b32 vcc_lo, exec_lo, s12
	s_cbranch_vccnz .LBB36_44
; %bb.42:                               ;   in Loop: Header=BB36_34 Depth=3
	v_mov_b32_e32 v18, v42
	v_mov_b32_e32 v44, v33
	s_mov_b32 s12, s38
	.p2align	6
.LBB36_43:                              ;   Parent Loop BB36_13 Depth=1
                                        ;     Parent Loop BB36_22 Depth=2
                                        ;       Parent Loop BB36_34 Depth=3
                                        ; =>      This Inner Loop Header: Depth=4
	s_delay_alu instid0(VALU_DEP_2) | instskip(SKIP_3) | instid1(SALU_CYCLE_1)
	v_ashrrev_i32_e32 v19, 31, v18
	ds_load_b64 v[47:48], v44
	v_add_nc_u32_e32 v44, 32, v44
	s_add_i32 s12, s12, -1
	s_cmp_lg_u32 s12, 0
	v_lshlrev_b64 v[45:46], 3, v[18:19]
	v_add_nc_u32_e32 v18, 1, v18
	s_delay_alu instid0(VALU_DEP_2) | instskip(NEXT) | instid1(VALU_DEP_3)
	v_add_co_u32 v45, vcc_lo, s44, v45
	v_add_co_ci_u32_e32 v46, vcc_lo, s45, v46, vcc_lo
	global_load_b64 v[45:46], v[45:46], off
	s_waitcnt vmcnt(0) lgkmcnt(0)
	v_fma_f64 v[16:17], v[47:48], v[45:46], v[16:17]
	s_cbranch_scc1 .LBB36_43
.LBB36_44:                              ;   in Loop: Header=BB36_34 Depth=3
	s_cbranch_execz .LBB36_46
	s_branch .LBB36_49
.LBB36_45:                              ;   in Loop: Header=BB36_34 Depth=3
                                        ; implicit-def: $vgpr16_vgpr17
.LBB36_46:                              ;   in Loop: Header=BB36_34 Depth=3
	v_mov_b32_e32 v16, 0
	v_mov_b32_e32 v17, 0
	s_and_not1_b32 vcc_lo, exec_lo, s48
	s_cbranch_vccnz .LBB36_49
; %bb.47:                               ;   in Loop: Header=BB36_34 Depth=3
	v_mov_b32_e32 v44, v34
	v_mov_b32_e32 v18, v15
	s_mov_b32 s12, s38
	.p2align	6
.LBB36_48:                              ;   Parent Loop BB36_13 Depth=1
                                        ;     Parent Loop BB36_22 Depth=2
                                        ;       Parent Loop BB36_34 Depth=3
                                        ; =>      This Inner Loop Header: Depth=4
	s_delay_alu instid0(VALU_DEP_1) | instskip(SKIP_3) | instid1(SALU_CYCLE_1)
	v_ashrrev_i32_e32 v19, 31, v18
	ds_load_b64 v[47:48], v44
	v_add_nc_u32_e32 v44, 8, v44
	s_add_i32 s12, s12, -1
	s_cmp_eq_u32 s12, 0
	v_lshlrev_b64 v[45:46], 3, v[18:19]
	v_add_nc_u32_e32 v18, s38, v18
	s_delay_alu instid0(VALU_DEP_2) | instskip(NEXT) | instid1(VALU_DEP_3)
	v_add_co_u32 v45, vcc_lo, s44, v45
	v_add_co_ci_u32_e32 v46, vcc_lo, s45, v46, vcc_lo
	global_load_b64 v[45:46], v[45:46], off
	s_waitcnt vmcnt(0) lgkmcnt(0)
	v_fma_f64 v[16:17], v[47:48], v[45:46], v[16:17]
	s_cbranch_scc0 .LBB36_48
.LBB36_49:                              ;   in Loop: Header=BB36_34 Depth=3
	s_delay_alu instid0(VALU_DEP_1) | instskip(SKIP_2) | instid1(VALU_DEP_1)
	v_mul_f64 v[16:17], v[1:2], v[16:17]
	v_lshlrev_b32_e32 v14, 4, v14
	s_mov_b32 s12, 0
	v_or3_b32 v14, v14, v22, v5
	s_delay_alu instid0(VALU_DEP_1)
	v_lshlrev_b32_e32 v14, 3, v14
	ds_load_b64 v[18:19], v14
.LBB36_50:                              ;   Parent Loop BB36_13 Depth=1
                                        ;     Parent Loop BB36_22 Depth=2
                                        ;       Parent Loop BB36_34 Depth=3
                                        ; =>      This Inner Loop Header: Depth=4
	s_waitcnt lgkmcnt(0)
	v_add_f64 v[44:45], v[18:19], v[16:17]
	ds_cmpstore_rtn_b64 v[44:45], v14, v[44:45], v[18:19]
	s_waitcnt lgkmcnt(0)
	v_cmp_eq_u64_e32 vcc_lo, v[44:45], v[18:19]
	v_dual_mov_b32 v18, v44 :: v_dual_mov_b32 v19, v45
	s_or_b32 s12, vcc_lo, s12
	s_delay_alu instid0(SALU_CYCLE_1)
	s_and_not1_b32 exec_lo, exec_lo, s12
	s_cbranch_execnz .LBB36_50
	s_branch .LBB36_32
.LBB36_51:                              ;   in Loop: Header=BB36_22 Depth=2
	s_or_b32 exec_lo, exec_lo, s55
	v_mov_b32_e32 v13, v43
.LBB36_52:                              ;   in Loop: Header=BB36_22 Depth=2
	s_or_b32 exec_lo, exec_lo, s54
.LBB36_53:                              ;   in Loop: Header=BB36_22 Depth=2
	s_delay_alu instid0(SALU_CYCLE_1)
	s_or_b32 exec_lo, exec_lo, s53
	s_waitcnt lgkmcnt(0)
	s_barrier
	buffer_gl0_inv
	s_and_saveexec_b32 s12, s11
	s_cbranch_execz .LBB36_21
; %bb.54:                               ;   in Loop: Header=BB36_22 Depth=2
	v_lshlrev_b64 v[11:12], 2, v[11:12]
	s_delay_alu instid0(VALU_DEP_1) | instskip(NEXT) | instid1(VALU_DEP_2)
	v_add_co_u32 v11, vcc_lo, s34, v11
	v_add_co_ci_u32_e32 v12, vcc_lo, s35, v12, vcc_lo
	global_store_b32 v[11:12], v13, off
	s_branch .LBB36_21
.LBB36_55:                              ;   in Loop: Header=BB36_22 Depth=2
                                        ; implicit-def: $vgpr13
	s_branch .LBB36_29
.LBB36_56:                              ;   in Loop: Header=BB36_13 Depth=1
	s_and_not1_b32 vcc_lo, exec_lo, s33
	s_cbranch_vccnz .LBB36_69
; %bb.57:                               ;   in Loop: Header=BB36_13 Depth=1
	s_load_b64 s[10:11], s[18:19], 0x0
	s_mov_b32 s12, exec_lo
	s_waitcnt lgkmcnt(0)
	v_add_nc_u32_e32 v11, s10, v25
	s_sub_i32 s52, s11, s31
	s_delay_alu instid0(VALU_DEP_1) | instid1(SALU_CYCLE_1)
	v_cmpx_gt_i32_e64 s52, v11
	s_cbranch_execz .LBB36_68
; %bb.58:                               ;   in Loop: Header=BB36_13 Depth=1
	s_mov_b32 s53, 0
	s_branch .LBB36_61
.LBB36_59:                              ;   in Loop: Header=BB36_61 Depth=2
	s_or_b32 exec_lo, exec_lo, s54
	s_delay_alu instid0(SALU_CYCLE_1)
	s_or_b32 s10, s10, exec_lo
.LBB36_60:                              ;   in Loop: Header=BB36_61 Depth=2
	s_or_b32 exec_lo, exec_lo, s11
	v_add_nc_u32_e32 v11, 16, v11
	s_xor_b32 s10, s10, -1
	s_delay_alu instid0(VALU_DEP_1) | instskip(SKIP_1) | instid1(SALU_CYCLE_1)
	v_cmp_le_i32_e32 vcc_lo, s52, v11
	s_or_b32 s10, vcc_lo, s10
	s_and_b32 s10, exec_lo, s10
	s_delay_alu instid0(SALU_CYCLE_1) | instskip(NEXT) | instid1(SALU_CYCLE_1)
	s_or_b32 s53, s10, s53
	s_and_not1_b32 exec_lo, exec_lo, s53
	s_cbranch_execz .LBB36_67
.LBB36_61:                              ;   Parent Loop BB36_13 Depth=1
                                        ; =>  This Loop Header: Depth=2
                                        ;       Child Loop BB36_66 Depth 3
	v_ashrrev_i32_e32 v12, 31, v11
	s_delay_alu instid0(VALU_DEP_1) | instskip(NEXT) | instid1(VALU_DEP_1)
	v_lshlrev_b64 v[12:13], 2, v[11:12]
	v_add_co_u32 v12, vcc_lo, s14, v12
	s_delay_alu instid0(VALU_DEP_2) | instskip(SKIP_3) | instid1(VALU_DEP_1)
	v_add_co_ci_u32_e32 v13, vcc_lo, s15, v13, vcc_lo
	global_load_b32 v12, v[12:13], off
	s_waitcnt vmcnt(0)
	v_subrev_nc_u32_e32 v12, s31, v12
	v_cmp_lt_i32_e64 s10, v12, v38
	v_cmp_ge_i32_e64 s11, v12, v39
	v_cmp_lt_i32_e32 vcc_lo, v12, v39
	s_delay_alu instid0(VALU_DEP_2) | instskip(NEXT) | instid1(SALU_CYCLE_1)
	s_or_b32 s11, s10, s11
                                        ; implicit-def: $sgpr10
	s_and_saveexec_b32 s54, s11
	s_delay_alu instid0(SALU_CYCLE_1)
	s_xor_b32 s11, exec_lo, s54
; %bb.62:                               ;   in Loop: Header=BB36_61 Depth=2
	v_min_i32_e32 v12, v12, v40
	s_and_b32 s10, vcc_lo, exec_lo
	s_delay_alu instid0(VALU_DEP_1)
	v_cndmask_b32_e32 v40, v12, v40, vcc_lo
                                        ; implicit-def: $vgpr12
; %bb.63:                               ;   in Loop: Header=BB36_61 Depth=2
	s_and_not1_saveexec_b32 s11, s11
	s_cbranch_execz .LBB36_60
; %bb.64:                               ;   in Loop: Header=BB36_61 Depth=2
	v_sub_nc_u32_e32 v14, v12, v38
	s_delay_alu instid0(VALU_DEP_1)
	v_lshlrev_b32_e32 v12, 2, v14
	ds_store_b32 v12, v37 offset:10240
	s_and_saveexec_b32 s54, s9
	s_cbranch_execz .LBB36_59
; %bb.65:                               ;   in Loop: Header=BB36_61 Depth=2
	v_mad_u64_u32 v[12:13], null, v11, s38, v[7:8]
	v_lshlrev_b32_e32 v14, 4, v14
	s_mov_b32 s55, 0
	s_delay_alu instid0(VALU_DEP_1) | instskip(NEXT) | instid1(VALU_DEP_3)
	v_or3_b32 v14, v14, v22, v5
	v_mad_u64_u32 v[15:16], null, v12, s38, v[8:9]
	s_delay_alu instid0(VALU_DEP_1) | instskip(NEXT) | instid1(VALU_DEP_1)
	v_ashrrev_i32_e32 v16, 31, v15
	v_lshlrev_b64 v[12:13], 3, v[15:16]
	s_delay_alu instid0(VALU_DEP_4)
	v_lshlrev_b32_e32 v16, 3, v14
	ds_load_b64 v[14:15], v16
	v_add_co_u32 v12, vcc_lo, s16, v12
	v_add_co_ci_u32_e32 v13, vcc_lo, s17, v13, vcc_lo
	global_load_b64 v[12:13], v[12:13], off
	s_waitcnt vmcnt(0)
	v_mul_f64 v[12:13], v[3:4], v[12:13]
.LBB36_66:                              ;   Parent Loop BB36_13 Depth=1
                                        ;     Parent Loop BB36_61 Depth=2
                                        ; =>    This Inner Loop Header: Depth=3
	s_waitcnt lgkmcnt(0)
	s_delay_alu instid0(VALU_DEP_1)
	v_add_f64 v[17:18], v[14:15], v[12:13]
	ds_cmpstore_rtn_b64 v[17:18], v16, v[17:18], v[14:15]
	s_waitcnt lgkmcnt(0)
	v_cmp_eq_u64_e32 vcc_lo, v[17:18], v[14:15]
	v_dual_mov_b32 v14, v17 :: v_dual_mov_b32 v15, v18
	s_or_b32 s55, vcc_lo, s55
	s_delay_alu instid0(SALU_CYCLE_1)
	s_and_not1_b32 exec_lo, exec_lo, s55
	s_cbranch_execnz .LBB36_66
	s_branch .LBB36_59
.LBB36_67:                              ;   in Loop: Header=BB36_13 Depth=1
	s_or_b32 exec_lo, exec_lo, s53
.LBB36_68:                              ;   in Loop: Header=BB36_13 Depth=1
	s_delay_alu instid0(SALU_CYCLE_1)
	s_or_b32 exec_lo, exec_lo, s12
.LBB36_69:                              ;   in Loop: Header=BB36_13 Depth=1
	s_and_saveexec_b32 s10, s2
	s_cbranch_execz .LBB36_74
; %bb.70:                               ;   in Loop: Header=BB36_13 Depth=1
	s_mov_b32 s12, exec_lo
	s_brev_b32 s11, -2
.LBB36_71:                              ;   Parent Loop BB36_13 Depth=1
                                        ; =>  This Inner Loop Header: Depth=2
	s_ctz_i32_b32 s52, s12
	s_delay_alu instid0(SALU_CYCLE_1) | instskip(SKIP_1) | instid1(SALU_CYCLE_1)
	v_readlane_b32 s53, v40, s52
	s_lshl_b32 s52, 1, s52
	s_and_not1_b32 s12, s12, s52
	s_delay_alu instid0(VALU_DEP_1)
	s_min_i32 s11, s11, s53
	s_cmp_lg_u32 s12, 0
	s_cbranch_scc1 .LBB36_71
; %bb.72:                               ;   in Loop: Header=BB36_13 Depth=1
	v_mbcnt_lo_u32_b32 v11, exec_lo, 0
	s_mov_b32 s12, exec_lo
	s_delay_alu instid0(VALU_DEP_1)
	v_cmpx_eq_u32_e32 0, v11
	s_xor_b32 s12, exec_lo, s12
	s_cbranch_execz .LBB36_74
; %bb.73:                               ;   in Loop: Header=BB36_13 Depth=1
	v_mov_b32_e32 v11, s11
	ds_min_i32 v9, v11 offset:10496
.LBB36_74:                              ;   in Loop: Header=BB36_13 Depth=1
	s_or_b32 exec_lo, exec_lo, s10
	s_waitcnt lgkmcnt(0)
	s_waitcnt_vscnt null, 0x0
	s_barrier
	buffer_gl0_inv
	ds_load_b32 v11, v26
	s_waitcnt lgkmcnt(0)
	s_barrier
	buffer_gl0_inv
	s_and_saveexec_b32 s10, s3
	s_cbranch_execz .LBB36_76
; %bb.75:                               ;   in Loop: Header=BB36_13 Depth=1
	ds_load_b32 v12, v27
	s_waitcnt lgkmcnt(0)
	v_add_nc_u32_e32 v11, v12, v11
.LBB36_76:                              ;   in Loop: Header=BB36_13 Depth=1
	s_or_b32 exec_lo, exec_lo, s10
	s_barrier
	buffer_gl0_inv
	ds_store_b32 v26, v11
	s_waitcnt lgkmcnt(0)
	s_barrier
	buffer_gl0_inv
	s_and_saveexec_b32 s10, s4
	s_cbranch_execz .LBB36_78
; %bb.77:                               ;   in Loop: Header=BB36_13 Depth=1
	ds_load_b32 v12, v28
	s_waitcnt lgkmcnt(0)
	v_add_nc_u32_e32 v11, v12, v11
.LBB36_78:                              ;   in Loop: Header=BB36_13 Depth=1
	s_or_b32 exec_lo, exec_lo, s10
	s_barrier
	buffer_gl0_inv
	ds_store_b32 v26, v11
	;; [unrolled: 14-line block ×6, first 2 shown]
	s_waitcnt lgkmcnt(0)
	s_barrier
	buffer_gl0_inv
	ds_load_b32 v13, v9 offset:10492
	v_mov_b32_e32 v12, 0
	s_and_saveexec_b32 s10, s39
	s_cbranch_execz .LBB36_88
; %bb.87:                               ;   in Loop: Header=BB36_13 Depth=1
	ds_load_b32 v12, v27
.LBB36_88:                              ;   in Loop: Header=BB36_13 Depth=1
	s_or_b32 exec_lo, exec_lo, s10
	s_waitcnt lgkmcnt(0)
	v_cmp_eq_u32_e32 vcc_lo, v11, v12
	s_barrier
	buffer_gl0_inv
	s_and_b32 s11, s39, vcc_lo
	s_delay_alu instid0(SALU_CYCLE_1)
	s_and_saveexec_b32 s10, s11
	s_cbranch_execz .LBB36_90
; %bb.89:                               ;   in Loop: Header=BB36_13 Depth=1
	ds_store_b32 v26, v9
.LBB36_90:                              ;   in Loop: Header=BB36_13 Depth=1
	s_or_b32 exec_lo, exec_lo, s10
	v_dual_mov_b32 v17, v21 :: v_dual_add_nc_u32 v14, -1, v36
	v_dual_mov_b32 v16, v35 :: v_dual_add_nc_u32 v15, s30, v38
	v_mov_b32_e32 v18, v20
	s_mov_b32 s10, 0
	s_waitcnt lgkmcnt(0)
	s_barrier
	buffer_gl0_inv
	s_set_inst_prefetch_distance 0x1
	s_branch .LBB36_92
	.p2align	6
.LBB36_91:                              ;   in Loop: Header=BB36_92 Depth=2
	s_or_b32 exec_lo, exec_lo, s11
	v_add_nc_u32_e32 v11, 16, v18
	v_cmp_lt_u32_e32 vcc_lo, 47, v18
	v_add_nc_u32_e32 v17, 0x800, v17
	v_add_nc_u32_e32 v16, 64, v16
	s_delay_alu instid0(VALU_DEP_4) | instskip(SKIP_1) | instid1(SALU_CYCLE_1)
	v_mov_b32_e32 v18, v11
	s_or_b32 s10, vcc_lo, s10
	s_and_not1_b32 exec_lo, exec_lo, s10
	s_cbranch_execz .LBB36_12
.LBB36_92:                              ;   Parent Loop BB36_13 Depth=1
                                        ; =>  This Inner Loop Header: Depth=2
	ds_load_b32 v11, v16
	s_mov_b32 s11, exec_lo
	s_waitcnt lgkmcnt(0)
	v_cmpx_ne_u32_e32 0, v11
	s_cbranch_execz .LBB36_91
; %bb.93:                               ;   in Loop: Header=BB36_92 Depth=2
	v_add_nc_u32_e32 v11, v14, v11
	s_delay_alu instid0(VALU_DEP_1) | instskip(NEXT) | instid1(VALU_DEP_1)
	v_ashrrev_i32_e32 v12, 31, v11
	v_lshlrev_b64 v[38:39], 2, v[11:12]
	v_add_nc_u32_e32 v12, v15, v18
	s_delay_alu instid0(VALU_DEP_2) | instskip(NEXT) | instid1(VALU_DEP_3)
	v_add_co_u32 v38, vcc_lo, s40, v38
	v_add_co_ci_u32_e32 v39, vcc_lo, s41, v39, vcc_lo
	global_store_b32 v[38:39], v12, off
	s_and_b32 exec_lo, exec_lo, s9
	s_cbranch_execz .LBB36_91
; %bb.94:                               ;   in Loop: Header=BB36_92 Depth=2
	v_mad_u64_u32 v[38:39], null, v11, s38, v[7:8]
	s_delay_alu instid0(VALU_DEP_1) | instskip(SKIP_2) | instid1(VALU_DEP_1)
	v_mad_u64_u32 v[11:12], null, v38, s38, v[8:9]
	ds_load_b64 v[38:39], v17
	v_ashrrev_i32_e32 v12, 31, v11
	v_lshlrev_b64 v[11:12], 3, v[11:12]
	s_delay_alu instid0(VALU_DEP_1) | instskip(NEXT) | instid1(VALU_DEP_2)
	v_add_co_u32 v11, vcc_lo, s42, v11
	v_add_co_ci_u32_e32 v12, vcc_lo, s43, v12, vcc_lo
	s_waitcnt lgkmcnt(0)
	global_store_b64 v[11:12], v[38:39], off
	s_branch .LBB36_91
.LBB36_95:
	s_endpgm
	.section	.rodata,"a",@progbits
	.p2align	6, 0x0
	.amdhsa_kernel _ZN9rocsparseL38bsrgemm_block_per_row_atomic_multipassILj256ELj64ELj4EiidEEv20rocsparse_direction_T3_S2_PKS2_S4_NS_24const_host_device_scalarIT4_EEPKT2_S4_PKS6_SA_S4_SC_S7_SA_S4_SC_SA_PS2_PS6_PS8_21rocsparse_index_base_SG_SG_SG_bbb
		.amdhsa_group_segment_fixed_size 10504
		.amdhsa_private_segment_fixed_size 0
		.amdhsa_kernarg_size 172
		.amdhsa_user_sgpr_count 15
		.amdhsa_user_sgpr_dispatch_ptr 0
		.amdhsa_user_sgpr_queue_ptr 0
		.amdhsa_user_sgpr_kernarg_segment_ptr 1
		.amdhsa_user_sgpr_dispatch_id 0
		.amdhsa_user_sgpr_private_segment_size 0
		.amdhsa_wavefront_size32 1
		.amdhsa_uses_dynamic_stack 0
		.amdhsa_enable_private_segment 0
		.amdhsa_system_sgpr_workgroup_id_x 1
		.amdhsa_system_sgpr_workgroup_id_y 0
		.amdhsa_system_sgpr_workgroup_id_z 0
		.amdhsa_system_sgpr_workgroup_info 0
		.amdhsa_system_vgpr_workitem_id 0
		.amdhsa_next_free_vgpr 49
		.amdhsa_next_free_sgpr 59
		.amdhsa_reserve_vcc 1
		.amdhsa_float_round_mode_32 0
		.amdhsa_float_round_mode_16_64 0
		.amdhsa_float_denorm_mode_32 3
		.amdhsa_float_denorm_mode_16_64 3
		.amdhsa_dx10_clamp 1
		.amdhsa_ieee_mode 1
		.amdhsa_fp16_overflow 0
		.amdhsa_workgroup_processor_mode 1
		.amdhsa_memory_ordered 1
		.amdhsa_forward_progress 0
		.amdhsa_shared_vgpr_count 0
		.amdhsa_exception_fp_ieee_invalid_op 0
		.amdhsa_exception_fp_denorm_src 0
		.amdhsa_exception_fp_ieee_div_zero 0
		.amdhsa_exception_fp_ieee_overflow 0
		.amdhsa_exception_fp_ieee_underflow 0
		.amdhsa_exception_fp_ieee_inexact 0
		.amdhsa_exception_int_div_zero 0
	.end_amdhsa_kernel
	.section	.text._ZN9rocsparseL38bsrgemm_block_per_row_atomic_multipassILj256ELj64ELj4EiidEEv20rocsparse_direction_T3_S2_PKS2_S4_NS_24const_host_device_scalarIT4_EEPKT2_S4_PKS6_SA_S4_SC_S7_SA_S4_SC_SA_PS2_PS6_PS8_21rocsparse_index_base_SG_SG_SG_bbb,"axG",@progbits,_ZN9rocsparseL38bsrgemm_block_per_row_atomic_multipassILj256ELj64ELj4EiidEEv20rocsparse_direction_T3_S2_PKS2_S4_NS_24const_host_device_scalarIT4_EEPKT2_S4_PKS6_SA_S4_SC_S7_SA_S4_SC_SA_PS2_PS6_PS8_21rocsparse_index_base_SG_SG_SG_bbb,comdat
.Lfunc_end36:
	.size	_ZN9rocsparseL38bsrgemm_block_per_row_atomic_multipassILj256ELj64ELj4EiidEEv20rocsparse_direction_T3_S2_PKS2_S4_NS_24const_host_device_scalarIT4_EEPKT2_S4_PKS6_SA_S4_SC_S7_SA_S4_SC_SA_PS2_PS6_PS8_21rocsparse_index_base_SG_SG_SG_bbb, .Lfunc_end36-_ZN9rocsparseL38bsrgemm_block_per_row_atomic_multipassILj256ELj64ELj4EiidEEv20rocsparse_direction_T3_S2_PKS2_S4_NS_24const_host_device_scalarIT4_EEPKT2_S4_PKS6_SA_S4_SC_S7_SA_S4_SC_SA_PS2_PS6_PS8_21rocsparse_index_base_SG_SG_SG_bbb
                                        ; -- End function
	.section	.AMDGPU.csdata,"",@progbits
; Kernel info:
; codeLenInByte = 3448
; NumSgprs: 61
; NumVgprs: 49
; ScratchSize: 0
; MemoryBound: 0
; FloatMode: 240
; IeeeMode: 1
; LDSByteSize: 10504 bytes/workgroup (compile time only)
; SGPRBlocks: 7
; VGPRBlocks: 6
; NumSGPRsForWavesPerEU: 61
; NumVGPRsForWavesPerEU: 49
; Occupancy: 16
; WaveLimiterHint : 1
; COMPUTE_PGM_RSRC2:SCRATCH_EN: 0
; COMPUTE_PGM_RSRC2:USER_SGPR: 15
; COMPUTE_PGM_RSRC2:TRAP_HANDLER: 0
; COMPUTE_PGM_RSRC2:TGID_X_EN: 1
; COMPUTE_PGM_RSRC2:TGID_Y_EN: 0
; COMPUTE_PGM_RSRC2:TGID_Z_EN: 0
; COMPUTE_PGM_RSRC2:TIDIG_COMP_CNT: 0
	.section	.text._ZN9rocsparseL38bsrgemm_block_per_row_atomic_multipassILj256ELj128ELj4EiidEEv20rocsparse_direction_T3_S2_PKS2_S4_NS_24const_host_device_scalarIT4_EEPKT2_S4_PKS6_SA_S4_SC_S7_SA_S4_SC_SA_PS2_PS6_PS8_21rocsparse_index_base_SG_SG_SG_bbb,"axG",@progbits,_ZN9rocsparseL38bsrgemm_block_per_row_atomic_multipassILj256ELj128ELj4EiidEEv20rocsparse_direction_T3_S2_PKS2_S4_NS_24const_host_device_scalarIT4_EEPKT2_S4_PKS6_SA_S4_SC_S7_SA_S4_SC_SA_PS2_PS6_PS8_21rocsparse_index_base_SG_SG_SG_bbb,comdat
	.globl	_ZN9rocsparseL38bsrgemm_block_per_row_atomic_multipassILj256ELj128ELj4EiidEEv20rocsparse_direction_T3_S2_PKS2_S4_NS_24const_host_device_scalarIT4_EEPKT2_S4_PKS6_SA_S4_SC_S7_SA_S4_SC_SA_PS2_PS6_PS8_21rocsparse_index_base_SG_SG_SG_bbb ; -- Begin function _ZN9rocsparseL38bsrgemm_block_per_row_atomic_multipassILj256ELj128ELj4EiidEEv20rocsparse_direction_T3_S2_PKS2_S4_NS_24const_host_device_scalarIT4_EEPKT2_S4_PKS6_SA_S4_SC_S7_SA_S4_SC_SA_PS2_PS6_PS8_21rocsparse_index_base_SG_SG_SG_bbb
	.p2align	8
	.type	_ZN9rocsparseL38bsrgemm_block_per_row_atomic_multipassILj256ELj128ELj4EiidEEv20rocsparse_direction_T3_S2_PKS2_S4_NS_24const_host_device_scalarIT4_EEPKT2_S4_PKS6_SA_S4_SC_S7_SA_S4_SC_SA_PS2_PS6_PS8_21rocsparse_index_base_SG_SG_SG_bbb,@function
_ZN9rocsparseL38bsrgemm_block_per_row_atomic_multipassILj256ELj128ELj4EiidEEv20rocsparse_direction_T3_S2_PKS2_S4_NS_24const_host_device_scalarIT4_EEPKT2_S4_PKS6_SA_S4_SC_S7_SA_S4_SC_SA_PS2_PS6_PS8_21rocsparse_index_base_SG_SG_SG_bbb: ; @_ZN9rocsparseL38bsrgemm_block_per_row_atomic_multipassILj256ELj128ELj4EiidEEv20rocsparse_direction_T3_S2_PKS2_S4_NS_24const_host_device_scalarIT4_EEPKT2_S4_PKS6_SA_S4_SC_S7_SA_S4_SC_SA_PS2_PS6_PS8_21rocsparse_index_base_SG_SG_SG_bbb
; %bb.0:
	s_clause 0x3
	s_load_b32 s3, s[0:1], 0xa8
	s_load_b64 s[6:7], s[0:1], 0x20
	s_load_b128 s[36:39], s[0:1], 0x98
	s_load_b64 s[4:5], s[0:1], 0x58
	s_mov_b32 s2, s15
	s_waitcnt lgkmcnt(0)
	s_and_b32 s9, 1, s3
	s_bitcmp1_b32 s3, 16
	s_cselect_b32 s8, -1, 0
	s_cmp_eq_u32 s9, 1
	s_cselect_b32 s14, -1, 0
	s_delay_alu instid0(SALU_CYCLE_1)
	s_and_b32 s9, s14, exec_lo
	s_cselect_b32 s11, s7, 0
	s_cselect_b32 s10, s6, 0
	s_xor_b32 s9, s14, -1
	v_dual_mov_b32 v1, s10 :: v_dual_mov_b32 v2, s11
	s_or_b32 s9, s9, s8
	s_delay_alu instid0(SALU_CYCLE_1)
	s_and_b32 vcc_lo, exec_lo, s9
	s_cbranch_vccnz .LBB37_2
; %bb.1:
	v_dual_mov_b32 v1, s6 :: v_dual_mov_b32 v2, s7
	flat_load_b64 v[1:2], v[1:2]
.LBB37_2:
	s_load_b64 s[6:7], s[0:1], 0x18
	s_bitcmp1_b32 s3, 8
	s_cselect_b32 s33, -1, 0
	s_delay_alu instid0(SALU_CYCLE_1)
	s_and_b32 s3, s33, exec_lo
	s_cselect_b32 s11, s5, 0
	s_cselect_b32 s10, s4, 0
	s_xor_b32 s3, s33, -1
	v_dual_mov_b32 v3, s10 :: v_dual_mov_b32 v4, s11
	s_or_b32 s3, s3, s8
	s_delay_alu instid0(SALU_CYCLE_1)
	s_and_b32 vcc_lo, exec_lo, s3
	s_cbranch_vccnz .LBB37_4
; %bb.3:
	v_dual_mov_b32 v3, s4 :: v_dual_mov_b32 v4, s5
	flat_load_b64 v[3:4], v[3:4]
.LBB37_4:
	s_load_b64 s[4:5], s[0:1], 0x28
	s_waitcnt lgkmcnt(0)
	s_cmp_eq_u64 s[6:7], 0
	s_cbranch_scc1 .LBB37_6
; %bb.5:
	s_load_b64 s[8:9], s[0:1], 0x10
	s_waitcnt lgkmcnt(0)
	s_load_b32 s3, s[8:9], 0x0
	s_waitcnt lgkmcnt(0)
	s_add_i32 s2, s3, s2
	s_mov_b32 s3, 0
	s_delay_alu instid0(SALU_CYCLE_1) | instskip(NEXT) | instid1(SALU_CYCLE_1)
	s_lshl_b64 s[2:3], s[2:3], 2
	s_add_u32 s2, s6, s2
	s_addc_u32 s3, s7, s3
	s_load_b32 s2, s[2:3], 0x0
.LBB37_6:
	s_mov_b32 s50, 0
	s_and_not1_b32 vcc_lo, exec_lo, s14
	s_mov_b32 s51, 0
	s_cbranch_vccz .LBB37_9
; %bb.7:
	s_and_not1_b32 vcc_lo, exec_lo, s14
	s_cbranch_vccz .LBB37_10
.LBB37_8:
	s_load_b128 s[40:43], s[0:1], 0x0
	s_waitcnt lgkmcnt(0)
	s_cmp_lt_i32 s41, 1
	s_cbranch_scc0 .LBB37_11
	s_branch .LBB37_101
.LBB37_9:
	s_waitcnt lgkmcnt(0)
	s_ashr_i32 s3, s2, 31
	s_delay_alu instid0(SALU_CYCLE_1) | instskip(NEXT) | instid1(SALU_CYCLE_1)
	s_lshl_b64 s[6:7], s[2:3], 2
	s_add_u32 s6, s4, s6
	s_addc_u32 s7, s5, s7
	s_load_b32 s3, s[6:7], 0x0
	s_waitcnt lgkmcnt(0)
	s_sub_i32 s51, s3, s36
	s_and_not1_b32 vcc_lo, exec_lo, s14
	s_cbranch_vccnz .LBB37_8
.LBB37_10:
	s_waitcnt lgkmcnt(0)
	s_ashr_i32 s3, s2, 31
	s_delay_alu instid0(SALU_CYCLE_1) | instskip(NEXT) | instid1(SALU_CYCLE_1)
	s_lshl_b64 s[6:7], s[2:3], 2
	s_add_u32 s4, s4, s6
	s_addc_u32 s5, s5, s7
	s_load_b32 s3, s[4:5], 0x4
	s_waitcnt lgkmcnt(0)
	s_sub_i32 s50, s3, s36
	s_load_b128 s[40:43], s[0:1], 0x0
	s_waitcnt lgkmcnt(0)
	s_cmp_lt_i32 s41, 1
	s_cbranch_scc1 .LBB37_101
.LBB37_11:
	s_clause 0x4
	s_load_b256 s[16:23], s[0:1], 0x60
	s_load_b64 s[34:35], s[0:1], 0x90
	s_load_b128 s[44:47], s[0:1], 0x80
	s_load_b64 s[48:49], s[0:1], 0x50
	s_load_b256 s[24:31], s[0:1], 0x30
	s_ashr_i32 s3, s2, 31
	v_bfe_u32 v6, v0, 2, 2
	s_lshl_b64 s[12:13], s[2:3], 2
	v_and_b32_e32 v8, 0x7f, v0
	v_lshrrev_b32_e32 v22, 4, v0
	s_mov_b32 s54, 0
	v_lshlrev_b32_e32 v11, 3, v6
	s_mov_b32 s55, s54
	v_lshlrev_b32_e32 v23, 3, v0
	v_cmp_gt_u32_e64 s0, 0x80, v0
	v_cmp_eq_u32_e64 s1, 0, v0
	v_lshl_or_b32 v25, v0, 2, 0x4800
	v_subrev_nc_u32_e32 v27, s39, v22
	v_lshl_or_b32 v37, v22, 2, 0x4800
	v_mov_b32_e32 v40, 1
	s_waitcnt lgkmcnt(0)
	s_add_u32 s2, s22, s12
	s_addc_u32 s3, s23, s13
	v_mov_b32_e32 v43, 0x80
	s_load_b32 s11, s[2:3], 0x0
	v_dual_mov_b32 v39, 0 :: v_dual_mov_b32 v42, 0
	s_waitcnt lgkmcnt(0)
	s_sub_i32 s15, s11, s38
	s_delay_alu instid0(SALU_CYCLE_1) | instskip(SKIP_2) | instid1(VALU_DEP_1)
	v_dual_mov_b32 v38, s15 :: v_dual_and_b32 v5, 3, v0
	s_cmp_lt_i32 s51, s50
	s_cselect_b32 s53, -1, 0
	v_max_i32_e32 v9, v5, v6
	s_cmp_eq_u32 s40, 0
	s_cselect_b32 vcc_lo, -1, 0
	v_and_b32_e32 v7, 15, v0
	s_delay_alu instid0(VALU_DEP_2)
	v_cmp_gt_i32_e64 s10, s42, v9
	v_or_b32_e32 v9, 0x400, v0
	s_cmp_lg_u32 s40, 0
	v_and_b32_e32 v24, 12, v0
	v_cmp_eq_u32_e64 s2, 15, v7
	s_cselect_b32 s40, -1, 0
	v_cmp_gt_u32_e64 s11, 0x700, v9
	v_mov_b32_e32 v9, 0
	v_add_co_u32 v10, s43, v8, -1
	v_lshlrev_b32_e32 v7, 2, v8
	s_cmp_gt_i32 s42, 0
	v_cmp_ne_u32_e64 s3, 0, v8
	s_delay_alu instid0(VALU_DEP_3)
	v_lshl_add_u32 v29, v10, 2, 0x4800
	v_lshlrev_b32_e32 v10, 7, v22
	s_cselect_b32 s52, -1, 0
	s_add_u32 s22, s16, s12
	s_movk_i32 s16, 0x7e0
	v_add_nc_u32_e32 v32, 0x47e0, v7
	s_addc_u32 s23, s17, s13
	v_cmp_gt_u32_e64 s12, 0x200, v0
	v_cmp_gt_u32_e64 s13, 0x100, v0
	v_or3_b32 v0, v10, v11, 0x4000
	v_mov_b32_e32 v11, s54
	v_cmp_lt_u32_e64 s4, 1, v8
	v_cmp_lt_u32_e64 s5, 3, v8
	;; [unrolled: 1-line block ×6, first 2 shown]
	v_or_b32_e32 v28, 0x4800, v7
	v_add_nc_u32_e32 v30, 0x47f8, v7
	v_add_nc_u32_e32 v31, 0x47f0, v7
	;; [unrolled: 1-line block ×5, first 2 shown]
	v_dual_cndmask_b32 v7, v5, v6 :: v_dual_cndmask_b32 v8, v6, v5
	v_mov_b32_e32 v12, s55
	v_or_b32_e32 v26, 0x4000, v23
	v_and_or_b32 v36, v23, s16, 0x4000
	v_cndmask_b32_e64 v41, 0, 1, s52
	s_and_b32 s17, s14, s53
	s_add_u32 s53, s28, 4
	s_addc_u32 s54, s29, 0
	s_mul_i32 s55, s42, s42
	s_branch .LBB37_13
.LBB37_12:                              ;   in Loop: Header=BB37_13 Depth=1
	s_set_inst_prefetch_distance 0x2
	s_or_b32 exec_lo, exec_lo, s14
	s_waitcnt_vscnt null, 0x0
	s_barrier
	buffer_gl0_inv
	ds_load_b32 v42, v39 offset:18944
	v_add_nc_u32_e32 v38, v15, v38
	s_waitcnt lgkmcnt(0)
	s_barrier
	buffer_gl0_inv
	v_cmp_le_i32_e32 vcc_lo, s41, v42
	v_add_nc_u32_e32 v43, 0x80, v42
	s_cbranch_vccnz .LBB37_101
.LBB37_13:                              ; =>This Loop Header: Depth=1
                                        ;     Child Loop BB37_26 Depth 2
                                        ;       Child Loop BB37_38 Depth 3
                                        ;         Child Loop BB37_47 Depth 4
                                        ;         Child Loop BB37_52 Depth 4
	;; [unrolled: 1-line block ×3, first 2 shown]
                                        ;     Child Loop BB37_65 Depth 2
                                        ;       Child Loop BB37_70 Depth 3
                                        ;     Child Loop BB37_75 Depth 2
                                        ;     Child Loop BB37_98 Depth 2
	s_and_saveexec_b32 s14, s0
	s_cbranch_execz .LBB37_15
; %bb.14:                               ;   in Loop: Header=BB37_13 Depth=1
	ds_store_b32 v25, v39
.LBB37_15:                              ;   in Loop: Header=BB37_13 Depth=1
	s_or_b32 exec_lo, exec_lo, s14
	ds_store_2addr_stride64_b64 v23, v[11:12], v[11:12] offset1:4
	ds_store_2addr_stride64_b64 v23, v[11:12], v[11:12] offset0:8 offset1:12
	ds_store_b64 v23, v[11:12] offset:8192
	s_and_saveexec_b32 s14, s11
	s_delay_alu instid0(SALU_CYCLE_1)
	s_xor_b32 s14, exec_lo, s14
	s_cbranch_execz .LBB37_21
; %bb.16:                               ;   in Loop: Header=BB37_13 Depth=1
	v_mov_b32_e32 v10, v9
	ds_store_b64 v23, v[9:10] offset:10240
	s_and_saveexec_b32 s15, s12
	s_delay_alu instid0(SALU_CYCLE_1)
	s_xor_b32 s15, exec_lo, s15
	s_cbranch_execz .LBB37_20
; %bb.17:                               ;   in Loop: Header=BB37_13 Depth=1
	ds_store_b64 v23, v[9:10] offset:12288
	s_and_saveexec_b32 s16, s13
	s_delay_alu instid0(SALU_CYCLE_1)
	s_xor_b32 s16, exec_lo, s16
	s_cbranch_execz .LBB37_19
; %bb.18:                               ;   in Loop: Header=BB37_13 Depth=1
	v_mov_b32_e32 v10, v9
	ds_store_b64 v23, v[9:10] offset:14336
.LBB37_19:                              ;   in Loop: Header=BB37_13 Depth=1
	s_or_b32 exec_lo, exec_lo, s16
.LBB37_20:                              ;   in Loop: Header=BB37_13 Depth=1
	s_delay_alu instid0(SALU_CYCLE_1)
	s_or_b32 exec_lo, exec_lo, s15
.LBB37_21:                              ;   in Loop: Header=BB37_13 Depth=1
	s_delay_alu instid0(SALU_CYCLE_1)
	s_or_b32 exec_lo, exec_lo, s14
	s_and_saveexec_b32 s14, s1
	s_cbranch_execz .LBB37_23
; %bb.22:                               ;   in Loop: Header=BB37_13 Depth=1
	v_mov_b32_e32 v10, s41
	ds_store_b32 v39, v10 offset:18944
.LBB37_23:                              ;   in Loop: Header=BB37_13 Depth=1
	s_or_b32 exec_lo, exec_lo, s14
	v_mov_b32_e32 v10, s41
	s_and_not1_b32 vcc_lo, exec_lo, s17
	s_waitcnt vmcnt(0) lgkmcnt(0)
	s_barrier
	buffer_gl0_inv
	s_cbranch_vccnz .LBB37_60
; %bb.24:                               ;   in Loop: Header=BB37_13 Depth=1
	v_cmp_ne_u32_e64 s14, 0, v42
	v_mov_b32_e32 v10, s41
	s_mov_b32 s56, s51
	s_branch .LBB37_26
.LBB37_25:                              ;   in Loop: Header=BB37_26 Depth=2
	s_or_b32 exec_lo, exec_lo, s16
	s_add_i32 s56, s56, 16
	s_delay_alu instid0(SALU_CYCLE_1)
	s_cmp_lt_i32 s56, s50
	s_cbranch_scc0 .LBB37_60
.LBB37_26:                              ;   Parent Loop BB37_13 Depth=1
                                        ; =>  This Loop Header: Depth=2
                                        ;       Child Loop BB37_38 Depth 3
                                        ;         Child Loop BB37_47 Depth 4
                                        ;         Child Loop BB37_52 Depth 4
	;; [unrolled: 1-line block ×3, first 2 shown]
	v_add_nc_u32_e32 v13, s56, v22
	s_waitcnt_vscnt null, 0x0
	s_barrier
	buffer_gl0_inv
	v_cmp_gt_i32_e64 s15, s50, v13
	s_delay_alu instid0(VALU_DEP_1)
	s_and_saveexec_b32 s16, s15
	s_cbranch_execz .LBB37_30
; %bb.27:                               ;   in Loop: Header=BB37_26 Depth=2
	v_mov_b32_e32 v14, 0
	v_mov_b32_e32 v15, 0
	s_and_saveexec_b32 s57, s10
	s_cbranch_execz .LBB37_29
; %bb.28:                               ;   in Loop: Header=BB37_26 Depth=2
	v_mad_u64_u32 v[14:15], null, v13, s42, v[6:7]
	s_delay_alu instid0(VALU_DEP_1) | instskip(NEXT) | instid1(VALU_DEP_1)
	v_mad_u64_u32 v[15:16], null, v14, s42, v[5:6]
	v_ashrrev_i32_e32 v16, 31, v15
	s_delay_alu instid0(VALU_DEP_1) | instskip(NEXT) | instid1(VALU_DEP_1)
	v_lshlrev_b64 v[14:15], 3, v[15:16]
	v_add_co_u32 v14, vcc_lo, s26, v14
	s_delay_alu instid0(VALU_DEP_2)
	v_add_co_ci_u32_e32 v15, vcc_lo, s27, v15, vcc_lo
	global_load_b64 v[14:15], v[14:15], off
.LBB37_29:                              ;   in Loop: Header=BB37_26 Depth=2
	s_or_b32 exec_lo, exec_lo, s57
	s_waitcnt vmcnt(0)
	ds_store_b64 v26, v[14:15]
.LBB37_30:                              ;   in Loop: Header=BB37_26 Depth=2
	s_or_b32 exec_lo, exec_lo, s16
	v_mov_b32_e32 v15, 0
	v_ashrrev_i32_e32 v14, 31, v13
	s_waitcnt lgkmcnt(0)
	s_barrier
	buffer_gl0_inv
	s_and_saveexec_b32 s57, s15
	s_cbranch_execz .LBB37_57
; %bb.31:                               ;   in Loop: Header=BB37_26 Depth=2
	v_lshlrev_b64 v[18:19], 2, v[13:14]
	s_delay_alu instid0(VALU_DEP_1) | instskip(NEXT) | instid1(VALU_DEP_2)
	v_add_co_u32 v15, vcc_lo, s24, v18
	v_add_co_ci_u32_e32 v16, vcc_lo, s25, v19, vcc_lo
	s_and_b32 vcc_lo, exec_lo, s14
	global_load_b32 v15, v[15:16], off
	s_waitcnt vmcnt(0)
	v_subrev_nc_u32_e32 v16, s36, v15
	s_delay_alu instid0(VALU_DEP_1)
	v_ashrrev_i32_e32 v17, 31, v16
	s_cbranch_vccz .LBB37_59
; %bb.32:                               ;   in Loop: Header=BB37_26 Depth=2
	v_add_co_u32 v18, vcc_lo, s34, v18
	v_add_co_ci_u32_e32 v19, vcc_lo, s35, v19, vcc_lo
	global_load_b32 v15, v[18:19], off
	s_cbranch_execnz .LBB37_34
.LBB37_33:                              ;   in Loop: Header=BB37_26 Depth=2
	s_delay_alu instid0(VALU_DEP_1) | instskip(NEXT) | instid1(VALU_DEP_1)
	v_lshlrev_b64 v[18:19], 2, v[16:17]
	v_add_co_u32 v18, vcc_lo, s28, v18
	s_delay_alu instid0(VALU_DEP_2)
	v_add_co_ci_u32_e32 v19, vcc_lo, s29, v19, vcc_lo
	global_load_b32 v15, v[18:19], off
	s_waitcnt vmcnt(0)
	v_subrev_nc_u32_e32 v15, s37, v15
.LBB37_34:                              ;   in Loop: Header=BB37_26 Depth=2
	v_lshlrev_b64 v[16:17], 2, v[16:17]
	s_mov_b32 s58, exec_lo
	s_delay_alu instid0(VALU_DEP_1) | instskip(NEXT) | instid1(VALU_DEP_2)
	v_add_co_u32 v16, vcc_lo, s53, v16
	v_add_co_ci_u32_e32 v17, vcc_lo, s54, v17, vcc_lo
	global_load_b32 v16, v[16:17], off
	s_waitcnt vmcnt(0)
	v_subrev_nc_u32_e32 v44, s37, v16
	s_delay_alu instid0(VALU_DEP_1)
	v_cmpx_lt_i32_e64 v15, v44
	s_cbranch_execz .LBB37_56
; %bb.35:                               ;   in Loop: Header=BB37_26 Depth=2
	v_mad_u64_u32 v[16:17], null, s42, v15, v[5:6]
	v_mad_u64_u32 v[17:18], null, s55, v15, v[5:6]
	v_mov_b32_e32 v46, v15
	s_mov_b32 s59, 0
	s_delay_alu instid0(VALU_DEP_3)
	v_mul_lo_u32 v45, s42, v16
	s_branch .LBB37_38
.LBB37_36:                              ;   in Loop: Header=BB37_38 Depth=3
	s_or_b32 exec_lo, exec_lo, s62
	s_delay_alu instid0(SALU_CYCLE_1)
	s_or_b32 s60, s60, exec_lo
.LBB37_37:                              ;   in Loop: Header=BB37_38 Depth=3
	s_or_b32 exec_lo, exec_lo, s61
	v_add_nc_u32_e32 v15, 1, v15
	s_xor_b32 s16, s60, -1
	v_add_nc_u32_e32 v45, s55, v45
	v_add_nc_u32_e32 v17, s55, v17
	s_delay_alu instid0(VALU_DEP_3) | instskip(SKIP_1) | instid1(SALU_CYCLE_1)
	v_cmp_ge_i32_e32 vcc_lo, v15, v44
	s_or_b32 s16, s16, vcc_lo
	s_and_b32 s16, exec_lo, s16
	s_delay_alu instid0(SALU_CYCLE_1) | instskip(NEXT) | instid1(SALU_CYCLE_1)
	s_or_b32 s59, s16, s59
	s_and_not1_b32 exec_lo, exec_lo, s59
	s_cbranch_execz .LBB37_55
.LBB37_38:                              ;   Parent Loop BB37_13 Depth=1
                                        ;     Parent Loop BB37_26 Depth=2
                                        ; =>    This Loop Header: Depth=3
                                        ;         Child Loop BB37_47 Depth 4
                                        ;         Child Loop BB37_52 Depth 4
	;; [unrolled: 1-line block ×3, first 2 shown]
	v_ashrrev_i32_e32 v16, 31, v15
                                        ; implicit-def: $sgpr60
	s_delay_alu instid0(VALU_DEP_1) | instskip(NEXT) | instid1(VALU_DEP_1)
	v_lshlrev_b64 v[18:19], 2, v[15:16]
	v_add_co_u32 v18, vcc_lo, s30, v18
	s_delay_alu instid0(VALU_DEP_2) | instskip(SKIP_3) | instid1(VALU_DEP_1)
	v_add_co_ci_u32_e32 v19, vcc_lo, s31, v19, vcc_lo
	global_load_b32 v16, v[18:19], off
	s_waitcnt vmcnt(0)
	v_subrev_nc_u32_e32 v16, s37, v16
	v_cmp_lt_i32_e64 s16, v16, v42
	v_cmp_ge_i32_e32 vcc_lo, v16, v43
	s_delay_alu instid0(VALU_DEP_2) | instskip(NEXT) | instid1(SALU_CYCLE_1)
	s_or_b32 s16, s16, vcc_lo
	s_and_saveexec_b32 s61, s16
	s_delay_alu instid0(SALU_CYCLE_1)
	s_xor_b32 s16, exec_lo, s61
	s_cbranch_execz .LBB37_42
; %bb.39:                               ;   in Loop: Header=BB37_38 Depth=3
	s_mov_b32 s60, -1
	s_and_saveexec_b32 s61, vcc_lo
; %bb.40:                               ;   in Loop: Header=BB37_38 Depth=3
	v_min_i32_e32 v10, v16, v10
	v_mov_b32_e32 v46, v15
	s_xor_b32 s60, exec_lo, -1
; %bb.41:                               ;   in Loop: Header=BB37_38 Depth=3
	s_or_b32 exec_lo, exec_lo, s61
	s_delay_alu instid0(SALU_CYCLE_1)
	s_and_b32 s60, s60, exec_lo
                                        ; implicit-def: $vgpr16
.LBB37_42:                              ;   in Loop: Header=BB37_38 Depth=3
	s_and_not1_saveexec_b32 s61, s16
	s_cbranch_execz .LBB37_37
; %bb.43:                               ;   in Loop: Header=BB37_38 Depth=3
	v_sub_nc_u32_e32 v16, v16, v42
	s_delay_alu instid0(VALU_DEP_1)
	v_lshlrev_b32_e32 v18, 2, v16
	ds_store_b32 v18, v40 offset:18432
	s_and_saveexec_b32 s62, s10
	s_cbranch_execz .LBB37_36
; %bb.44:                               ;   in Loop: Header=BB37_38 Depth=3
	v_cmp_ne_u32_e64 s16, 1, v41
	s_and_not1_b32 vcc_lo, exec_lo, s40
	s_cbranch_vccnz .LBB37_49
; %bb.45:                               ;   in Loop: Header=BB37_38 Depth=3
	v_mov_b32_e32 v18, 0
	v_mov_b32_e32 v19, 0
	s_and_b32 vcc_lo, exec_lo, s16
	s_cbranch_vccnz .LBB37_48
; %bb.46:                               ;   in Loop: Header=BB37_38 Depth=3
	v_dual_mov_b32 v20, v45 :: v_dual_mov_b32 v47, v0
	s_mov_b32 s16, s42
	.p2align	6
.LBB37_47:                              ;   Parent Loop BB37_13 Depth=1
                                        ;     Parent Loop BB37_26 Depth=2
                                        ;       Parent Loop BB37_38 Depth=3
                                        ; =>      This Inner Loop Header: Depth=4
	s_delay_alu instid0(VALU_DEP_1) | instskip(SKIP_3) | instid1(SALU_CYCLE_1)
	v_ashrrev_i32_e32 v21, 31, v20
	ds_load_b64 v[50:51], v47
	v_add_nc_u32_e32 v47, 32, v47
	s_add_i32 s16, s16, -1
	s_cmp_lg_u32 s16, 0
	v_lshlrev_b64 v[48:49], 3, v[20:21]
	v_add_nc_u32_e32 v20, 1, v20
	s_delay_alu instid0(VALU_DEP_2) | instskip(NEXT) | instid1(VALU_DEP_3)
	v_add_co_u32 v48, vcc_lo, s48, v48
	v_add_co_ci_u32_e32 v49, vcc_lo, s49, v49, vcc_lo
	global_load_b64 v[48:49], v[48:49], off
	s_waitcnt vmcnt(0) lgkmcnt(0)
	v_fma_f64 v[18:19], v[50:51], v[48:49], v[18:19]
	s_cbranch_scc1 .LBB37_47
.LBB37_48:                              ;   in Loop: Header=BB37_38 Depth=3
	s_cbranch_execz .LBB37_50
	s_branch .LBB37_53
.LBB37_49:                              ;   in Loop: Header=BB37_38 Depth=3
                                        ; implicit-def: $vgpr18_vgpr19
.LBB37_50:                              ;   in Loop: Header=BB37_38 Depth=3
	v_mov_b32_e32 v18, 0
	v_mov_b32_e32 v19, 0
	s_and_not1_b32 vcc_lo, exec_lo, s52
	s_cbranch_vccnz .LBB37_53
; %bb.51:                               ;   in Loop: Header=BB37_38 Depth=3
	v_dual_mov_b32 v47, v36 :: v_dual_mov_b32 v20, v17
	s_mov_b32 s16, s42
	.p2align	6
.LBB37_52:                              ;   Parent Loop BB37_13 Depth=1
                                        ;     Parent Loop BB37_26 Depth=2
                                        ;       Parent Loop BB37_38 Depth=3
                                        ; =>      This Inner Loop Header: Depth=4
	s_delay_alu instid0(VALU_DEP_1) | instskip(SKIP_3) | instid1(SALU_CYCLE_1)
	v_ashrrev_i32_e32 v21, 31, v20
	ds_load_b64 v[50:51], v47
	v_add_nc_u32_e32 v47, 8, v47
	s_add_i32 s16, s16, -1
	s_cmp_eq_u32 s16, 0
	v_lshlrev_b64 v[48:49], 3, v[20:21]
	v_add_nc_u32_e32 v20, s42, v20
	s_delay_alu instid0(VALU_DEP_2) | instskip(NEXT) | instid1(VALU_DEP_3)
	v_add_co_u32 v48, vcc_lo, s48, v48
	v_add_co_ci_u32_e32 v49, vcc_lo, s49, v49, vcc_lo
	global_load_b64 v[48:49], v[48:49], off
	s_waitcnt vmcnt(0) lgkmcnt(0)
	v_fma_f64 v[18:19], v[50:51], v[48:49], v[18:19]
	s_cbranch_scc0 .LBB37_52
.LBB37_53:                              ;   in Loop: Header=BB37_38 Depth=3
	s_delay_alu instid0(VALU_DEP_1) | instskip(SKIP_2) | instid1(VALU_DEP_1)
	v_mul_f64 v[18:19], v[1:2], v[18:19]
	v_lshlrev_b32_e32 v16, 4, v16
	s_mov_b32 s16, 0
	v_or3_b32 v16, v16, v24, v5
	s_delay_alu instid0(VALU_DEP_1)
	v_lshlrev_b32_e32 v16, 3, v16
	ds_load_b64 v[20:21], v16
.LBB37_54:                              ;   Parent Loop BB37_13 Depth=1
                                        ;     Parent Loop BB37_26 Depth=2
                                        ;       Parent Loop BB37_38 Depth=3
                                        ; =>      This Inner Loop Header: Depth=4
	s_waitcnt lgkmcnt(0)
	v_add_f64 v[47:48], v[20:21], v[18:19]
	ds_cmpstore_rtn_b64 v[47:48], v16, v[47:48], v[20:21]
	s_waitcnt lgkmcnt(0)
	v_cmp_eq_u64_e32 vcc_lo, v[47:48], v[20:21]
	v_dual_mov_b32 v20, v47 :: v_dual_mov_b32 v21, v48
	s_or_b32 s16, vcc_lo, s16
	s_delay_alu instid0(SALU_CYCLE_1)
	s_and_not1_b32 exec_lo, exec_lo, s16
	s_cbranch_execnz .LBB37_54
	s_branch .LBB37_36
.LBB37_55:                              ;   in Loop: Header=BB37_26 Depth=2
	s_or_b32 exec_lo, exec_lo, s59
	v_mov_b32_e32 v15, v46
.LBB37_56:                              ;   in Loop: Header=BB37_26 Depth=2
	s_or_b32 exec_lo, exec_lo, s58
.LBB37_57:                              ;   in Loop: Header=BB37_26 Depth=2
	s_delay_alu instid0(SALU_CYCLE_1)
	s_or_b32 exec_lo, exec_lo, s57
	s_waitcnt lgkmcnt(0)
	s_barrier
	buffer_gl0_inv
	s_and_saveexec_b32 s16, s15
	s_cbranch_execz .LBB37_25
; %bb.58:                               ;   in Loop: Header=BB37_26 Depth=2
	v_lshlrev_b64 v[13:14], 2, v[13:14]
	s_delay_alu instid0(VALU_DEP_1) | instskip(NEXT) | instid1(VALU_DEP_2)
	v_add_co_u32 v13, vcc_lo, s34, v13
	v_add_co_ci_u32_e32 v14, vcc_lo, s35, v14, vcc_lo
	global_store_b32 v[13:14], v15, off
	s_branch .LBB37_25
.LBB37_59:                              ;   in Loop: Header=BB37_26 Depth=2
                                        ; implicit-def: $vgpr15
	s_branch .LBB37_33
.LBB37_60:                              ;   in Loop: Header=BB37_13 Depth=1
	s_and_not1_b32 vcc_lo, exec_lo, s33
	s_cbranch_vccnz .LBB37_73
; %bb.61:                               ;   in Loop: Header=BB37_13 Depth=1
	s_load_b64 s[14:15], s[22:23], 0x0
	s_mov_b32 s16, exec_lo
	s_waitcnt lgkmcnt(0)
	v_add_nc_u32_e32 v13, s14, v27
	s_sub_i32 s56, s15, s39
	s_delay_alu instid0(VALU_DEP_1) | instid1(SALU_CYCLE_1)
	v_cmpx_gt_i32_e64 s56, v13
	s_cbranch_execz .LBB37_72
; %bb.62:                               ;   in Loop: Header=BB37_13 Depth=1
	s_mov_b32 s57, 0
	s_branch .LBB37_65
.LBB37_63:                              ;   in Loop: Header=BB37_65 Depth=2
	s_or_b32 exec_lo, exec_lo, s58
	s_delay_alu instid0(SALU_CYCLE_1)
	s_or_b32 s14, s14, exec_lo
.LBB37_64:                              ;   in Loop: Header=BB37_65 Depth=2
	s_or_b32 exec_lo, exec_lo, s15
	v_add_nc_u32_e32 v13, 16, v13
	s_xor_b32 s14, s14, -1
	s_delay_alu instid0(VALU_DEP_1) | instskip(SKIP_1) | instid1(SALU_CYCLE_1)
	v_cmp_le_i32_e32 vcc_lo, s56, v13
	s_or_b32 s14, vcc_lo, s14
	s_and_b32 s14, exec_lo, s14
	s_delay_alu instid0(SALU_CYCLE_1) | instskip(NEXT) | instid1(SALU_CYCLE_1)
	s_or_b32 s57, s14, s57
	s_and_not1_b32 exec_lo, exec_lo, s57
	s_cbranch_execz .LBB37_71
.LBB37_65:                              ;   Parent Loop BB37_13 Depth=1
                                        ; =>  This Loop Header: Depth=2
                                        ;       Child Loop BB37_70 Depth 3
	v_ashrrev_i32_e32 v14, 31, v13
	s_delay_alu instid0(VALU_DEP_1) | instskip(NEXT) | instid1(VALU_DEP_1)
	v_lshlrev_b64 v[14:15], 2, v[13:14]
	v_add_co_u32 v14, vcc_lo, s18, v14
	s_delay_alu instid0(VALU_DEP_2) | instskip(SKIP_3) | instid1(VALU_DEP_1)
	v_add_co_ci_u32_e32 v15, vcc_lo, s19, v15, vcc_lo
	global_load_b32 v14, v[14:15], off
	s_waitcnt vmcnt(0)
	v_subrev_nc_u32_e32 v14, s39, v14
	v_cmp_lt_i32_e64 s14, v14, v42
	v_cmp_ge_i32_e64 s15, v14, v43
	v_cmp_lt_i32_e32 vcc_lo, v14, v43
	s_delay_alu instid0(VALU_DEP_2) | instskip(NEXT) | instid1(SALU_CYCLE_1)
	s_or_b32 s15, s14, s15
                                        ; implicit-def: $sgpr14
	s_and_saveexec_b32 s58, s15
	s_delay_alu instid0(SALU_CYCLE_1)
	s_xor_b32 s15, exec_lo, s58
; %bb.66:                               ;   in Loop: Header=BB37_65 Depth=2
	v_min_i32_e32 v14, v14, v10
	s_and_b32 s14, vcc_lo, exec_lo
	s_delay_alu instid0(VALU_DEP_1)
	v_cndmask_b32_e32 v10, v14, v10, vcc_lo
                                        ; implicit-def: $vgpr14
; %bb.67:                               ;   in Loop: Header=BB37_65 Depth=2
	s_and_not1_saveexec_b32 s15, s15
	s_cbranch_execz .LBB37_64
; %bb.68:                               ;   in Loop: Header=BB37_65 Depth=2
	v_sub_nc_u32_e32 v16, v14, v42
	s_delay_alu instid0(VALU_DEP_1)
	v_lshlrev_b32_e32 v14, 2, v16
	ds_store_b32 v14, v40 offset:18432
	s_and_saveexec_b32 s58, s10
	s_cbranch_execz .LBB37_63
; %bb.69:                               ;   in Loop: Header=BB37_65 Depth=2
	v_mad_u64_u32 v[14:15], null, v13, s42, v[7:8]
	v_lshlrev_b32_e32 v16, 4, v16
	s_mov_b32 s59, 0
	s_delay_alu instid0(VALU_DEP_1) | instskip(NEXT) | instid1(VALU_DEP_3)
	v_or3_b32 v16, v16, v24, v5
	v_mad_u64_u32 v[17:18], null, v14, s42, v[8:9]
	s_delay_alu instid0(VALU_DEP_1) | instskip(NEXT) | instid1(VALU_DEP_1)
	v_ashrrev_i32_e32 v18, 31, v17
	v_lshlrev_b64 v[14:15], 3, v[17:18]
	s_delay_alu instid0(VALU_DEP_4)
	v_lshlrev_b32_e32 v18, 3, v16
	ds_load_b64 v[16:17], v18
	v_add_co_u32 v14, vcc_lo, s20, v14
	v_add_co_ci_u32_e32 v15, vcc_lo, s21, v15, vcc_lo
	global_load_b64 v[14:15], v[14:15], off
	s_waitcnt vmcnt(0)
	v_mul_f64 v[14:15], v[3:4], v[14:15]
.LBB37_70:                              ;   Parent Loop BB37_13 Depth=1
                                        ;     Parent Loop BB37_65 Depth=2
                                        ; =>    This Inner Loop Header: Depth=3
	s_waitcnt lgkmcnt(0)
	s_delay_alu instid0(VALU_DEP_1)
	v_add_f64 v[19:20], v[16:17], v[14:15]
	ds_cmpstore_rtn_b64 v[19:20], v18, v[19:20], v[16:17]
	s_waitcnt lgkmcnt(0)
	v_cmp_eq_u64_e32 vcc_lo, v[19:20], v[16:17]
	v_dual_mov_b32 v16, v19 :: v_dual_mov_b32 v17, v20
	s_or_b32 s59, vcc_lo, s59
	s_delay_alu instid0(SALU_CYCLE_1)
	s_and_not1_b32 exec_lo, exec_lo, s59
	s_cbranch_execnz .LBB37_70
	s_branch .LBB37_63
.LBB37_71:                              ;   in Loop: Header=BB37_13 Depth=1
	s_or_b32 exec_lo, exec_lo, s57
.LBB37_72:                              ;   in Loop: Header=BB37_13 Depth=1
	s_delay_alu instid0(SALU_CYCLE_1)
	s_or_b32 exec_lo, exec_lo, s16
.LBB37_73:                              ;   in Loop: Header=BB37_13 Depth=1
	s_and_saveexec_b32 s14, s2
	s_cbranch_execz .LBB37_78
; %bb.74:                               ;   in Loop: Header=BB37_13 Depth=1
	s_mov_b32 s16, exec_lo
	s_brev_b32 s15, -2
.LBB37_75:                              ;   Parent Loop BB37_13 Depth=1
                                        ; =>  This Inner Loop Header: Depth=2
	s_ctz_i32_b32 s56, s16
	s_delay_alu instid0(SALU_CYCLE_1) | instskip(SKIP_1) | instid1(SALU_CYCLE_1)
	v_readlane_b32 s57, v10, s56
	s_lshl_b32 s56, 1, s56
	s_and_not1_b32 s16, s16, s56
	s_delay_alu instid0(VALU_DEP_1)
	s_min_i32 s15, s15, s57
	s_cmp_lg_u32 s16, 0
	s_cbranch_scc1 .LBB37_75
; %bb.76:                               ;   in Loop: Header=BB37_13 Depth=1
	v_mbcnt_lo_u32_b32 v10, exec_lo, 0
	s_mov_b32 s16, exec_lo
	s_delay_alu instid0(VALU_DEP_1)
	v_cmpx_eq_u32_e32 0, v10
	s_xor_b32 s16, exec_lo, s16
	s_cbranch_execz .LBB37_78
; %bb.77:                               ;   in Loop: Header=BB37_13 Depth=1
	v_mov_b32_e32 v10, s15
	ds_min_i32 v39, v10 offset:18944
.LBB37_78:                              ;   in Loop: Header=BB37_13 Depth=1
	s_or_b32 exec_lo, exec_lo, s14
	s_waitcnt lgkmcnt(0)
	s_waitcnt_vscnt null, 0x0
	s_barrier
	buffer_gl0_inv
	ds_load_b32 v10, v28
	s_waitcnt lgkmcnt(0)
	s_barrier
	buffer_gl0_inv
	s_and_saveexec_b32 s14, s3
	s_cbranch_execz .LBB37_80
; %bb.79:                               ;   in Loop: Header=BB37_13 Depth=1
	ds_load_b32 v13, v29
	s_waitcnt lgkmcnt(0)
	v_add_nc_u32_e32 v10, v13, v10
.LBB37_80:                              ;   in Loop: Header=BB37_13 Depth=1
	s_or_b32 exec_lo, exec_lo, s14
	s_barrier
	buffer_gl0_inv
	ds_store_b32 v28, v10
	s_waitcnt lgkmcnt(0)
	s_barrier
	buffer_gl0_inv
	s_and_saveexec_b32 s14, s4
	s_cbranch_execz .LBB37_82
; %bb.81:                               ;   in Loop: Header=BB37_13 Depth=1
	ds_load_b32 v13, v30
	s_waitcnt lgkmcnt(0)
	v_add_nc_u32_e32 v10, v13, v10
.LBB37_82:                              ;   in Loop: Header=BB37_13 Depth=1
	s_or_b32 exec_lo, exec_lo, s14
	s_barrier
	buffer_gl0_inv
	ds_store_b32 v28, v10
	;; [unrolled: 14-line block ×7, first 2 shown]
	s_waitcnt lgkmcnt(0)
	s_barrier
	buffer_gl0_inv
	ds_load_b32 v15, v39 offset:18940
	v_mov_b32_e32 v13, 0
	s_and_saveexec_b32 s14, s43
	s_cbranch_execz .LBB37_94
; %bb.93:                               ;   in Loop: Header=BB37_13 Depth=1
	ds_load_b32 v13, v29
.LBB37_94:                              ;   in Loop: Header=BB37_13 Depth=1
	s_or_b32 exec_lo, exec_lo, s14
	s_waitcnt lgkmcnt(0)
	v_cmp_eq_u32_e32 vcc_lo, v10, v13
	s_barrier
	buffer_gl0_inv
	s_and_b32 s15, s43, vcc_lo
	s_delay_alu instid0(SALU_CYCLE_1)
	s_and_saveexec_b32 s14, s15
	s_cbranch_execz .LBB37_96
; %bb.95:                               ;   in Loop: Header=BB37_13 Depth=1
	ds_store_b32 v28, v39
.LBB37_96:                              ;   in Loop: Header=BB37_13 Depth=1
	s_or_b32 exec_lo, exec_lo, s14
	v_dual_mov_b32 v17, v37 :: v_dual_add_nc_u32 v10, -1, v38
	v_dual_mov_b32 v19, v22 :: v_dual_add_nc_u32 v16, s38, v42
	v_mov_b32_e32 v18, v23
	s_mov_b32 s14, 0
	s_waitcnt lgkmcnt(0)
	s_barrier
	buffer_gl0_inv
	s_set_inst_prefetch_distance 0x1
	s_branch .LBB37_98
	.p2align	6
.LBB37_97:                              ;   in Loop: Header=BB37_98 Depth=2
	s_or_b32 exec_lo, exec_lo, s15
	v_add_nc_u32_e32 v13, 16, v19
	v_cmp_lt_u32_e32 vcc_lo, 0x6f, v19
	v_add_nc_u32_e32 v18, 0x800, v18
	v_add_nc_u32_e32 v17, 64, v17
	s_delay_alu instid0(VALU_DEP_4) | instskip(SKIP_1) | instid1(SALU_CYCLE_1)
	v_mov_b32_e32 v19, v13
	s_or_b32 s14, vcc_lo, s14
	s_and_not1_b32 exec_lo, exec_lo, s14
	s_cbranch_execz .LBB37_12
.LBB37_98:                              ;   Parent Loop BB37_13 Depth=1
                                        ; =>  This Inner Loop Header: Depth=2
	ds_load_b32 v13, v17
	s_mov_b32 s15, exec_lo
	s_waitcnt lgkmcnt(0)
	v_cmpx_ne_u32_e32 0, v13
	s_cbranch_execz .LBB37_97
; %bb.99:                               ;   in Loop: Header=BB37_98 Depth=2
	v_add_nc_u32_e32 v13, v10, v13
	s_delay_alu instid0(VALU_DEP_1) | instskip(NEXT) | instid1(VALU_DEP_1)
	v_ashrrev_i32_e32 v14, 31, v13
	v_lshlrev_b64 v[20:21], 2, v[13:14]
	v_add_nc_u32_e32 v14, v16, v19
	s_delay_alu instid0(VALU_DEP_2) | instskip(NEXT) | instid1(VALU_DEP_3)
	v_add_co_u32 v20, vcc_lo, s44, v20
	v_add_co_ci_u32_e32 v21, vcc_lo, s45, v21, vcc_lo
	global_store_b32 v[20:21], v14, off
	s_and_b32 exec_lo, exec_lo, s10
	s_cbranch_execz .LBB37_97
; %bb.100:                              ;   in Loop: Header=BB37_98 Depth=2
	v_mad_u64_u32 v[20:21], null, v13, s42, v[7:8]
	s_delay_alu instid0(VALU_DEP_1) | instskip(SKIP_2) | instid1(VALU_DEP_1)
	v_mad_u64_u32 v[13:14], null, v20, s42, v[8:9]
	ds_load_b64 v[20:21], v18
	v_ashrrev_i32_e32 v14, 31, v13
	v_lshlrev_b64 v[13:14], 3, v[13:14]
	s_delay_alu instid0(VALU_DEP_1) | instskip(NEXT) | instid1(VALU_DEP_2)
	v_add_co_u32 v13, vcc_lo, s46, v13
	v_add_co_ci_u32_e32 v14, vcc_lo, s47, v14, vcc_lo
	s_waitcnt lgkmcnt(0)
	global_store_b64 v[13:14], v[20:21], off
	s_branch .LBB37_97
.LBB37_101:
	s_endpgm
	.section	.rodata,"a",@progbits
	.p2align	6, 0x0
	.amdhsa_kernel _ZN9rocsparseL38bsrgemm_block_per_row_atomic_multipassILj256ELj128ELj4EiidEEv20rocsparse_direction_T3_S2_PKS2_S4_NS_24const_host_device_scalarIT4_EEPKT2_S4_PKS6_SA_S4_SC_S7_SA_S4_SC_SA_PS2_PS6_PS8_21rocsparse_index_base_SG_SG_SG_bbb
		.amdhsa_group_segment_fixed_size 18952
		.amdhsa_private_segment_fixed_size 0
		.amdhsa_kernarg_size 172
		.amdhsa_user_sgpr_count 15
		.amdhsa_user_sgpr_dispatch_ptr 0
		.amdhsa_user_sgpr_queue_ptr 0
		.amdhsa_user_sgpr_kernarg_segment_ptr 1
		.amdhsa_user_sgpr_dispatch_id 0
		.amdhsa_user_sgpr_private_segment_size 0
		.amdhsa_wavefront_size32 1
		.amdhsa_uses_dynamic_stack 0
		.amdhsa_enable_private_segment 0
		.amdhsa_system_sgpr_workgroup_id_x 1
		.amdhsa_system_sgpr_workgroup_id_y 0
		.amdhsa_system_sgpr_workgroup_id_z 0
		.amdhsa_system_sgpr_workgroup_info 0
		.amdhsa_system_vgpr_workitem_id 0
		.amdhsa_next_free_vgpr 52
		.amdhsa_next_free_sgpr 63
		.amdhsa_reserve_vcc 1
		.amdhsa_float_round_mode_32 0
		.amdhsa_float_round_mode_16_64 0
		.amdhsa_float_denorm_mode_32 3
		.amdhsa_float_denorm_mode_16_64 3
		.amdhsa_dx10_clamp 1
		.amdhsa_ieee_mode 1
		.amdhsa_fp16_overflow 0
		.amdhsa_workgroup_processor_mode 1
		.amdhsa_memory_ordered 1
		.amdhsa_forward_progress 0
		.amdhsa_shared_vgpr_count 0
		.amdhsa_exception_fp_ieee_invalid_op 0
		.amdhsa_exception_fp_denorm_src 0
		.amdhsa_exception_fp_ieee_div_zero 0
		.amdhsa_exception_fp_ieee_overflow 0
		.amdhsa_exception_fp_ieee_underflow 0
		.amdhsa_exception_fp_ieee_inexact 0
		.amdhsa_exception_int_div_zero 0
	.end_amdhsa_kernel
	.section	.text._ZN9rocsparseL38bsrgemm_block_per_row_atomic_multipassILj256ELj128ELj4EiidEEv20rocsparse_direction_T3_S2_PKS2_S4_NS_24const_host_device_scalarIT4_EEPKT2_S4_PKS6_SA_S4_SC_S7_SA_S4_SC_SA_PS2_PS6_PS8_21rocsparse_index_base_SG_SG_SG_bbb,"axG",@progbits,_ZN9rocsparseL38bsrgemm_block_per_row_atomic_multipassILj256ELj128ELj4EiidEEv20rocsparse_direction_T3_S2_PKS2_S4_NS_24const_host_device_scalarIT4_EEPKT2_S4_PKS6_SA_S4_SC_S7_SA_S4_SC_SA_PS2_PS6_PS8_21rocsparse_index_base_SG_SG_SG_bbb,comdat
.Lfunc_end37:
	.size	_ZN9rocsparseL38bsrgemm_block_per_row_atomic_multipassILj256ELj128ELj4EiidEEv20rocsparse_direction_T3_S2_PKS2_S4_NS_24const_host_device_scalarIT4_EEPKT2_S4_PKS6_SA_S4_SC_S7_SA_S4_SC_SA_PS2_PS6_PS8_21rocsparse_index_base_SG_SG_SG_bbb, .Lfunc_end37-_ZN9rocsparseL38bsrgemm_block_per_row_atomic_multipassILj256ELj128ELj4EiidEEv20rocsparse_direction_T3_S2_PKS2_S4_NS_24const_host_device_scalarIT4_EEPKT2_S4_PKS6_SA_S4_SC_S7_SA_S4_SC_SA_PS2_PS6_PS8_21rocsparse_index_base_SG_SG_SG_bbb
                                        ; -- End function
	.section	.AMDGPU.csdata,"",@progbits
; Kernel info:
; codeLenInByte = 3656
; NumSgprs: 65
; NumVgprs: 52
; ScratchSize: 0
; MemoryBound: 0
; FloatMode: 240
; IeeeMode: 1
; LDSByteSize: 18952 bytes/workgroup (compile time only)
; SGPRBlocks: 8
; VGPRBlocks: 6
; NumSGPRsForWavesPerEU: 65
; NumVGPRsForWavesPerEU: 52
; Occupancy: 12
; WaveLimiterHint : 1
; COMPUTE_PGM_RSRC2:SCRATCH_EN: 0
; COMPUTE_PGM_RSRC2:USER_SGPR: 15
; COMPUTE_PGM_RSRC2:TRAP_HANDLER: 0
; COMPUTE_PGM_RSRC2:TGID_X_EN: 1
; COMPUTE_PGM_RSRC2:TGID_Y_EN: 0
; COMPUTE_PGM_RSRC2:TGID_Z_EN: 0
; COMPUTE_PGM_RSRC2:TIDIG_COMP_CNT: 0
	.section	.text._ZN9rocsparseL23bsrgemm_fill_wf_per_rowILj256ELj64ELj8ELj137ELj8EiidEEv20rocsparse_direction_T5_S2_S2_PKS2_S4_NS_24const_host_device_scalarIT6_EEPKT4_S4_PKS6_SA_S4_SC_S7_SA_S4_SC_SA_PS2_PS6_21rocsparse_index_base_SF_SF_SF_bbb,"axG",@progbits,_ZN9rocsparseL23bsrgemm_fill_wf_per_rowILj256ELj64ELj8ELj137ELj8EiidEEv20rocsparse_direction_T5_S2_S2_PKS2_S4_NS_24const_host_device_scalarIT6_EEPKT4_S4_PKS6_SA_S4_SC_S7_SA_S4_SC_SA_PS2_PS6_21rocsparse_index_base_SF_SF_SF_bbb,comdat
	.globl	_ZN9rocsparseL23bsrgemm_fill_wf_per_rowILj256ELj64ELj8ELj137ELj8EiidEEv20rocsparse_direction_T5_S2_S2_PKS2_S4_NS_24const_host_device_scalarIT6_EEPKT4_S4_PKS6_SA_S4_SC_S7_SA_S4_SC_SA_PS2_PS6_21rocsparse_index_base_SF_SF_SF_bbb ; -- Begin function _ZN9rocsparseL23bsrgemm_fill_wf_per_rowILj256ELj64ELj8ELj137ELj8EiidEEv20rocsparse_direction_T5_S2_S2_PKS2_S4_NS_24const_host_device_scalarIT6_EEPKT4_S4_PKS6_SA_S4_SC_S7_SA_S4_SC_SA_PS2_PS6_21rocsparse_index_base_SF_SF_SF_bbb
	.p2align	8
	.type	_ZN9rocsparseL23bsrgemm_fill_wf_per_rowILj256ELj64ELj8ELj137ELj8EiidEEv20rocsparse_direction_T5_S2_S2_PKS2_S4_NS_24const_host_device_scalarIT6_EEPKT4_S4_PKS6_SA_S4_SC_S7_SA_S4_SC_SA_PS2_PS6_21rocsparse_index_base_SF_SF_SF_bbb,@function
_ZN9rocsparseL23bsrgemm_fill_wf_per_rowILj256ELj64ELj8ELj137ELj8EiidEEv20rocsparse_direction_T5_S2_S2_PKS2_S4_NS_24const_host_device_scalarIT6_EEPKT4_S4_PKS6_SA_S4_SC_S7_SA_S4_SC_SA_PS2_PS6_21rocsparse_index_base_SF_SF_SF_bbb: ; @_ZN9rocsparseL23bsrgemm_fill_wf_per_rowILj256ELj64ELj8ELj137ELj8EiidEEv20rocsparse_direction_T5_S2_S2_PKS2_S4_NS_24const_host_device_scalarIT6_EEPKT4_S4_PKS6_SA_S4_SC_S7_SA_S4_SC_SA_PS2_PS6_21rocsparse_index_base_SF_SF_SF_bbb
; %bb.0:
	s_clause 0x2
	s_load_b32 s6, s[0:1], 0xa0
	s_load_b64 s[4:5], s[0:1], 0x20
	s_load_b64 s[2:3], s[0:1], 0x58
	s_waitcnt lgkmcnt(0)
	s_and_b32 s8, 1, s6
	s_bitcmp1_b32 s6, 16
	s_cselect_b32 s7, -1, 0
	s_cmp_eq_u32 s8, 1
	s_cselect_b32 s13, -1, 0
	s_delay_alu instid0(SALU_CYCLE_1)
	s_and_b32 s8, s13, exec_lo
	s_cselect_b32 s9, s5, 0
	s_cselect_b32 s8, s4, 0
	s_xor_b32 s10, s13, -1
	v_dual_mov_b32 v5, s8 :: v_dual_mov_b32 v6, s9
	s_or_b32 s10, s10, s7
	s_delay_alu instid0(SALU_CYCLE_1)
	s_and_b32 vcc_lo, exec_lo, s10
	s_cbranch_vccnz .LBB38_2
; %bb.1:
	v_dual_mov_b32 v1, s4 :: v_dual_mov_b32 v2, s5
	flat_load_b64 v[5:6], v[1:2]
.LBB38_2:
	s_load_b128 s[40:43], s[0:1], 0x90
	s_bitcmp1_b32 s6, 8
	s_cselect_b32 s12, -1, 0
	s_delay_alu instid0(SALU_CYCLE_1)
	s_and_b32 s4, s12, exec_lo
	s_cselect_b32 s5, s3, 0
	s_cselect_b32 s4, s2, 0
	s_xor_b32 s6, s12, -1
	v_dual_mov_b32 v1, s4 :: v_dual_mov_b32 v2, s5
	s_or_b32 s6, s6, s7
	s_delay_alu instid0(SALU_CYCLE_1)
	s_and_b32 vcc_lo, exec_lo, s6
	s_cbranch_vccnz .LBB38_4
; %bb.3:
	v_dual_mov_b32 v1, s2 :: v_dual_mov_b32 v2, s3
	flat_load_b64 v[1:2], v[1:2]
.LBB38_4:
	s_clause 0x4
	s_load_b128 s[36:39], s[0:1], 0x80
	s_load_b256 s[16:23], s[0:1], 0x60
	s_load_b128 s[44:47], s[0:1], 0x48
	s_load_b256 s[4:11], s[0:1], 0x0
	s_load_b256 s[24:31], s[0:1], 0x28
	v_lshrrev_b32_e32 v8, 6, v0
	v_and_b32_e32 v7, 63, v0
	s_mov_b32 s0, exec_lo
	s_delay_alu instid0(VALU_DEP_2) | instskip(NEXT) | instid1(VALU_DEP_2)
	v_lshl_or_b32 v28, v8, 5, 0x4000
	v_cmpx_gt_u32_e32 8, v7
	s_cbranch_execz .LBB38_6
; %bb.5:
	s_delay_alu instid0(VALU_DEP_2)
	v_lshl_add_u32 v3, v7, 2, v28
	s_waitcnt lgkmcnt(0)
	v_mov_b32_e32 v4, s6
	ds_store_b32 v3, v4
.LBB38_6:
	s_or_b32 exec_lo, exec_lo, s0
	v_mov_b32_e32 v3, 0
	v_lshlrev_b32_e32 v29, 3, v7
	v_or_b32_e32 v9, 0xffffffc0, v7
	s_mov_b32 s0, 0
	s_delay_alu instid0(VALU_DEP_3) | instskip(NEXT) | instid1(VALU_DEP_3)
	v_mov_b32_e32 v4, v3
	v_lshl_or_b32 v10, v8, 12, v29
.LBB38_7:                               ; =>This Inner Loop Header: Depth=1
	s_delay_alu instid0(VALU_DEP_3) | instskip(SKIP_4) | instid1(SALU_CYCLE_1)
	v_add_nc_u32_e32 v9, 64, v9
	ds_store_b64 v10, v[3:4]
	v_add_nc_u32_e32 v10, 0x200, v10
	v_cmp_lt_u32_e32 vcc_lo, 0x1bf, v9
	s_or_b32 s0, vcc_lo, s0
	s_and_not1_b32 exec_lo, exec_lo, s0
	s_cbranch_execnz .LBB38_7
; %bb.8:
	s_or_b32 exec_lo, exec_lo, s0
	v_lshl_or_b32 v3, s15, 2, v8
	s_waitcnt vmcnt(0) lgkmcnt(0)
	s_barrier
	buffer_gl0_inv
	s_mov_b32 s0, exec_lo
	v_cmpx_gt_i32_e64 s5, v3
	s_cbranch_execz .LBB38_92
; %bb.9:
	s_cmp_eq_u64 s[10:11], 0
	s_cbranch_scc1 .LBB38_11
; %bb.10:
	s_load_b32 s0, s[8:9], 0x0
	s_waitcnt lgkmcnt(0)
	v_add_nc_u32_e32 v3, s0, v3
	s_delay_alu instid0(VALU_DEP_1) | instskip(NEXT) | instid1(VALU_DEP_1)
	v_ashrrev_i32_e32 v4, 31, v3
	v_lshlrev_b64 v[3:4], 2, v[3:4]
	s_delay_alu instid0(VALU_DEP_1) | instskip(NEXT) | instid1(VALU_DEP_2)
	v_add_co_u32 v3, vcc_lo, s10, v3
	v_add_co_ci_u32_e32 v4, vcc_lo, s11, v4, vcc_lo
	global_load_b32 v3, v[3:4], off
.LBB38_11:
	s_waitcnt vmcnt(0)
	v_ashrrev_i32_e32 v4, 31, v3
	v_lshlrev_b32_e32 v8, 6, v0
	v_and_b32_e32 v9, 7, v0
	v_lshrrev_b32_e32 v10, 3, v7
	s_and_not1_b32 vcc_lo, exec_lo, s13
	v_lshlrev_b64 v[3:4], 2, v[3:4]
	v_and_b32_e32 v27, 0x3000, v8
	s_cbranch_vccnz .LBB38_46
; %bb.12:
	s_delay_alu instid0(VALU_DEP_2) | instskip(NEXT) | instid1(VALU_DEP_3)
	v_add_co_u32 v7, vcc_lo, s24, v3
	v_add_co_ci_u32_e32 v8, vcc_lo, s25, v4, vcc_lo
	s_mov_b32 s2, exec_lo
	global_load_b64 v[7:8], v[7:8], off
	s_waitcnt vmcnt(0)
	v_cmpx_lt_i32_e64 v7, v8
	s_cbranch_execz .LBB38_45
; %bb.13:
	v_subrev_nc_u32_e32 v7, s40, v7
	v_max_i32_e32 v11, v9, v10
	s_cmp_lg_u32 s4, 0
	s_mul_i32 s5, s7, s7
	s_cselect_b32 s3, -1, 0
	s_cmp_gt_i32 s7, 0
	v_mad_u64_u32 v[13:14], null, s7, v7, v[10:11]
	v_cmp_gt_i32_e64 s0, s7, v11
	v_mad_u64_u32 v[11:12], null, s5, v7, v[10:11]
	s_cselect_b32 s8, -1, 0
	v_subrev_nc_u32_e32 v30, s40, v8
	v_cndmask_b32_e64 v31, 0, 1, s8
	v_mul_lo_u32 v12, s7, v13
	s_mov_b32 s9, 0
	s_branch .LBB38_15
.LBB38_14:                              ;   in Loop: Header=BB38_15 Depth=1
	s_or_b32 exec_lo, exec_lo, s10
	v_add_nc_u32_e32 v7, 1, v7
	v_add_nc_u32_e32 v11, s5, v11
	;; [unrolled: 1-line block ×3, first 2 shown]
	s_delay_alu instid0(VALU_DEP_3) | instskip(SKIP_1) | instid1(SALU_CYCLE_1)
	v_cmp_ge_i32_e32 vcc_lo, v7, v30
	s_or_b32 s9, vcc_lo, s9
	s_and_not1_b32 exec_lo, exec_lo, s9
	s_cbranch_execz .LBB38_45
.LBB38_15:                              ; =>This Loop Header: Depth=1
                                        ;     Child Loop BB38_18 Depth 2
                                        ;       Child Loop BB38_22 Depth 3
                                        ;       Child Loop BB38_28 Depth 3
	;; [unrolled: 1-line block ×3, first 2 shown]
                                        ;         Child Loop BB38_37 Depth 4
                                        ;         Child Loop BB38_43 Depth 4
	v_ashrrev_i32_e32 v8, 31, v7
	s_mov_b32 s10, exec_lo
	s_delay_alu instid0(VALU_DEP_1) | instskip(NEXT) | instid1(VALU_DEP_1)
	v_lshlrev_b64 v[13:14], 2, v[7:8]
	v_add_co_u32 v13, vcc_lo, s26, v13
	s_delay_alu instid0(VALU_DEP_2) | instskip(SKIP_3) | instid1(VALU_DEP_1)
	v_add_co_ci_u32_e32 v14, vcc_lo, s27, v14, vcc_lo
	global_load_b32 v8, v[13:14], off
	s_waitcnt vmcnt(0)
	v_subrev_nc_u32_e32 v13, s40, v8
	v_ashrrev_i32_e32 v14, 31, v13
	s_delay_alu instid0(VALU_DEP_1) | instskip(NEXT) | instid1(VALU_DEP_1)
	v_lshlrev_b64 v[13:14], 2, v[13:14]
	v_add_co_u32 v13, vcc_lo, s30, v13
	s_delay_alu instid0(VALU_DEP_2)
	v_add_co_ci_u32_e32 v14, vcc_lo, s31, v14, vcc_lo
	global_load_b64 v[14:15], v[13:14], off
	s_waitcnt vmcnt(0)
	v_cmpx_lt_i32_e64 v14, v15
	s_cbranch_execz .LBB38_14
; %bb.16:                               ;   in Loop: Header=BB38_15 Depth=1
	v_subrev_nc_u32_e32 v14, s41, v14
	v_ashrrev_i32_e32 v13, 31, v12
	v_subrev_nc_u32_e32 v8, s41, v15
	s_mov_b32 s11, 0
	s_delay_alu instid0(VALU_DEP_3) | instskip(NEXT) | instid1(VALU_DEP_3)
	v_mad_u64_u32 v[18:19], null, s7, v14, v[9:10]
	v_lshlrev_b64 v[19:20], 3, v[12:13]
	v_mad_u64_u32 v[16:17], null, s5, v14, v[9:10]
	s_delay_alu instid0(VALU_DEP_2) | instskip(NEXT) | instid1(VALU_DEP_4)
	v_add_co_u32 v19, vcc_lo, s28, v19
	v_mul_lo_u32 v17, s7, v18
	s_delay_alu instid0(VALU_DEP_4)
	v_add_co_ci_u32_e32 v20, vcc_lo, s29, v20, vcc_lo
	s_branch .LBB38_18
.LBB38_17:                              ;   in Loop: Header=BB38_18 Depth=2
	s_or_b32 exec_lo, exec_lo, s13
	v_add_nc_u32_e32 v14, 1, v14
	s_delay_alu instid0(VALU_DEP_3) | instskip(SKIP_1) | instid1(VALU_DEP_3)
	v_add_nc_u32_e32 v17, s5, v17
	v_add_nc_u32_e32 v16, s5, v16
	v_cmp_ge_i32_e32 vcc_lo, v14, v8
	s_or_b32 s11, vcc_lo, s11
	s_delay_alu instid0(SALU_CYCLE_1)
	s_and_not1_b32 exec_lo, exec_lo, s11
	s_cbranch_execz .LBB38_14
.LBB38_18:                              ;   Parent Loop BB38_15 Depth=1
                                        ; =>  This Loop Header: Depth=2
                                        ;       Child Loop BB38_22 Depth 3
                                        ;       Child Loop BB38_28 Depth 3
	;; [unrolled: 1-line block ×3, first 2 shown]
                                        ;         Child Loop BB38_37 Depth 4
                                        ;         Child Loop BB38_43 Depth 4
	s_and_saveexec_b32 s13, s0
	s_cbranch_execz .LBB38_17
; %bb.19:                               ;   in Loop: Header=BB38_18 Depth=2
	v_ashrrev_i32_e32 v15, 31, v14
	v_cmp_ne_u32_e64 s1, 1, v31
	s_delay_alu instid0(VALU_DEP_2) | instskip(NEXT) | instid1(VALU_DEP_1)
	v_lshlrev_b64 v[21:22], 2, v[14:15]
	v_add_co_u32 v21, vcc_lo, s44, v21
	s_delay_alu instid0(VALU_DEP_2)
	v_add_co_ci_u32_e32 v22, vcc_lo, s45, v22, vcc_lo
	s_and_not1_b32 vcc_lo, exec_lo, s3
	global_load_b32 v13, v[21:22], off
	s_cbranch_vccnz .LBB38_24
; %bb.20:                               ;   in Loop: Header=BB38_18 Depth=2
	s_and_b32 vcc_lo, exec_lo, s1
	s_cbranch_vccnz .LBB38_25
; %bb.21:                               ;   in Loop: Header=BB38_18 Depth=2
	v_ashrrev_i32_e32 v18, 31, v17
	v_mov_b32_e32 v21, 0
	v_dual_mov_b32 v22, 0 :: v_dual_mov_b32 v25, v11
	s_mov_b32 s1, s7
	s_delay_alu instid0(VALU_DEP_3) | instskip(NEXT) | instid1(VALU_DEP_1)
	v_lshlrev_b64 v[23:24], 3, v[17:18]
	v_add_co_u32 v23, vcc_lo, s46, v23
	s_delay_alu instid0(VALU_DEP_2)
	v_add_co_ci_u32_e32 v24, vcc_lo, s47, v24, vcc_lo
	.p2align	6
.LBB38_22:                              ;   Parent Loop BB38_15 Depth=1
                                        ;     Parent Loop BB38_18 Depth=2
                                        ; =>    This Inner Loop Header: Depth=3
	v_ashrrev_i32_e32 v26, 31, v25
	s_add_i32 s1, s1, -1
	s_delay_alu instid0(SALU_CYCLE_1) | instskip(NEXT) | instid1(VALU_DEP_1)
	s_cmp_lg_u32 s1, 0
	v_lshlrev_b64 v[32:33], 3, v[25:26]
	v_add_nc_u32_e32 v25, s7, v25
	s_delay_alu instid0(VALU_DEP_2) | instskip(NEXT) | instid1(VALU_DEP_3)
	v_add_co_u32 v32, vcc_lo, s28, v32
	v_add_co_ci_u32_e32 v33, vcc_lo, s29, v33, vcc_lo
	global_load_b64 v[34:35], v[23:24], off
	global_load_b64 v[32:33], v[32:33], off
	v_add_co_u32 v23, vcc_lo, v23, 8
	v_add_co_ci_u32_e32 v24, vcc_lo, 0, v24, vcc_lo
	s_waitcnt vmcnt(0)
	v_fma_f64 v[21:22], v[32:33], v[34:35], v[21:22]
	s_cbranch_scc1 .LBB38_22
; %bb.23:                               ;   in Loop: Header=BB38_18 Depth=2
	s_cbranch_execz .LBB38_26
	s_branch .LBB38_29
.LBB38_24:                              ;   in Loop: Header=BB38_18 Depth=2
                                        ; implicit-def: $vgpr21_vgpr22
	s_branch .LBB38_26
.LBB38_25:                              ;   in Loop: Header=BB38_18 Depth=2
	v_mov_b32_e32 v21, 0
	v_mov_b32_e32 v22, 0
	s_cbranch_execnz .LBB38_29
.LBB38_26:                              ;   in Loop: Header=BB38_18 Depth=2
	v_mov_b32_e32 v21, 0
	v_mov_b32_e32 v22, 0
	s_and_not1_b32 vcc_lo, exec_lo, s8
	s_cbranch_vccnz .LBB38_29
; %bb.27:                               ;   in Loop: Header=BB38_18 Depth=2
	v_dual_mov_b32 v24, v20 :: v_dual_mov_b32 v23, v19
	v_mov_b32_e32 v25, v16
	s_mov_b32 s1, s7
	.p2align	6
.LBB38_28:                              ;   Parent Loop BB38_15 Depth=1
                                        ;     Parent Loop BB38_18 Depth=2
                                        ; =>    This Inner Loop Header: Depth=3
	s_delay_alu instid0(VALU_DEP_1) | instskip(SKIP_1) | instid1(SALU_CYCLE_1)
	v_ashrrev_i32_e32 v26, 31, v25
	s_add_i32 s1, s1, -1
	s_cmp_eq_u32 s1, 0
	s_delay_alu instid0(VALU_DEP_1) | instskip(SKIP_1) | instid1(VALU_DEP_2)
	v_lshlrev_b64 v[32:33], 3, v[25:26]
	v_add_nc_u32_e32 v25, s7, v25
	v_add_co_u32 v32, vcc_lo, s46, v32
	s_delay_alu instid0(VALU_DEP_3)
	v_add_co_ci_u32_e32 v33, vcc_lo, s47, v33, vcc_lo
	global_load_b64 v[34:35], v[23:24], off
	global_load_b64 v[32:33], v[32:33], off
	v_add_co_u32 v23, vcc_lo, v23, 8
	v_add_co_ci_u32_e32 v24, vcc_lo, 0, v24, vcc_lo
	s_waitcnt vmcnt(0)
	v_fma_f64 v[21:22], v[34:35], v[32:33], v[21:22]
	s_cbranch_scc0 .LBB38_28
.LBB38_29:                              ;   in Loop: Header=BB38_18 Depth=2
	s_delay_alu instid0(VALU_DEP_1) | instskip(SKIP_3) | instid1(VALU_DEP_1)
	v_mul_f64 v[21:22], v[5:6], v[21:22]
	s_waitcnt vmcnt(0)
	v_subrev_nc_u32_e32 v13, s41, v13
	s_mov_b32 s1, 0
	v_and_b32_e32 v15, 7, v13
	s_branch .LBB38_31
.LBB38_30:                              ;   in Loop: Header=BB38_31 Depth=3
	s_or_b32 exec_lo, exec_lo, s14
	s_xor_b32 s14, s15, -1
	s_delay_alu instid0(SALU_CYCLE_1) | instskip(NEXT) | instid1(SALU_CYCLE_1)
	s_and_b32 s14, exec_lo, s14
	s_or_b32 s1, s14, s1
	s_delay_alu instid0(SALU_CYCLE_1)
	s_and_not1_b32 exec_lo, exec_lo, s1
	s_cbranch_execz .LBB38_17
.LBB38_31:                              ;   Parent Loop BB38_15 Depth=1
                                        ;     Parent Loop BB38_18 Depth=2
                                        ; =>    This Loop Header: Depth=3
                                        ;         Child Loop BB38_37 Depth 4
                                        ;         Child Loop BB38_43 Depth 4
	s_delay_alu instid0(VALU_DEP_1)
	v_lshl_add_u32 v18, v15, 2, v28
	s_mov_b32 s14, exec_lo
                                        ; implicit-def: $sgpr15
	ds_load_b32 v23, v18
	s_waitcnt lgkmcnt(0)
	v_cmpx_ne_u32_e64 v23, v13
	s_xor_b32 s14, exec_lo, s14
	s_cbranch_execz .LBB38_41
; %bb.32:                               ;   in Loop: Header=BB38_31 Depth=3
	s_mov_b32 s24, exec_lo
                                        ; implicit-def: $sgpr15
	v_cmpx_ne_u32_e64 s6, v23
	s_xor_b32 s24, exec_lo, s24
; %bb.33:                               ;   in Loop: Header=BB38_31 Depth=3
	v_add_nc_u32_e32 v15, 1, v15
	s_mov_b32 s15, -1
                                        ; implicit-def: $vgpr18
	s_delay_alu instid0(VALU_DEP_1)
	v_and_b32_e32 v15, 7, v15
; %bb.34:                               ;   in Loop: Header=BB38_31 Depth=3
	s_and_not1_saveexec_b32 s24, s24
	s_cbranch_execz .LBB38_40
; %bb.35:                               ;   in Loop: Header=BB38_31 Depth=3
	v_mov_b32_e32 v23, s6
	s_mov_b32 s33, -1
	s_mov_b32 s25, exec_lo
	ds_cmpstore_rtn_b32 v18, v18, v13, v23
	s_waitcnt lgkmcnt(0)
	v_cmpx_eq_u32_e64 s6, v18
	s_cbranch_execz .LBB38_39
; %bb.36:                               ;   in Loop: Header=BB38_31 Depth=3
	v_lshl_or_b32 v18, v15, 9, v29
	s_mov_b32 s33, 0
	s_delay_alu instid0(VALU_DEP_1)
	v_add_nc_u32_e32 v18, v27, v18
	ds_load_b64 v[23:24], v18
.LBB38_37:                              ;   Parent Loop BB38_15 Depth=1
                                        ;     Parent Loop BB38_18 Depth=2
                                        ;       Parent Loop BB38_31 Depth=3
                                        ; =>      This Inner Loop Header: Depth=4
	s_waitcnt lgkmcnt(0)
	v_add_f64 v[25:26], v[23:24], v[21:22]
	ds_cmpstore_rtn_b64 v[25:26], v18, v[25:26], v[23:24]
	s_waitcnt lgkmcnt(0)
	v_cmp_eq_u64_e32 vcc_lo, v[25:26], v[23:24]
	v_dual_mov_b32 v23, v25 :: v_dual_mov_b32 v24, v26
	s_or_b32 s33, vcc_lo, s33
	s_delay_alu instid0(SALU_CYCLE_1)
	s_and_not1_b32 exec_lo, exec_lo, s33
	s_cbranch_execnz .LBB38_37
; %bb.38:                               ;   in Loop: Header=BB38_31 Depth=3
	s_or_b32 exec_lo, exec_lo, s33
	s_delay_alu instid0(SALU_CYCLE_1)
	s_xor_b32 s33, exec_lo, -1
.LBB38_39:                              ;   in Loop: Header=BB38_31 Depth=3
	s_or_b32 exec_lo, exec_lo, s25
	s_delay_alu instid0(SALU_CYCLE_1) | instskip(SKIP_1) | instid1(SALU_CYCLE_1)
	s_and_not1_b32 s15, s15, exec_lo
	s_and_b32 s25, s33, exec_lo
	s_or_b32 s15, s15, s25
.LBB38_40:                              ;   in Loop: Header=BB38_31 Depth=3
	s_or_b32 exec_lo, exec_lo, s24
	s_delay_alu instid0(SALU_CYCLE_1)
	s_and_b32 s15, s15, exec_lo
.LBB38_41:                              ;   in Loop: Header=BB38_31 Depth=3
	s_and_not1_saveexec_b32 s14, s14
	s_cbranch_execz .LBB38_30
; %bb.42:                               ;   in Loop: Header=BB38_31 Depth=3
	v_lshl_or_b32 v18, v15, 9, v29
	s_mov_b32 s24, 0
	s_delay_alu instid0(VALU_DEP_1)
	v_add_nc_u32_e32 v18, v27, v18
	ds_load_b64 v[23:24], v18
.LBB38_43:                              ;   Parent Loop BB38_15 Depth=1
                                        ;     Parent Loop BB38_18 Depth=2
                                        ;       Parent Loop BB38_31 Depth=3
                                        ; =>      This Inner Loop Header: Depth=4
	s_waitcnt lgkmcnt(0)
	v_add_f64 v[25:26], v[23:24], v[21:22]
	ds_cmpstore_rtn_b64 v[25:26], v18, v[25:26], v[23:24]
	s_waitcnt lgkmcnt(0)
	v_cmp_eq_u64_e32 vcc_lo, v[25:26], v[23:24]
	v_dual_mov_b32 v23, v25 :: v_dual_mov_b32 v24, v26
	s_or_b32 s24, vcc_lo, s24
	s_delay_alu instid0(SALU_CYCLE_1)
	s_and_not1_b32 exec_lo, exec_lo, s24
	s_cbranch_execnz .LBB38_43
; %bb.44:                               ;   in Loop: Header=BB38_31 Depth=3
	s_or_b32 exec_lo, exec_lo, s24
	s_delay_alu instid0(SALU_CYCLE_1)
	s_and_not1_b32 s15, s15, exec_lo
	s_branch .LBB38_30
.LBB38_45:
	s_or_b32 exec_lo, exec_lo, s2
.LBB38_46:
	s_delay_alu instid0(SALU_CYCLE_1)
	s_and_not1_b32 vcc_lo, exec_lo, s12
	s_barrier
	buffer_gl0_inv
	s_cbranch_vccnz .LBB38_68
; %bb.47:
	v_add_co_u32 v5, vcc_lo, s16, v3
	v_add_co_ci_u32_e32 v6, vcc_lo, s17, v4, vcc_lo
	s_mov_b32 s1, exec_lo
	global_load_b64 v[5:6], v[5:6], off
	s_waitcnt vmcnt(0)
	v_cmpx_lt_i32_e64 v5, v6
	s_cbranch_execz .LBB38_67
; %bb.48:
	v_max_i32_e32 v7, v9, v10
	s_cmp_eq_u32 s4, 0
	v_subrev_nc_u32_e32 v15, s43, v6
	s_cselect_b32 s0, -1, 0
	v_subrev_nc_u32_e32 v5, s43, v5
	v_cmp_gt_i32_e32 vcc_lo, s7, v7
	v_cndmask_b32_e64 v7, v9, v10, s0
	v_cndmask_b32_e64 v8, v10, v9, s0
	s_mov_b32 s2, 0
	s_branch .LBB38_50
.LBB38_49:                              ;   in Loop: Header=BB38_50 Depth=1
	s_or_b32 exec_lo, exec_lo, s3
	v_add_nc_u32_e32 v5, 1, v5
	s_delay_alu instid0(VALU_DEP_1) | instskip(NEXT) | instid1(VALU_DEP_1)
	v_cmp_ge_i32_e64 s0, v5, v15
	s_or_b32 s2, s0, s2
	s_delay_alu instid0(SALU_CYCLE_1)
	s_and_not1_b32 exec_lo, exec_lo, s2
	s_cbranch_execz .LBB38_67
.LBB38_50:                              ; =>This Loop Header: Depth=1
                                        ;     Child Loop BB38_53 Depth 2
                                        ;       Child Loop BB38_59 Depth 3
                                        ;       Child Loop BB38_65 Depth 3
	s_and_saveexec_b32 s3, vcc_lo
	s_cbranch_execz .LBB38_49
; %bb.51:                               ;   in Loop: Header=BB38_50 Depth=1
	v_mad_u64_u32 v[11:12], null, v5, s7, v[7:8]
	v_ashrrev_i32_e32 v6, 31, v5
	s_mov_b32 s5, 0
	s_delay_alu instid0(VALU_DEP_2) | instskip(NEXT) | instid1(VALU_DEP_1)
	v_mad_u64_u32 v[12:13], null, v11, s7, v[8:9]
	v_ashrrev_i32_e32 v13, 31, v12
	s_delay_alu instid0(VALU_DEP_1) | instskip(SKIP_1) | instid1(VALU_DEP_2)
	v_lshlrev_b64 v[11:12], 3, v[12:13]
	v_lshlrev_b64 v[13:14], 2, v[5:6]
	v_add_co_u32 v11, s0, s20, v11
	s_delay_alu instid0(VALU_DEP_1) | instskip(NEXT) | instid1(VALU_DEP_3)
	v_add_co_ci_u32_e64 v12, s0, s21, v12, s0
	v_add_co_u32 v13, s0, s18, v13
	s_delay_alu instid0(VALU_DEP_1)
	v_add_co_ci_u32_e64 v14, s0, s19, v14, s0
	global_load_b64 v[11:12], v[11:12], off
	global_load_b32 v6, v[13:14], off
	s_waitcnt vmcnt(1)
	v_mul_f64 v[11:12], v[1:2], v[11:12]
	s_waitcnt vmcnt(0)
	v_subrev_nc_u32_e32 v6, s43, v6
	s_delay_alu instid0(VALU_DEP_1)
	v_and_b32_e32 v16, 7, v6
	s_branch .LBB38_53
.LBB38_52:                              ;   in Loop: Header=BB38_53 Depth=2
	s_or_b32 exec_lo, exec_lo, s8
	s_xor_b32 s0, s9, -1
	s_delay_alu instid0(SALU_CYCLE_1) | instskip(NEXT) | instid1(SALU_CYCLE_1)
	s_and_b32 s0, exec_lo, s0
	s_or_b32 s5, s0, s5
	s_delay_alu instid0(SALU_CYCLE_1)
	s_and_not1_b32 exec_lo, exec_lo, s5
	s_cbranch_execz .LBB38_49
.LBB38_53:                              ;   Parent Loop BB38_50 Depth=1
                                        ; =>  This Loop Header: Depth=2
                                        ;       Child Loop BB38_59 Depth 3
                                        ;       Child Loop BB38_65 Depth 3
	s_delay_alu instid0(VALU_DEP_1)
	v_lshl_add_u32 v13, v16, 2, v28
	s_mov_b32 s8, exec_lo
                                        ; implicit-def: $sgpr9
	ds_load_b32 v14, v13
	s_waitcnt lgkmcnt(0)
	v_cmpx_ne_u32_e64 v14, v6
	s_xor_b32 s8, exec_lo, s8
	s_cbranch_execz .LBB38_63
; %bb.54:                               ;   in Loop: Header=BB38_53 Depth=2
	v_cmp_ne_u32_e64 s0, s6, v14
                                        ; implicit-def: $sgpr9
	s_delay_alu instid0(VALU_DEP_1) | instskip(NEXT) | instid1(SALU_CYCLE_1)
	s_and_saveexec_b32 s10, s0
	s_xor_b32 s0, exec_lo, s10
; %bb.55:                               ;   in Loop: Header=BB38_53 Depth=2
	v_add_nc_u32_e32 v13, 1, v16
	s_mov_b32 s9, -1
	s_delay_alu instid0(VALU_DEP_1)
	v_and_b32_e32 v16, 7, v13
                                        ; implicit-def: $vgpr13
; %bb.56:                               ;   in Loop: Header=BB38_53 Depth=2
	s_and_not1_saveexec_b32 s10, s0
	s_cbranch_execz .LBB38_62
; %bb.57:                               ;   in Loop: Header=BB38_53 Depth=2
	v_mov_b32_e32 v14, s6
	s_mov_b32 s12, -1
	s_mov_b32 s11, exec_lo
	ds_cmpstore_rtn_b32 v13, v13, v6, v14
	s_waitcnt lgkmcnt(0)
	v_cmpx_eq_u32_e64 s6, v13
	s_cbranch_execz .LBB38_61
; %bb.58:                               ;   in Loop: Header=BB38_53 Depth=2
	v_lshl_or_b32 v13, v16, 9, v29
	s_mov_b32 s12, 0
	s_delay_alu instid0(VALU_DEP_1)
	v_add_nc_u32_e32 v17, v27, v13
	ds_load_b64 v[13:14], v17
.LBB38_59:                              ;   Parent Loop BB38_50 Depth=1
                                        ;     Parent Loop BB38_53 Depth=2
                                        ; =>    This Inner Loop Header: Depth=3
	s_waitcnt lgkmcnt(0)
	v_add_f64 v[18:19], v[13:14], v[11:12]
	ds_cmpstore_rtn_b64 v[18:19], v17, v[18:19], v[13:14]
	s_waitcnt lgkmcnt(0)
	v_cmp_eq_u64_e64 s0, v[18:19], v[13:14]
	v_dual_mov_b32 v13, v18 :: v_dual_mov_b32 v14, v19
	s_delay_alu instid0(VALU_DEP_2) | instskip(NEXT) | instid1(SALU_CYCLE_1)
	s_or_b32 s12, s0, s12
	s_and_not1_b32 exec_lo, exec_lo, s12
	s_cbranch_execnz .LBB38_59
; %bb.60:                               ;   in Loop: Header=BB38_53 Depth=2
	s_or_b32 exec_lo, exec_lo, s12
	s_delay_alu instid0(SALU_CYCLE_1)
	s_xor_b32 s12, exec_lo, -1
.LBB38_61:                              ;   in Loop: Header=BB38_53 Depth=2
	s_or_b32 exec_lo, exec_lo, s11
	s_delay_alu instid0(SALU_CYCLE_1) | instskip(SKIP_1) | instid1(SALU_CYCLE_1)
	s_and_not1_b32 s0, s9, exec_lo
	s_and_b32 s9, s12, exec_lo
	s_or_b32 s9, s0, s9
.LBB38_62:                              ;   in Loop: Header=BB38_53 Depth=2
	s_or_b32 exec_lo, exec_lo, s10
	s_delay_alu instid0(SALU_CYCLE_1)
	s_and_b32 s9, s9, exec_lo
.LBB38_63:                              ;   in Loop: Header=BB38_53 Depth=2
	s_and_not1_saveexec_b32 s8, s8
	s_cbranch_execz .LBB38_52
; %bb.64:                               ;   in Loop: Header=BB38_53 Depth=2
	v_lshl_or_b32 v13, v16, 9, v29
	s_mov_b32 s10, 0
	s_delay_alu instid0(VALU_DEP_1)
	v_add_nc_u32_e32 v17, v27, v13
	ds_load_b64 v[13:14], v17
.LBB38_65:                              ;   Parent Loop BB38_50 Depth=1
                                        ;     Parent Loop BB38_53 Depth=2
                                        ; =>    This Inner Loop Header: Depth=3
	s_waitcnt lgkmcnt(0)
	v_add_f64 v[18:19], v[13:14], v[11:12]
	ds_cmpstore_rtn_b64 v[18:19], v17, v[18:19], v[13:14]
	s_waitcnt lgkmcnt(0)
	v_cmp_eq_u64_e64 s0, v[18:19], v[13:14]
	v_dual_mov_b32 v13, v18 :: v_dual_mov_b32 v14, v19
	s_delay_alu instid0(VALU_DEP_2) | instskip(NEXT) | instid1(SALU_CYCLE_1)
	s_or_b32 s10, s0, s10
	s_and_not1_b32 exec_lo, exec_lo, s10
	s_cbranch_execnz .LBB38_65
; %bb.66:                               ;   in Loop: Header=BB38_53 Depth=2
	s_or_b32 exec_lo, exec_lo, s10
	s_delay_alu instid0(SALU_CYCLE_1)
	s_and_not1_b32 s9, s9, exec_lo
	s_branch .LBB38_52
.LBB38_67:
	s_or_b32 exec_lo, exec_lo, s1
.LBB38_68:
	v_add_co_u32 v1, vcc_lo, s22, v3
	v_add_co_ci_u32_e32 v2, vcc_lo, s23, v4, vcc_lo
	s_barrier
	buffer_gl0_inv
	global_load_b32 v11, v[1:2], off
	ds_load_b128 v[5:8], v28
	ds_load_b128 v[1:4], v28 offset:16
	v_max_i32_e32 v12, v9, v10
	v_lshlrev_b32_e32 v13, 3, v9
	v_and_b32_e32 v0, 56, v0
	s_cmp_eq_u32 s4, 0
	s_mov_b32 s1, exec_lo
	s_cselect_b32 s0, -1, 0
	v_cmp_gt_i32_e32 vcc_lo, s7, v12
	v_cndmask_b32_e64 v13, v13, v0, s0
	v_cndmask_b32_e64 v14, v10, v9, s0
	s_waitcnt vmcnt(0)
	v_subrev_nc_u32_e32 v0, s42, v11
	s_waitcnt lgkmcnt(1)
	v_cmpx_gt_i32_e64 s6, v5
	s_cbranch_execz .LBB38_71
; %bb.69:
	v_cmp_gt_i32_e64 s0, v5, v6
	s_delay_alu instid0(VALU_DEP_1) | instskip(SKIP_1) | instid1(VALU_DEP_1)
	v_add_co_ci_u32_e64 v11, s0, 0, v0, s0
	v_cmp_gt_i32_e64 s0, v5, v7
	v_cndmask_b32_e64 v12, 0, 1, s0
	v_cmp_gt_i32_e64 s0, v5, v8
	s_delay_alu instid0(VALU_DEP_1) | instskip(SKIP_2) | instid1(VALU_DEP_1)
	v_add_co_ci_u32_e64 v11, s0, v11, v12, s0
	s_waitcnt lgkmcnt(0)
	v_cmp_gt_i32_e64 s0, v5, v1
	v_cndmask_b32_e64 v12, 0, 1, s0
	v_cmp_gt_i32_e64 s0, v5, v2
	s_delay_alu instid0(VALU_DEP_1) | instskip(SKIP_1) | instid1(VALU_DEP_1)
	v_add_co_ci_u32_e64 v11, s0, v11, v12, s0
	v_cmp_gt_i32_e64 s0, v5, v3
	v_cndmask_b32_e64 v12, 0, 1, s0
	v_cmp_gt_i32_e64 s0, v5, v4
	s_delay_alu instid0(VALU_DEP_1) | instskip(NEXT) | instid1(VALU_DEP_1)
	v_add_co_ci_u32_e64 v11, s0, v11, v12, s0
	v_ashrrev_i32_e32 v12, 31, v11
	s_delay_alu instid0(VALU_DEP_1) | instskip(SKIP_1) | instid1(VALU_DEP_2)
	v_lshlrev_b64 v[15:16], 2, v[11:12]
	v_add_nc_u32_e32 v12, s42, v5
	v_add_co_u32 v15, s0, s36, v15
	s_delay_alu instid0(VALU_DEP_1)
	v_add_co_ci_u32_e64 v16, s0, s37, v16, s0
	global_store_b32 v[15:16], v12, off
	s_and_b32 exec_lo, exec_lo, vcc_lo
	s_cbranch_execz .LBB38_71
; %bb.70:
	v_mad_u64_u32 v[15:16], null, v11, s7, v[10:11]
	v_or_b32_e32 v16, v13, v14
	s_delay_alu instid0(VALU_DEP_2) | instskip(NEXT) | instid1(VALU_DEP_2)
	v_mad_u64_u32 v[11:12], null, v15, s7, v[9:10]
	v_lshl_add_u32 v12, v16, 3, v27
	ds_load_b64 v[15:16], v12
	v_ashrrev_i32_e32 v12, 31, v11
	s_delay_alu instid0(VALU_DEP_1) | instskip(NEXT) | instid1(VALU_DEP_1)
	v_lshlrev_b64 v[11:12], 3, v[11:12]
	v_add_co_u32 v11, s0, s38, v11
	s_delay_alu instid0(VALU_DEP_1)
	v_add_co_ci_u32_e64 v12, s0, s39, v12, s0
	s_waitcnt lgkmcnt(0)
	global_store_b64 v[11:12], v[15:16], off
.LBB38_71:
	s_or_b32 exec_lo, exec_lo, s1
	s_delay_alu instid0(SALU_CYCLE_1)
	s_mov_b32 s1, exec_lo
	v_cmpx_gt_i32_e64 s6, v6
	s_cbranch_execz .LBB38_74
; %bb.72:
	v_cmp_gt_i32_e64 s0, v6, v5
	s_delay_alu instid0(VALU_DEP_1) | instskip(SKIP_1) | instid1(VALU_DEP_1)
	v_add_co_ci_u32_e64 v11, s0, 0, v0, s0
	v_cmp_gt_i32_e64 s0, v6, v7
	v_cndmask_b32_e64 v12, 0, 1, s0
	v_cmp_gt_i32_e64 s0, v6, v8
	s_delay_alu instid0(VALU_DEP_1) | instskip(SKIP_2) | instid1(VALU_DEP_1)
	v_add_co_ci_u32_e64 v11, s0, v11, v12, s0
	s_waitcnt lgkmcnt(0)
	v_cmp_gt_i32_e64 s0, v6, v1
	v_cndmask_b32_e64 v12, 0, 1, s0
	v_cmp_gt_i32_e64 s0, v6, v2
	s_delay_alu instid0(VALU_DEP_1) | instskip(SKIP_1) | instid1(VALU_DEP_1)
	v_add_co_ci_u32_e64 v11, s0, v11, v12, s0
	v_cmp_gt_i32_e64 s0, v6, v3
	v_cndmask_b32_e64 v12, 0, 1, s0
	v_cmp_gt_i32_e64 s0, v6, v4
	s_delay_alu instid0(VALU_DEP_1) | instskip(NEXT) | instid1(VALU_DEP_1)
	v_add_co_ci_u32_e64 v11, s0, v11, v12, s0
	v_ashrrev_i32_e32 v12, 31, v11
	s_delay_alu instid0(VALU_DEP_1) | instskip(SKIP_1) | instid1(VALU_DEP_2)
	v_lshlrev_b64 v[15:16], 2, v[11:12]
	v_add_nc_u32_e32 v12, s42, v6
	v_add_co_u32 v15, s0, s36, v15
	s_delay_alu instid0(VALU_DEP_1)
	v_add_co_ci_u32_e64 v16, s0, s37, v16, s0
	global_store_b32 v[15:16], v12, off
	s_and_b32 exec_lo, exec_lo, vcc_lo
	s_cbranch_execz .LBB38_74
; %bb.73:
	v_mad_u64_u32 v[15:16], null, v11, s7, v[10:11]
	v_or_b32_e32 v16, v13, v14
	s_delay_alu instid0(VALU_DEP_2) | instskip(NEXT) | instid1(VALU_DEP_2)
	v_mad_u64_u32 v[11:12], null, v15, s7, v[9:10]
	v_lshl_add_u32 v12, v16, 3, v27
	ds_load_b64 v[15:16], v12 offset:512
	v_ashrrev_i32_e32 v12, 31, v11
	s_delay_alu instid0(VALU_DEP_1) | instskip(NEXT) | instid1(VALU_DEP_1)
	v_lshlrev_b64 v[11:12], 3, v[11:12]
	v_add_co_u32 v11, s0, s38, v11
	s_delay_alu instid0(VALU_DEP_1)
	v_add_co_ci_u32_e64 v12, s0, s39, v12, s0
	s_waitcnt lgkmcnt(0)
	global_store_b64 v[11:12], v[15:16], off
.LBB38_74:
	s_or_b32 exec_lo, exec_lo, s1
	s_delay_alu instid0(SALU_CYCLE_1)
	s_mov_b32 s1, exec_lo
	v_cmpx_gt_i32_e64 s6, v7
	s_cbranch_execz .LBB38_77
; %bb.75:
	v_cmp_gt_i32_e64 s0, v7, v5
	s_delay_alu instid0(VALU_DEP_1) | instskip(SKIP_1) | instid1(VALU_DEP_1)
	v_add_co_ci_u32_e64 v11, s0, 0, v0, s0
	v_cmp_gt_i32_e64 s0, v7, v6
	v_cndmask_b32_e64 v12, 0, 1, s0
	v_cmp_gt_i32_e64 s0, v7, v8
	s_delay_alu instid0(VALU_DEP_1) | instskip(SKIP_2) | instid1(VALU_DEP_1)
	v_add_co_ci_u32_e64 v11, s0, v11, v12, s0
	s_waitcnt lgkmcnt(0)
	v_cmp_gt_i32_e64 s0, v7, v1
	v_cndmask_b32_e64 v12, 0, 1, s0
	v_cmp_gt_i32_e64 s0, v7, v2
	s_delay_alu instid0(VALU_DEP_1) | instskip(SKIP_1) | instid1(VALU_DEP_1)
	v_add_co_ci_u32_e64 v11, s0, v11, v12, s0
	v_cmp_gt_i32_e64 s0, v7, v3
	v_cndmask_b32_e64 v12, 0, 1, s0
	v_cmp_gt_i32_e64 s0, v7, v4
	s_delay_alu instid0(VALU_DEP_1) | instskip(NEXT) | instid1(VALU_DEP_1)
	v_add_co_ci_u32_e64 v11, s0, v11, v12, s0
	v_ashrrev_i32_e32 v12, 31, v11
	s_delay_alu instid0(VALU_DEP_1) | instskip(SKIP_1) | instid1(VALU_DEP_2)
	v_lshlrev_b64 v[15:16], 2, v[11:12]
	v_add_nc_u32_e32 v12, s42, v7
	v_add_co_u32 v15, s0, s36, v15
	s_delay_alu instid0(VALU_DEP_1)
	v_add_co_ci_u32_e64 v16, s0, s37, v16, s0
	global_store_b32 v[15:16], v12, off
	s_and_b32 exec_lo, exec_lo, vcc_lo
	s_cbranch_execz .LBB38_77
; %bb.76:
	v_mad_u64_u32 v[15:16], null, v11, s7, v[10:11]
	v_or_b32_e32 v16, v13, v14
	s_delay_alu instid0(VALU_DEP_2) | instskip(NEXT) | instid1(VALU_DEP_2)
	v_mad_u64_u32 v[11:12], null, v15, s7, v[9:10]
	v_lshl_add_u32 v12, v16, 3, v27
	ds_load_b64 v[15:16], v12 offset:1024
	v_ashrrev_i32_e32 v12, 31, v11
	s_delay_alu instid0(VALU_DEP_1) | instskip(NEXT) | instid1(VALU_DEP_1)
	v_lshlrev_b64 v[11:12], 3, v[11:12]
	v_add_co_u32 v11, s0, s38, v11
	s_delay_alu instid0(VALU_DEP_1)
	v_add_co_ci_u32_e64 v12, s0, s39, v12, s0
	s_waitcnt lgkmcnt(0)
	global_store_b64 v[11:12], v[15:16], off
.LBB38_77:
	;; [unrolled: 51-line block ×3, first 2 shown]
	s_or_b32 exec_lo, exec_lo, s1
	s_delay_alu instid0(SALU_CYCLE_1)
	s_mov_b32 s1, exec_lo
	s_waitcnt lgkmcnt(0)
	v_cmpx_gt_i32_e64 s6, v1
	s_cbranch_execz .LBB38_83
; %bb.81:
	v_cmp_gt_i32_e64 s0, v1, v5
	s_delay_alu instid0(VALU_DEP_1) | instskip(SKIP_1) | instid1(VALU_DEP_1)
	v_add_co_ci_u32_e64 v11, s0, 0, v0, s0
	v_cmp_gt_i32_e64 s0, v1, v6
	v_cndmask_b32_e64 v12, 0, 1, s0
	v_cmp_gt_i32_e64 s0, v1, v7
	s_delay_alu instid0(VALU_DEP_1) | instskip(SKIP_1) | instid1(VALU_DEP_1)
	v_add_co_ci_u32_e64 v11, s0, v11, v12, s0
	v_cmp_gt_i32_e64 s0, v1, v8
	v_cndmask_b32_e64 v12, 0, 1, s0
	;; [unrolled: 5-line block ×3, first 2 shown]
	v_cmp_gt_i32_e64 s0, v1, v4
	s_delay_alu instid0(VALU_DEP_1) | instskip(NEXT) | instid1(VALU_DEP_1)
	v_add_co_ci_u32_e64 v11, s0, v11, v12, s0
	v_ashrrev_i32_e32 v12, 31, v11
	s_delay_alu instid0(VALU_DEP_1) | instskip(SKIP_1) | instid1(VALU_DEP_2)
	v_lshlrev_b64 v[15:16], 2, v[11:12]
	v_add_nc_u32_e32 v12, s42, v1
	v_add_co_u32 v15, s0, s36, v15
	s_delay_alu instid0(VALU_DEP_1)
	v_add_co_ci_u32_e64 v16, s0, s37, v16, s0
	global_store_b32 v[15:16], v12, off
	s_and_b32 exec_lo, exec_lo, vcc_lo
	s_cbranch_execz .LBB38_83
; %bb.82:
	v_mad_u64_u32 v[15:16], null, v11, s7, v[10:11]
	v_or_b32_e32 v16, v13, v14
	s_delay_alu instid0(VALU_DEP_2) | instskip(NEXT) | instid1(VALU_DEP_2)
	v_mad_u64_u32 v[11:12], null, v15, s7, v[9:10]
	v_lshl_add_u32 v12, v16, 3, v27
	ds_load_b64 v[15:16], v12 offset:2048
	v_ashrrev_i32_e32 v12, 31, v11
	s_delay_alu instid0(VALU_DEP_1) | instskip(NEXT) | instid1(VALU_DEP_1)
	v_lshlrev_b64 v[11:12], 3, v[11:12]
	v_add_co_u32 v11, s0, s38, v11
	s_delay_alu instid0(VALU_DEP_1)
	v_add_co_ci_u32_e64 v12, s0, s39, v12, s0
	s_waitcnt lgkmcnt(0)
	global_store_b64 v[11:12], v[15:16], off
.LBB38_83:
	s_or_b32 exec_lo, exec_lo, s1
	s_delay_alu instid0(SALU_CYCLE_1)
	s_mov_b32 s1, exec_lo
	v_cmpx_gt_i32_e64 s6, v2
	s_cbranch_execz .LBB38_86
; %bb.84:
	v_cmp_gt_i32_e64 s0, v2, v5
	s_delay_alu instid0(VALU_DEP_1) | instskip(SKIP_1) | instid1(VALU_DEP_1)
	v_add_co_ci_u32_e64 v11, s0, 0, v0, s0
	v_cmp_gt_i32_e64 s0, v2, v6
	v_cndmask_b32_e64 v12, 0, 1, s0
	v_cmp_gt_i32_e64 s0, v2, v7
	s_delay_alu instid0(VALU_DEP_1) | instskip(SKIP_1) | instid1(VALU_DEP_1)
	v_add_co_ci_u32_e64 v11, s0, v11, v12, s0
	v_cmp_gt_i32_e64 s0, v2, v8
	v_cndmask_b32_e64 v12, 0, 1, s0
	;; [unrolled: 5-line block ×3, first 2 shown]
	v_cmp_gt_i32_e64 s0, v2, v4
	s_delay_alu instid0(VALU_DEP_1) | instskip(NEXT) | instid1(VALU_DEP_1)
	v_add_co_ci_u32_e64 v11, s0, v11, v12, s0
	v_ashrrev_i32_e32 v12, 31, v11
	s_delay_alu instid0(VALU_DEP_1) | instskip(SKIP_1) | instid1(VALU_DEP_2)
	v_lshlrev_b64 v[15:16], 2, v[11:12]
	v_add_nc_u32_e32 v12, s42, v2
	v_add_co_u32 v15, s0, s36, v15
	s_delay_alu instid0(VALU_DEP_1)
	v_add_co_ci_u32_e64 v16, s0, s37, v16, s0
	global_store_b32 v[15:16], v12, off
	s_and_b32 exec_lo, exec_lo, vcc_lo
	s_cbranch_execz .LBB38_86
; %bb.85:
	v_mad_u64_u32 v[15:16], null, v11, s7, v[10:11]
	v_or_b32_e32 v16, v13, v14
	s_delay_alu instid0(VALU_DEP_2) | instskip(NEXT) | instid1(VALU_DEP_2)
	v_mad_u64_u32 v[11:12], null, v15, s7, v[9:10]
	v_lshl_add_u32 v12, v16, 3, v27
	ds_load_b64 v[15:16], v12 offset:2560
	v_ashrrev_i32_e32 v12, 31, v11
	s_delay_alu instid0(VALU_DEP_1) | instskip(NEXT) | instid1(VALU_DEP_1)
	v_lshlrev_b64 v[11:12], 3, v[11:12]
	v_add_co_u32 v11, s0, s38, v11
	s_delay_alu instid0(VALU_DEP_1)
	v_add_co_ci_u32_e64 v12, s0, s39, v12, s0
	s_waitcnt lgkmcnt(0)
	global_store_b64 v[11:12], v[15:16], off
.LBB38_86:
	s_or_b32 exec_lo, exec_lo, s1
	s_delay_alu instid0(SALU_CYCLE_1)
	s_mov_b32 s1, exec_lo
	v_cmpx_gt_i32_e64 s6, v3
	s_cbranch_execz .LBB38_89
; %bb.87:
	v_cmp_gt_i32_e64 s0, v3, v5
	s_delay_alu instid0(VALU_DEP_1) | instskip(SKIP_1) | instid1(VALU_DEP_1)
	v_add_co_ci_u32_e64 v11, s0, 0, v0, s0
	v_cmp_gt_i32_e64 s0, v3, v6
	v_cndmask_b32_e64 v12, 0, 1, s0
	v_cmp_gt_i32_e64 s0, v3, v7
	s_delay_alu instid0(VALU_DEP_1) | instskip(SKIP_1) | instid1(VALU_DEP_1)
	v_add_co_ci_u32_e64 v11, s0, v11, v12, s0
	v_cmp_gt_i32_e64 s0, v3, v8
	v_cndmask_b32_e64 v12, 0, 1, s0
	;; [unrolled: 5-line block ×3, first 2 shown]
	v_cmp_gt_i32_e64 s0, v3, v4
	s_delay_alu instid0(VALU_DEP_1) | instskip(NEXT) | instid1(VALU_DEP_1)
	v_add_co_ci_u32_e64 v11, s0, v11, v12, s0
	v_ashrrev_i32_e32 v12, 31, v11
	s_delay_alu instid0(VALU_DEP_1) | instskip(SKIP_1) | instid1(VALU_DEP_2)
	v_lshlrev_b64 v[15:16], 2, v[11:12]
	v_add_nc_u32_e32 v12, s42, v3
	v_add_co_u32 v15, s0, s36, v15
	s_delay_alu instid0(VALU_DEP_1)
	v_add_co_ci_u32_e64 v16, s0, s37, v16, s0
	global_store_b32 v[15:16], v12, off
	s_and_b32 exec_lo, exec_lo, vcc_lo
	s_cbranch_execz .LBB38_89
; %bb.88:
	v_mad_u64_u32 v[15:16], null, v11, s7, v[10:11]
	v_or_b32_e32 v16, v13, v14
	s_delay_alu instid0(VALU_DEP_2) | instskip(NEXT) | instid1(VALU_DEP_2)
	v_mad_u64_u32 v[11:12], null, v15, s7, v[9:10]
	v_lshl_add_u32 v12, v16, 3, v27
	ds_load_b64 v[15:16], v12 offset:3072
	v_ashrrev_i32_e32 v12, 31, v11
	s_delay_alu instid0(VALU_DEP_1) | instskip(NEXT) | instid1(VALU_DEP_1)
	v_lshlrev_b64 v[11:12], 3, v[11:12]
	v_add_co_u32 v11, s0, s38, v11
	s_delay_alu instid0(VALU_DEP_1)
	v_add_co_ci_u32_e64 v12, s0, s39, v12, s0
	s_waitcnt lgkmcnt(0)
	global_store_b64 v[11:12], v[15:16], off
.LBB38_89:
	s_or_b32 exec_lo, exec_lo, s1
	v_cmp_gt_i32_e64 s0, s6, v4
	s_delay_alu instid0(VALU_DEP_1)
	s_and_b32 exec_lo, exec_lo, s0
	s_cbranch_execz .LBB38_92
; %bb.90:
	v_cmp_gt_i32_e64 s0, v4, v5
	s_delay_alu instid0(VALU_DEP_1) | instskip(SKIP_1) | instid1(VALU_DEP_1)
	v_add_co_ci_u32_e64 v0, s0, 0, v0, s0
	v_cmp_gt_i32_e64 s0, v4, v6
	v_cndmask_b32_e64 v5, 0, 1, s0
	v_cmp_gt_i32_e64 s0, v4, v7
	s_delay_alu instid0(VALU_DEP_1) | instskip(SKIP_1) | instid1(VALU_DEP_1)
	v_add_co_ci_u32_e64 v0, s0, v0, v5, s0
	v_cmp_gt_i32_e64 s0, v4, v8
	v_cndmask_b32_e64 v5, 0, 1, s0
	;; [unrolled: 5-line block ×3, first 2 shown]
	v_cmp_gt_i32_e64 s0, v4, v3
	v_add_nc_u32_e32 v3, s42, v4
	s_delay_alu instid0(VALU_DEP_2) | instskip(NEXT) | instid1(VALU_DEP_1)
	v_add_co_ci_u32_e64 v0, s0, v0, v1, s0
	v_ashrrev_i32_e32 v1, 31, v0
	s_delay_alu instid0(VALU_DEP_1) | instskip(NEXT) | instid1(VALU_DEP_1)
	v_lshlrev_b64 v[1:2], 2, v[0:1]
	v_add_co_u32 v1, s0, s36, v1
	s_delay_alu instid0(VALU_DEP_1)
	v_add_co_ci_u32_e64 v2, s0, s37, v2, s0
	global_store_b32 v[1:2], v3, off
	s_and_b32 exec_lo, exec_lo, vcc_lo
	s_cbranch_execz .LBB38_92
; %bb.91:
	v_mad_u64_u32 v[1:2], null, v0, s7, v[10:11]
	v_or_b32_e32 v0, v13, v14
	s_delay_alu instid0(VALU_DEP_1) | instskip(NEXT) | instid1(VALU_DEP_3)
	v_lshl_add_u32 v0, v0, 3, v27
	v_mad_u64_u32 v[2:3], null, v1, s7, v[9:10]
	ds_load_b64 v[0:1], v0 offset:3584
	v_ashrrev_i32_e32 v3, 31, v2
	s_delay_alu instid0(VALU_DEP_1) | instskip(NEXT) | instid1(VALU_DEP_1)
	v_lshlrev_b64 v[2:3], 3, v[2:3]
	v_add_co_u32 v2, vcc_lo, s38, v2
	s_delay_alu instid0(VALU_DEP_2)
	v_add_co_ci_u32_e32 v3, vcc_lo, s39, v3, vcc_lo
	s_waitcnt lgkmcnt(0)
	global_store_b64 v[2:3], v[0:1], off
.LBB38_92:
	s_nop 0
	s_sendmsg sendmsg(MSG_DEALLOC_VGPRS)
	s_endpgm
	.section	.rodata,"a",@progbits
	.p2align	6, 0x0
	.amdhsa_kernel _ZN9rocsparseL23bsrgemm_fill_wf_per_rowILj256ELj64ELj8ELj137ELj8EiidEEv20rocsparse_direction_T5_S2_S2_PKS2_S4_NS_24const_host_device_scalarIT6_EEPKT4_S4_PKS6_SA_S4_SC_S7_SA_S4_SC_SA_PS2_PS6_21rocsparse_index_base_SF_SF_SF_bbb
		.amdhsa_group_segment_fixed_size 16512
		.amdhsa_private_segment_fixed_size 0
		.amdhsa_kernarg_size 164
		.amdhsa_user_sgpr_count 15
		.amdhsa_user_sgpr_dispatch_ptr 0
		.amdhsa_user_sgpr_queue_ptr 0
		.amdhsa_user_sgpr_kernarg_segment_ptr 1
		.amdhsa_user_sgpr_dispatch_id 0
		.amdhsa_user_sgpr_private_segment_size 0
		.amdhsa_wavefront_size32 1
		.amdhsa_uses_dynamic_stack 0
		.amdhsa_enable_private_segment 0
		.amdhsa_system_sgpr_workgroup_id_x 1
		.amdhsa_system_sgpr_workgroup_id_y 0
		.amdhsa_system_sgpr_workgroup_id_z 0
		.amdhsa_system_sgpr_workgroup_info 0
		.amdhsa_system_vgpr_workitem_id 0
		.amdhsa_next_free_vgpr 36
		.amdhsa_next_free_sgpr 48
		.amdhsa_reserve_vcc 1
		.amdhsa_float_round_mode_32 0
		.amdhsa_float_round_mode_16_64 0
		.amdhsa_float_denorm_mode_32 3
		.amdhsa_float_denorm_mode_16_64 3
		.amdhsa_dx10_clamp 1
		.amdhsa_ieee_mode 1
		.amdhsa_fp16_overflow 0
		.amdhsa_workgroup_processor_mode 1
		.amdhsa_memory_ordered 1
		.amdhsa_forward_progress 0
		.amdhsa_shared_vgpr_count 0
		.amdhsa_exception_fp_ieee_invalid_op 0
		.amdhsa_exception_fp_denorm_src 0
		.amdhsa_exception_fp_ieee_div_zero 0
		.amdhsa_exception_fp_ieee_overflow 0
		.amdhsa_exception_fp_ieee_underflow 0
		.amdhsa_exception_fp_ieee_inexact 0
		.amdhsa_exception_int_div_zero 0
	.end_amdhsa_kernel
	.section	.text._ZN9rocsparseL23bsrgemm_fill_wf_per_rowILj256ELj64ELj8ELj137ELj8EiidEEv20rocsparse_direction_T5_S2_S2_PKS2_S4_NS_24const_host_device_scalarIT6_EEPKT4_S4_PKS6_SA_S4_SC_S7_SA_S4_SC_SA_PS2_PS6_21rocsparse_index_base_SF_SF_SF_bbb,"axG",@progbits,_ZN9rocsparseL23bsrgemm_fill_wf_per_rowILj256ELj64ELj8ELj137ELj8EiidEEv20rocsparse_direction_T5_S2_S2_PKS2_S4_NS_24const_host_device_scalarIT6_EEPKT4_S4_PKS6_SA_S4_SC_S7_SA_S4_SC_SA_PS2_PS6_21rocsparse_index_base_SF_SF_SF_bbb,comdat
.Lfunc_end38:
	.size	_ZN9rocsparseL23bsrgemm_fill_wf_per_rowILj256ELj64ELj8ELj137ELj8EiidEEv20rocsparse_direction_T5_S2_S2_PKS2_S4_NS_24const_host_device_scalarIT6_EEPKT4_S4_PKS6_SA_S4_SC_S7_SA_S4_SC_SA_PS2_PS6_21rocsparse_index_base_SF_SF_SF_bbb, .Lfunc_end38-_ZN9rocsparseL23bsrgemm_fill_wf_per_rowILj256ELj64ELj8ELj137ELj8EiidEEv20rocsparse_direction_T5_S2_S2_PKS2_S4_NS_24const_host_device_scalarIT6_EEPKT4_S4_PKS6_SA_S4_SC_S7_SA_S4_SC_SA_PS2_PS6_21rocsparse_index_base_SF_SF_SF_bbb
                                        ; -- End function
	.section	.AMDGPU.csdata,"",@progbits
; Kernel info:
; codeLenInByte = 4868
; NumSgprs: 50
; NumVgprs: 36
; ScratchSize: 0
; MemoryBound: 0
; FloatMode: 240
; IeeeMode: 1
; LDSByteSize: 16512 bytes/workgroup (compile time only)
; SGPRBlocks: 6
; VGPRBlocks: 4
; NumSGPRsForWavesPerEU: 50
; NumVGPRsForWavesPerEU: 36
; Occupancy: 14
; WaveLimiterHint : 1
; COMPUTE_PGM_RSRC2:SCRATCH_EN: 0
; COMPUTE_PGM_RSRC2:USER_SGPR: 15
; COMPUTE_PGM_RSRC2:TRAP_HANDLER: 0
; COMPUTE_PGM_RSRC2:TGID_X_EN: 1
; COMPUTE_PGM_RSRC2:TGID_Y_EN: 0
; COMPUTE_PGM_RSRC2:TGID_Z_EN: 0
; COMPUTE_PGM_RSRC2:TIDIG_COMP_CNT: 0
	.section	.text._ZN9rocsparseL38bsrgemm_block_per_row_atomic_multipassILj256ELj16ELj8EiidEEv20rocsparse_direction_T3_S2_PKS2_S4_NS_24const_host_device_scalarIT4_EEPKT2_S4_PKS6_SA_S4_SC_S7_SA_S4_SC_SA_PS2_PS6_PS8_21rocsparse_index_base_SG_SG_SG_bbb,"axG",@progbits,_ZN9rocsparseL38bsrgemm_block_per_row_atomic_multipassILj256ELj16ELj8EiidEEv20rocsparse_direction_T3_S2_PKS2_S4_NS_24const_host_device_scalarIT4_EEPKT2_S4_PKS6_SA_S4_SC_S7_SA_S4_SC_SA_PS2_PS6_PS8_21rocsparse_index_base_SG_SG_SG_bbb,comdat
	.globl	_ZN9rocsparseL38bsrgemm_block_per_row_atomic_multipassILj256ELj16ELj8EiidEEv20rocsparse_direction_T3_S2_PKS2_S4_NS_24const_host_device_scalarIT4_EEPKT2_S4_PKS6_SA_S4_SC_S7_SA_S4_SC_SA_PS2_PS6_PS8_21rocsparse_index_base_SG_SG_SG_bbb ; -- Begin function _ZN9rocsparseL38bsrgemm_block_per_row_atomic_multipassILj256ELj16ELj8EiidEEv20rocsparse_direction_T3_S2_PKS2_S4_NS_24const_host_device_scalarIT4_EEPKT2_S4_PKS6_SA_S4_SC_S7_SA_S4_SC_SA_PS2_PS6_PS8_21rocsparse_index_base_SG_SG_SG_bbb
	.p2align	8
	.type	_ZN9rocsparseL38bsrgemm_block_per_row_atomic_multipassILj256ELj16ELj8EiidEEv20rocsparse_direction_T3_S2_PKS2_S4_NS_24const_host_device_scalarIT4_EEPKT2_S4_PKS6_SA_S4_SC_S7_SA_S4_SC_SA_PS2_PS6_PS8_21rocsparse_index_base_SG_SG_SG_bbb,@function
_ZN9rocsparseL38bsrgemm_block_per_row_atomic_multipassILj256ELj16ELj8EiidEEv20rocsparse_direction_T3_S2_PKS2_S4_NS_24const_host_device_scalarIT4_EEPKT2_S4_PKS6_SA_S4_SC_S7_SA_S4_SC_SA_PS2_PS6_PS8_21rocsparse_index_base_SG_SG_SG_bbb: ; @_ZN9rocsparseL38bsrgemm_block_per_row_atomic_multipassILj256ELj16ELj8EiidEEv20rocsparse_direction_T3_S2_PKS2_S4_NS_24const_host_device_scalarIT4_EEPKT2_S4_PKS6_SA_S4_SC_S7_SA_S4_SC_SA_PS2_PS6_PS8_21rocsparse_index_base_SG_SG_SG_bbb
; %bb.0:
	s_clause 0x3
	s_load_b32 s3, s[0:1], 0xa8
	s_load_b64 s[6:7], s[0:1], 0x20
	s_load_b128 s[28:31], s[0:1], 0x98
	s_load_b64 s[4:5], s[0:1], 0x58
	s_mov_b32 s2, s15
	s_waitcnt lgkmcnt(0)
	s_and_b32 s8, 1, s3
	s_bitcmp1_b32 s3, 16
	s_cselect_b32 s9, -1, 0
	s_cmp_eq_u32 s8, 1
	s_cselect_b32 s8, -1, 0
	s_delay_alu instid0(SALU_CYCLE_1)
	s_and_b32 s10, s8, exec_lo
	s_cselect_b32 s11, s7, 0
	s_cselect_b32 s10, s6, 0
	s_xor_b32 s12, s8, -1
	v_dual_mov_b32 v1, s10 :: v_dual_mov_b32 v2, s11
	s_or_b32 s12, s12, s9
	s_delay_alu instid0(SALU_CYCLE_1)
	s_and_b32 vcc_lo, exec_lo, s12
	s_cbranch_vccnz .LBB39_2
; %bb.1:
	v_dual_mov_b32 v1, s6 :: v_dual_mov_b32 v2, s7
	flat_load_b64 v[1:2], v[1:2]
.LBB39_2:
	s_load_b64 s[6:7], s[0:1], 0x18
	s_bitcmp1_b32 s3, 8
	s_cselect_b32 s11, -1, 0
	s_delay_alu instid0(SALU_CYCLE_1)
	s_and_b32 s3, s11, exec_lo
	s_cselect_b32 s13, s5, 0
	s_cselect_b32 s12, s4, 0
	s_xor_b32 s3, s11, -1
	v_dual_mov_b32 v3, s12 :: v_dual_mov_b32 v4, s13
	s_or_b32 s3, s3, s9
	s_delay_alu instid0(SALU_CYCLE_1)
	s_and_b32 vcc_lo, exec_lo, s3
	s_cbranch_vccnz .LBB39_4
; %bb.3:
	v_dual_mov_b32 v3, s4 :: v_dual_mov_b32 v4, s5
	flat_load_b64 v[3:4], v[3:4]
.LBB39_4:
	s_load_b64 s[4:5], s[0:1], 0x28
	s_waitcnt lgkmcnt(0)
	s_cmp_eq_u64 s[6:7], 0
	s_cbranch_scc1 .LBB39_6
; %bb.5:
	s_load_b64 s[12:13], s[0:1], 0x10
	s_waitcnt lgkmcnt(0)
	s_load_b32 s3, s[12:13], 0x0
	s_waitcnt lgkmcnt(0)
	s_add_i32 s2, s3, s2
	s_mov_b32 s3, 0
	s_delay_alu instid0(SALU_CYCLE_1) | instskip(NEXT) | instid1(SALU_CYCLE_1)
	s_lshl_b64 s[2:3], s[2:3], 2
	s_add_u32 s2, s6, s2
	s_addc_u32 s3, s7, s3
	s_load_b32 s2, s[2:3], 0x0
.LBB39_6:
	s_mov_b32 s33, 0
	s_and_not1_b32 vcc_lo, exec_lo, s8
	s_mov_b32 s46, 0
	s_cbranch_vccz .LBB39_9
; %bb.7:
	s_and_not1_b32 vcc_lo, exec_lo, s8
	s_cbranch_vccz .LBB39_10
.LBB39_8:
	s_load_b128 s[36:39], s[0:1], 0x0
	s_waitcnt lgkmcnt(0)
	s_cmp_lt_i32 s37, 1
	s_cbranch_scc0 .LBB39_11
	s_branch .LBB39_91
.LBB39_9:
	s_waitcnt lgkmcnt(0)
	s_ashr_i32 s3, s2, 31
	s_delay_alu instid0(SALU_CYCLE_1) | instskip(NEXT) | instid1(SALU_CYCLE_1)
	s_lshl_b64 s[6:7], s[2:3], 2
	s_add_u32 s6, s4, s6
	s_addc_u32 s7, s5, s7
	s_load_b32 s3, s[6:7], 0x0
	s_waitcnt lgkmcnt(0)
	s_sub_i32 s46, s3, s28
	s_and_not1_b32 vcc_lo, exec_lo, s8
	s_cbranch_vccnz .LBB39_8
.LBB39_10:
	s_waitcnt lgkmcnt(0)
	s_ashr_i32 s3, s2, 31
	s_delay_alu instid0(SALU_CYCLE_1) | instskip(NEXT) | instid1(SALU_CYCLE_1)
	s_lshl_b64 s[6:7], s[2:3], 2
	s_add_u32 s4, s4, s6
	s_addc_u32 s5, s5, s7
	s_load_b32 s3, s[4:5], 0x4
	s_waitcnt lgkmcnt(0)
	s_sub_i32 s33, s3, s28
	s_load_b128 s[36:39], s[0:1], 0x0
	s_waitcnt lgkmcnt(0)
	s_cmp_lt_i32 s37, 1
	s_cbranch_scc1 .LBB39_91
.LBB39_11:
	s_clause 0x4
	s_load_b256 s[12:19], s[0:1], 0x60
	s_load_b64 s[34:35], s[0:1], 0x90
	s_load_b128 s[40:43], s[0:1], 0x80
	s_load_b64 s[44:45], s[0:1], 0x50
	s_load_b256 s[20:27], s[0:1], 0x30
	s_ashr_i32 s3, s2, 31
	v_and_b32_e32 v5, 7, v0
	s_lshl_b64 s[48:49], s[2:3], 2
	v_bfe_u32 v6, v0, 3, 3
	v_lshrrev_b32_e32 v19, 6, v0
	v_cmp_gt_u32_e64 s0, 16, v0
	v_cmp_eq_u32_e64 s1, 0, v0
	v_dual_mov_b32 v37, 16 :: v_dual_and_b32 v8, 15, v0
	v_lshl_or_b32 v22, v0, 2, 0x2800
	v_or_b32_e32 v23, 0xffffff00, v0
	s_movk_i32 s10, 0x7c0
	s_delay_alu instid0(VALU_DEP_3)
	v_cmp_lt_u32_e64 s4, 1, v8
	v_cmp_lt_u32_e64 s5, 3, v8
	;; [unrolled: 1-line block ×3, first 2 shown]
	s_waitcnt lgkmcnt(0)
	s_add_u32 s2, s18, s48
	s_addc_u32 s3, s19, s49
	v_add_co_u32 v9, s18, v8, -1
	s_load_b32 s9, s[2:3], 0x0
	v_cmp_ne_u32_e64 s3, 0, v8
	v_subrev_nc_u32_e32 v25, s31, v19
	s_delay_alu instid0(VALU_DEP_3)
	v_lshl_add_u32 v27, v9, 2, 0x2800
	v_lshl_or_b32 v33, v19, 2, 0x2800
	v_mov_b32_e32 v35, 1
	s_waitcnt lgkmcnt(0)
	s_sub_i32 s9, s9, s30
	s_cmp_lt_i32 s46, s33
	v_dual_mov_b32 v34, s9 :: v_dual_and_b32 v21, 56, v0
	s_cselect_b32 s39, -1, 0
	s_cmp_eq_u32 s36, 0
	s_cselect_b32 vcc_lo, -1, 0
	v_and_b32_e32 v7, 63, v0
	v_lshlrev_b32_e32 v20, 3, v0
	v_max_i32_e32 v0, v5, v6
	s_cmp_lg_u32 s36, 0
	s_cselect_b32 s19, -1, 0
	s_cmp_gt_i32 s38, 0
	s_delay_alu instid0(VALU_DEP_1)
	v_cmp_gt_i32_e64 s7, s38, v0
	v_cndmask_b32_e32 v0, v5, v6, vcc_lo
	v_cmp_eq_u32_e64 s2, 63, v7
	v_lshlrev_b32_e32 v7, 2, v8
	v_lshlrev_b32_e32 v8, 9, v19
	s_cselect_b32 s36, -1, 0
	s_add_u32 s12, s12, s48
	s_addc_u32 s13, s13, s49
	s_and_b32 s39, s8, s39
	v_or3_b32 v31, v8, v21, 0x2000
	v_mov_b32_e32 v8, 0
	s_add_u32 s47, s24, 4
	s_addc_u32 s48, s25, 0
	s_mul_i32 s49, s38, s38
	s_delay_alu instid0(VALU_DEP_1)
	v_mov_b32_e32 v9, v8
	v_mov_b32_e32 v36, v8
	v_or_b32_e32 v26, 0x2800, v7
	v_add_nc_u32_e32 v28, 0x27f8, v7
	v_add_nc_u32_e32 v29, 0x27f0, v7
	v_dual_cndmask_b32 v7, v6, v5 :: v_dual_add_nc_u32 v30, 0x27e0, v7
	v_or_b32_e32 v24, 0x2000, v20
	v_and_or_b32 v32, v20, s10, 0x2000
	s_branch .LBB39_13
.LBB39_12:                              ;   in Loop: Header=BB39_13 Depth=1
	s_set_inst_prefetch_distance 0x2
	s_or_b32 exec_lo, exec_lo, s8
	s_waitcnt_vscnt null, 0x0
	s_barrier
	buffer_gl0_inv
	ds_load_b32 v36, v8 offset:10304
	v_add_nc_u32_e32 v34, v12, v34
	s_waitcnt lgkmcnt(0)
	s_barrier
	buffer_gl0_inv
	v_cmp_le_i32_e32 vcc_lo, s37, v36
	v_add_nc_u32_e32 v37, 16, v36
	s_cbranch_vccnz .LBB39_91
.LBB39_13:                              ; =>This Loop Header: Depth=1
                                        ;     Child Loop BB39_16 Depth 2
                                        ;     Child Loop BB39_22 Depth 2
                                        ;       Child Loop BB39_34 Depth 3
                                        ;         Child Loop BB39_43 Depth 4
                                        ;         Child Loop BB39_48 Depth 4
	;; [unrolled: 1-line block ×3, first 2 shown]
                                        ;     Child Loop BB39_61 Depth 2
                                        ;       Child Loop BB39_66 Depth 3
                                        ;     Child Loop BB39_71 Depth 2
                                        ;     Child Loop BB39_88 Depth 2
	s_and_saveexec_b32 s8, s0
	s_cbranch_execz .LBB39_15
; %bb.14:                               ;   in Loop: Header=BB39_13 Depth=1
	ds_store_b32 v22, v8
.LBB39_15:                              ;   in Loop: Header=BB39_13 Depth=1
	s_or_b32 exec_lo, exec_lo, s8
	v_dual_mov_b32 v10, v20 :: v_dual_mov_b32 v11, v23
	s_mov_b32 s8, 0
.LBB39_16:                              ;   Parent Loop BB39_13 Depth=1
                                        ; =>  This Inner Loop Header: Depth=2
	s_delay_alu instid0(VALU_DEP_1) | instskip(SKIP_4) | instid1(SALU_CYCLE_1)
	v_add_nc_u32_e32 v11, 0x100, v11
	ds_store_b64 v10, v[8:9]
	v_add_nc_u32_e32 v10, 0x800, v10
	v_cmp_lt_u32_e32 vcc_lo, 0x2ff, v11
	s_or_b32 s8, vcc_lo, s8
	s_and_not1_b32 exec_lo, exec_lo, s8
	s_cbranch_execnz .LBB39_16
; %bb.17:                               ;   in Loop: Header=BB39_13 Depth=1
	s_or_b32 exec_lo, exec_lo, s8
	s_and_saveexec_b32 s8, s1
	s_cbranch_execz .LBB39_19
; %bb.18:                               ;   in Loop: Header=BB39_13 Depth=1
	v_mov_b32_e32 v10, s37
	ds_store_b32 v8, v10 offset:10304
.LBB39_19:                              ;   in Loop: Header=BB39_13 Depth=1
	s_or_b32 exec_lo, exec_lo, s8
	v_mov_b32_e32 v38, s37
	s_and_not1_b32 vcc_lo, exec_lo, s39
	s_waitcnt vmcnt(0) lgkmcnt(0)
	s_barrier
	buffer_gl0_inv
	s_cbranch_vccnz .LBB39_56
; %bb.20:                               ;   in Loop: Header=BB39_13 Depth=1
	v_cmp_ne_u32_e64 s8, 0, v36
	v_mov_b32_e32 v38, s37
	s_mov_b32 s50, s46
	s_branch .LBB39_22
.LBB39_21:                              ;   in Loop: Header=BB39_22 Depth=2
	s_or_b32 exec_lo, exec_lo, s10
	s_add_i32 s50, s50, 4
	s_delay_alu instid0(SALU_CYCLE_1)
	s_cmp_lt_i32 s50, s33
	s_cbranch_scc0 .LBB39_56
.LBB39_22:                              ;   Parent Loop BB39_13 Depth=1
                                        ; =>  This Loop Header: Depth=2
                                        ;       Child Loop BB39_34 Depth 3
                                        ;         Child Loop BB39_43 Depth 4
                                        ;         Child Loop BB39_48 Depth 4
	;; [unrolled: 1-line block ×3, first 2 shown]
	v_add_nc_u32_e32 v10, s50, v19
	s_waitcnt_vscnt null, 0x0
	s_barrier
	buffer_gl0_inv
	v_cmp_gt_i32_e64 s9, s33, v10
	s_delay_alu instid0(VALU_DEP_1)
	s_and_saveexec_b32 s10, s9
	s_cbranch_execz .LBB39_26
; %bb.23:                               ;   in Loop: Header=BB39_22 Depth=2
	v_mov_b32_e32 v11, 0
	v_mov_b32_e32 v12, 0
	s_and_saveexec_b32 s51, s7
	s_cbranch_execz .LBB39_25
; %bb.24:                               ;   in Loop: Header=BB39_22 Depth=2
	v_mad_u64_u32 v[11:12], null, v10, s38, v[6:7]
	s_delay_alu instid0(VALU_DEP_1) | instskip(NEXT) | instid1(VALU_DEP_1)
	v_mad_u64_u32 v[12:13], null, v11, s38, v[5:6]
	v_ashrrev_i32_e32 v13, 31, v12
	s_delay_alu instid0(VALU_DEP_1) | instskip(NEXT) | instid1(VALU_DEP_1)
	v_lshlrev_b64 v[11:12], 3, v[12:13]
	v_add_co_u32 v11, vcc_lo, s22, v11
	s_delay_alu instid0(VALU_DEP_2)
	v_add_co_ci_u32_e32 v12, vcc_lo, s23, v12, vcc_lo
	global_load_b64 v[11:12], v[11:12], off
.LBB39_25:                              ;   in Loop: Header=BB39_22 Depth=2
	s_or_b32 exec_lo, exec_lo, s51
	s_waitcnt vmcnt(0)
	ds_store_b64 v24, v[11:12]
.LBB39_26:                              ;   in Loop: Header=BB39_22 Depth=2
	s_or_b32 exec_lo, exec_lo, s10
	v_mov_b32_e32 v12, 0
	v_ashrrev_i32_e32 v11, 31, v10
	s_waitcnt lgkmcnt(0)
	s_barrier
	buffer_gl0_inv
	s_and_saveexec_b32 s51, s9
	s_cbranch_execz .LBB39_53
; %bb.27:                               ;   in Loop: Header=BB39_22 Depth=2
	v_lshlrev_b64 v[15:16], 2, v[10:11]
	s_delay_alu instid0(VALU_DEP_1) | instskip(NEXT) | instid1(VALU_DEP_2)
	v_add_co_u32 v12, vcc_lo, s20, v15
	v_add_co_ci_u32_e32 v13, vcc_lo, s21, v16, vcc_lo
	s_and_b32 vcc_lo, exec_lo, s8
	global_load_b32 v12, v[12:13], off
	s_waitcnt vmcnt(0)
	v_subrev_nc_u32_e32 v13, s28, v12
	s_delay_alu instid0(VALU_DEP_1)
	v_ashrrev_i32_e32 v14, 31, v13
	s_cbranch_vccz .LBB39_55
; %bb.28:                               ;   in Loop: Header=BB39_22 Depth=2
	v_add_co_u32 v15, vcc_lo, s34, v15
	v_add_co_ci_u32_e32 v16, vcc_lo, s35, v16, vcc_lo
	global_load_b32 v12, v[15:16], off
	s_cbranch_execnz .LBB39_30
.LBB39_29:                              ;   in Loop: Header=BB39_22 Depth=2
	s_delay_alu instid0(VALU_DEP_1) | instskip(NEXT) | instid1(VALU_DEP_1)
	v_lshlrev_b64 v[15:16], 2, v[13:14]
	v_add_co_u32 v15, vcc_lo, s24, v15
	s_delay_alu instid0(VALU_DEP_2)
	v_add_co_ci_u32_e32 v16, vcc_lo, s25, v16, vcc_lo
	global_load_b32 v12, v[15:16], off
	s_waitcnt vmcnt(0)
	v_subrev_nc_u32_e32 v12, s29, v12
.LBB39_30:                              ;   in Loop: Header=BB39_22 Depth=2
	v_lshlrev_b64 v[13:14], 2, v[13:14]
	s_mov_b32 s52, exec_lo
	s_delay_alu instid0(VALU_DEP_1) | instskip(NEXT) | instid1(VALU_DEP_2)
	v_add_co_u32 v13, vcc_lo, s47, v13
	v_add_co_ci_u32_e32 v14, vcc_lo, s48, v14, vcc_lo
	global_load_b32 v13, v[13:14], off
	s_waitcnt vmcnt(0)
	v_subrev_nc_u32_e32 v39, s29, v13
	s_delay_alu instid0(VALU_DEP_1)
	v_cmpx_lt_i32_e64 v12, v39
	s_cbranch_execz .LBB39_52
; %bb.31:                               ;   in Loop: Header=BB39_22 Depth=2
	v_mad_u64_u32 v[13:14], null, s38, v12, v[5:6]
	v_mad_u64_u32 v[14:15], null, s49, v12, v[5:6]
	v_mov_b32_e32 v41, v12
	s_mov_b32 s53, 0
	s_delay_alu instid0(VALU_DEP_3)
	v_mul_lo_u32 v40, s38, v13
	s_branch .LBB39_34
.LBB39_32:                              ;   in Loop: Header=BB39_34 Depth=3
	s_or_b32 exec_lo, exec_lo, s56
	s_delay_alu instid0(SALU_CYCLE_1)
	s_or_b32 s54, s54, exec_lo
.LBB39_33:                              ;   in Loop: Header=BB39_34 Depth=3
	s_or_b32 exec_lo, exec_lo, s55
	v_add_nc_u32_e32 v12, 1, v12
	s_xor_b32 s10, s54, -1
	v_add_nc_u32_e32 v40, s49, v40
	v_add_nc_u32_e32 v14, s49, v14
	s_delay_alu instid0(VALU_DEP_3) | instskip(SKIP_1) | instid1(SALU_CYCLE_1)
	v_cmp_ge_i32_e32 vcc_lo, v12, v39
	s_or_b32 s10, s10, vcc_lo
	s_and_b32 s10, exec_lo, s10
	s_delay_alu instid0(SALU_CYCLE_1) | instskip(NEXT) | instid1(SALU_CYCLE_1)
	s_or_b32 s53, s10, s53
	s_and_not1_b32 exec_lo, exec_lo, s53
	s_cbranch_execz .LBB39_51
.LBB39_34:                              ;   Parent Loop BB39_13 Depth=1
                                        ;     Parent Loop BB39_22 Depth=2
                                        ; =>    This Loop Header: Depth=3
                                        ;         Child Loop BB39_43 Depth 4
                                        ;         Child Loop BB39_48 Depth 4
	;; [unrolled: 1-line block ×3, first 2 shown]
	v_ashrrev_i32_e32 v13, 31, v12
                                        ; implicit-def: $sgpr54
	s_delay_alu instid0(VALU_DEP_1) | instskip(NEXT) | instid1(VALU_DEP_1)
	v_lshlrev_b64 v[15:16], 2, v[12:13]
	v_add_co_u32 v15, vcc_lo, s26, v15
	s_delay_alu instid0(VALU_DEP_2) | instskip(SKIP_3) | instid1(VALU_DEP_1)
	v_add_co_ci_u32_e32 v16, vcc_lo, s27, v16, vcc_lo
	global_load_b32 v13, v[15:16], off
	s_waitcnt vmcnt(0)
	v_subrev_nc_u32_e32 v13, s29, v13
	v_cmp_lt_i32_e64 s10, v13, v36
	v_cmp_ge_i32_e32 vcc_lo, v13, v37
	s_delay_alu instid0(VALU_DEP_2) | instskip(NEXT) | instid1(SALU_CYCLE_1)
	s_or_b32 s10, s10, vcc_lo
	s_and_saveexec_b32 s55, s10
	s_delay_alu instid0(SALU_CYCLE_1)
	s_xor_b32 s10, exec_lo, s55
	s_cbranch_execz .LBB39_38
; %bb.35:                               ;   in Loop: Header=BB39_34 Depth=3
	s_mov_b32 s54, -1
	s_and_saveexec_b32 s55, vcc_lo
; %bb.36:                               ;   in Loop: Header=BB39_34 Depth=3
	v_min_i32_e32 v38, v13, v38
	v_mov_b32_e32 v41, v12
	s_xor_b32 s54, exec_lo, -1
; %bb.37:                               ;   in Loop: Header=BB39_34 Depth=3
	s_or_b32 exec_lo, exec_lo, s55
	s_delay_alu instid0(SALU_CYCLE_1)
	s_and_b32 s54, s54, exec_lo
                                        ; implicit-def: $vgpr13
.LBB39_38:                              ;   in Loop: Header=BB39_34 Depth=3
	s_and_not1_saveexec_b32 s55, s10
	s_cbranch_execz .LBB39_33
; %bb.39:                               ;   in Loop: Header=BB39_34 Depth=3
	v_sub_nc_u32_e32 v13, v13, v36
	s_delay_alu instid0(VALU_DEP_1)
	v_lshlrev_b32_e32 v15, 2, v13
	ds_store_b32 v15, v35 offset:10240
	s_and_saveexec_b32 s56, s7
	s_cbranch_execz .LBB39_32
; %bb.40:                               ;   in Loop: Header=BB39_34 Depth=3
	v_cndmask_b32_e64 v15, 0, 1, s36
	s_and_not1_b32 vcc_lo, exec_lo, s19
	s_delay_alu instid0(VALU_DEP_1)
	v_cmp_ne_u32_e64 s10, 1, v15
	s_cbranch_vccnz .LBB39_45
; %bb.41:                               ;   in Loop: Header=BB39_34 Depth=3
	v_mov_b32_e32 v15, 0
	v_mov_b32_e32 v16, 0
	s_delay_alu instid0(VALU_DEP_3)
	s_and_b32 vcc_lo, exec_lo, s10
	s_cbranch_vccnz .LBB39_44
; %bb.42:                               ;   in Loop: Header=BB39_34 Depth=3
	v_dual_mov_b32 v17, v40 :: v_dual_mov_b32 v42, v31
	s_mov_b32 s10, s38
	.p2align	6
.LBB39_43:                              ;   Parent Loop BB39_13 Depth=1
                                        ;     Parent Loop BB39_22 Depth=2
                                        ;       Parent Loop BB39_34 Depth=3
                                        ; =>      This Inner Loop Header: Depth=4
	s_delay_alu instid0(VALU_DEP_1) | instskip(SKIP_3) | instid1(SALU_CYCLE_1)
	v_ashrrev_i32_e32 v18, 31, v17
	ds_load_b64 v[45:46], v42
	v_add_nc_u32_e32 v42, 64, v42
	s_add_i32 s10, s10, -1
	s_cmp_lg_u32 s10, 0
	v_lshlrev_b64 v[43:44], 3, v[17:18]
	v_add_nc_u32_e32 v17, 1, v17
	s_delay_alu instid0(VALU_DEP_2) | instskip(NEXT) | instid1(VALU_DEP_3)
	v_add_co_u32 v43, vcc_lo, s44, v43
	v_add_co_ci_u32_e32 v44, vcc_lo, s45, v44, vcc_lo
	global_load_b64 v[43:44], v[43:44], off
	s_waitcnt vmcnt(0) lgkmcnt(0)
	v_fma_f64 v[15:16], v[45:46], v[43:44], v[15:16]
	s_cbranch_scc1 .LBB39_43
.LBB39_44:                              ;   in Loop: Header=BB39_34 Depth=3
	s_cbranch_execz .LBB39_46
	s_branch .LBB39_49
.LBB39_45:                              ;   in Loop: Header=BB39_34 Depth=3
                                        ; implicit-def: $vgpr15_vgpr16
.LBB39_46:                              ;   in Loop: Header=BB39_34 Depth=3
	v_mov_b32_e32 v15, 0
	v_mov_b32_e32 v16, 0
	s_and_not1_b32 vcc_lo, exec_lo, s36
	s_cbranch_vccnz .LBB39_49
; %bb.47:                               ;   in Loop: Header=BB39_34 Depth=3
	v_dual_mov_b32 v42, v32 :: v_dual_mov_b32 v17, v14
	s_mov_b32 s10, s38
	.p2align	6
.LBB39_48:                              ;   Parent Loop BB39_13 Depth=1
                                        ;     Parent Loop BB39_22 Depth=2
                                        ;       Parent Loop BB39_34 Depth=3
                                        ; =>      This Inner Loop Header: Depth=4
	s_delay_alu instid0(VALU_DEP_1) | instskip(SKIP_3) | instid1(SALU_CYCLE_1)
	v_ashrrev_i32_e32 v18, 31, v17
	ds_load_b64 v[45:46], v42
	v_add_nc_u32_e32 v42, 8, v42
	s_add_i32 s10, s10, -1
	s_cmp_eq_u32 s10, 0
	v_lshlrev_b64 v[43:44], 3, v[17:18]
	v_add_nc_u32_e32 v17, s38, v17
	s_delay_alu instid0(VALU_DEP_2) | instskip(NEXT) | instid1(VALU_DEP_3)
	v_add_co_u32 v43, vcc_lo, s44, v43
	v_add_co_ci_u32_e32 v44, vcc_lo, s45, v44, vcc_lo
	global_load_b64 v[43:44], v[43:44], off
	s_waitcnt vmcnt(0) lgkmcnt(0)
	v_fma_f64 v[15:16], v[45:46], v[43:44], v[15:16]
	s_cbranch_scc0 .LBB39_48
.LBB39_49:                              ;   in Loop: Header=BB39_34 Depth=3
	s_delay_alu instid0(VALU_DEP_1) | instskip(SKIP_2) | instid1(VALU_DEP_1)
	v_mul_f64 v[15:16], v[1:2], v[15:16]
	v_lshlrev_b32_e32 v13, 6, v13
	s_mov_b32 s10, 0
	v_or3_b32 v13, v13, v21, v5
	s_delay_alu instid0(VALU_DEP_1)
	v_lshlrev_b32_e32 v13, 3, v13
	ds_load_b64 v[17:18], v13
.LBB39_50:                              ;   Parent Loop BB39_13 Depth=1
                                        ;     Parent Loop BB39_22 Depth=2
                                        ;       Parent Loop BB39_34 Depth=3
                                        ; =>      This Inner Loop Header: Depth=4
	s_waitcnt lgkmcnt(0)
	v_add_f64 v[42:43], v[17:18], v[15:16]
	ds_cmpstore_rtn_b64 v[42:43], v13, v[42:43], v[17:18]
	s_waitcnt lgkmcnt(0)
	v_cmp_eq_u64_e32 vcc_lo, v[42:43], v[17:18]
	v_dual_mov_b32 v17, v42 :: v_dual_mov_b32 v18, v43
	s_or_b32 s10, vcc_lo, s10
	s_delay_alu instid0(SALU_CYCLE_1)
	s_and_not1_b32 exec_lo, exec_lo, s10
	s_cbranch_execnz .LBB39_50
	s_branch .LBB39_32
.LBB39_51:                              ;   in Loop: Header=BB39_22 Depth=2
	s_or_b32 exec_lo, exec_lo, s53
	v_mov_b32_e32 v12, v41
.LBB39_52:                              ;   in Loop: Header=BB39_22 Depth=2
	s_or_b32 exec_lo, exec_lo, s52
.LBB39_53:                              ;   in Loop: Header=BB39_22 Depth=2
	s_delay_alu instid0(SALU_CYCLE_1)
	s_or_b32 exec_lo, exec_lo, s51
	s_waitcnt lgkmcnt(0)
	s_barrier
	buffer_gl0_inv
	s_and_saveexec_b32 s10, s9
	s_cbranch_execz .LBB39_21
; %bb.54:                               ;   in Loop: Header=BB39_22 Depth=2
	v_lshlrev_b64 v[10:11], 2, v[10:11]
	s_delay_alu instid0(VALU_DEP_1) | instskip(NEXT) | instid1(VALU_DEP_2)
	v_add_co_u32 v10, vcc_lo, s34, v10
	v_add_co_ci_u32_e32 v11, vcc_lo, s35, v11, vcc_lo
	global_store_b32 v[10:11], v12, off
	s_branch .LBB39_21
.LBB39_55:                              ;   in Loop: Header=BB39_22 Depth=2
                                        ; implicit-def: $vgpr12
	s_branch .LBB39_29
.LBB39_56:                              ;   in Loop: Header=BB39_13 Depth=1
	s_and_not1_b32 vcc_lo, exec_lo, s11
	s_cbranch_vccnz .LBB39_69
; %bb.57:                               ;   in Loop: Header=BB39_13 Depth=1
	s_load_b64 s[8:9], s[12:13], 0x0
	s_mov_b32 s10, exec_lo
	s_waitcnt lgkmcnt(0)
	v_add_nc_u32_e32 v10, s8, v25
	s_sub_i32 s50, s9, s31
	s_delay_alu instid0(VALU_DEP_1) | instid1(SALU_CYCLE_1)
	v_cmpx_gt_i32_e64 s50, v10
	s_cbranch_execz .LBB39_68
; %bb.58:                               ;   in Loop: Header=BB39_13 Depth=1
	s_mov_b32 s51, 0
	s_branch .LBB39_61
.LBB39_59:                              ;   in Loop: Header=BB39_61 Depth=2
	s_or_b32 exec_lo, exec_lo, s52
	s_delay_alu instid0(SALU_CYCLE_1)
	s_or_b32 s8, s8, exec_lo
.LBB39_60:                              ;   in Loop: Header=BB39_61 Depth=2
	s_or_b32 exec_lo, exec_lo, s9
	v_add_nc_u32_e32 v10, 4, v10
	s_xor_b32 s8, s8, -1
	s_delay_alu instid0(VALU_DEP_1) | instskip(SKIP_1) | instid1(SALU_CYCLE_1)
	v_cmp_le_i32_e32 vcc_lo, s50, v10
	s_or_b32 s8, vcc_lo, s8
	s_and_b32 s8, exec_lo, s8
	s_delay_alu instid0(SALU_CYCLE_1) | instskip(NEXT) | instid1(SALU_CYCLE_1)
	s_or_b32 s51, s8, s51
	s_and_not1_b32 exec_lo, exec_lo, s51
	s_cbranch_execz .LBB39_67
.LBB39_61:                              ;   Parent Loop BB39_13 Depth=1
                                        ; =>  This Loop Header: Depth=2
                                        ;       Child Loop BB39_66 Depth 3
	v_ashrrev_i32_e32 v11, 31, v10
	s_delay_alu instid0(VALU_DEP_1) | instskip(NEXT) | instid1(VALU_DEP_1)
	v_lshlrev_b64 v[11:12], 2, v[10:11]
	v_add_co_u32 v11, vcc_lo, s14, v11
	s_delay_alu instid0(VALU_DEP_2) | instskip(SKIP_3) | instid1(VALU_DEP_1)
	v_add_co_ci_u32_e32 v12, vcc_lo, s15, v12, vcc_lo
	global_load_b32 v11, v[11:12], off
	s_waitcnt vmcnt(0)
	v_subrev_nc_u32_e32 v11, s31, v11
	v_cmp_lt_i32_e64 s8, v11, v36
	v_cmp_ge_i32_e64 s9, v11, v37
	v_cmp_lt_i32_e32 vcc_lo, v11, v37
	s_delay_alu instid0(VALU_DEP_2) | instskip(NEXT) | instid1(SALU_CYCLE_1)
	s_or_b32 s9, s8, s9
                                        ; implicit-def: $sgpr8
	s_and_saveexec_b32 s52, s9
	s_delay_alu instid0(SALU_CYCLE_1)
	s_xor_b32 s9, exec_lo, s52
; %bb.62:                               ;   in Loop: Header=BB39_61 Depth=2
	v_min_i32_e32 v11, v11, v38
	s_and_b32 s8, vcc_lo, exec_lo
	s_delay_alu instid0(VALU_DEP_1)
	v_cndmask_b32_e32 v38, v11, v38, vcc_lo
                                        ; implicit-def: $vgpr11
; %bb.63:                               ;   in Loop: Header=BB39_61 Depth=2
	s_and_not1_saveexec_b32 s9, s9
	s_cbranch_execz .LBB39_60
; %bb.64:                               ;   in Loop: Header=BB39_61 Depth=2
	v_sub_nc_u32_e32 v13, v11, v36
	s_delay_alu instid0(VALU_DEP_1)
	v_lshlrev_b32_e32 v11, 2, v13
	ds_store_b32 v11, v35 offset:10240
	s_and_saveexec_b32 s52, s7
	s_cbranch_execz .LBB39_59
; %bb.65:                               ;   in Loop: Header=BB39_61 Depth=2
	v_mad_u64_u32 v[11:12], null, v10, s38, v[0:1]
	v_lshlrev_b32_e32 v13, 6, v13
	s_mov_b32 s53, 0
	s_delay_alu instid0(VALU_DEP_1) | instskip(NEXT) | instid1(VALU_DEP_3)
	v_or3_b32 v13, v13, v21, v5
	v_mad_u64_u32 v[14:15], null, v11, s38, v[7:8]
	s_delay_alu instid0(VALU_DEP_1) | instskip(NEXT) | instid1(VALU_DEP_1)
	v_ashrrev_i32_e32 v15, 31, v14
	v_lshlrev_b64 v[11:12], 3, v[14:15]
	s_delay_alu instid0(VALU_DEP_4)
	v_lshlrev_b32_e32 v15, 3, v13
	ds_load_b64 v[13:14], v15
	v_add_co_u32 v11, vcc_lo, s16, v11
	v_add_co_ci_u32_e32 v12, vcc_lo, s17, v12, vcc_lo
	global_load_b64 v[11:12], v[11:12], off
	s_waitcnt vmcnt(0)
	v_mul_f64 v[11:12], v[3:4], v[11:12]
.LBB39_66:                              ;   Parent Loop BB39_13 Depth=1
                                        ;     Parent Loop BB39_61 Depth=2
                                        ; =>    This Inner Loop Header: Depth=3
	s_waitcnt lgkmcnt(0)
	s_delay_alu instid0(VALU_DEP_1)
	v_add_f64 v[16:17], v[13:14], v[11:12]
	ds_cmpstore_rtn_b64 v[16:17], v15, v[16:17], v[13:14]
	s_waitcnt lgkmcnt(0)
	v_cmp_eq_u64_e32 vcc_lo, v[16:17], v[13:14]
	v_dual_mov_b32 v13, v16 :: v_dual_mov_b32 v14, v17
	s_or_b32 s53, vcc_lo, s53
	s_delay_alu instid0(SALU_CYCLE_1)
	s_and_not1_b32 exec_lo, exec_lo, s53
	s_cbranch_execnz .LBB39_66
	s_branch .LBB39_59
.LBB39_67:                              ;   in Loop: Header=BB39_13 Depth=1
	s_or_b32 exec_lo, exec_lo, s51
.LBB39_68:                              ;   in Loop: Header=BB39_13 Depth=1
	s_delay_alu instid0(SALU_CYCLE_1)
	s_or_b32 exec_lo, exec_lo, s10
.LBB39_69:                              ;   in Loop: Header=BB39_13 Depth=1
	s_and_saveexec_b32 s8, s2
	s_cbranch_execz .LBB39_74
; %bb.70:                               ;   in Loop: Header=BB39_13 Depth=1
	s_mov_b32 s10, exec_lo
	s_brev_b32 s9, -2
.LBB39_71:                              ;   Parent Loop BB39_13 Depth=1
                                        ; =>  This Inner Loop Header: Depth=2
	s_ctz_i32_b32 s50, s10
	s_delay_alu instid0(SALU_CYCLE_1) | instskip(SKIP_1) | instid1(SALU_CYCLE_1)
	v_readlane_b32 s51, v38, s50
	s_lshl_b32 s50, 1, s50
	s_and_not1_b32 s10, s10, s50
	s_delay_alu instid0(VALU_DEP_1)
	s_min_i32 s9, s9, s51
	s_cmp_lg_u32 s10, 0
	s_cbranch_scc1 .LBB39_71
; %bb.72:                               ;   in Loop: Header=BB39_13 Depth=1
	v_mbcnt_lo_u32_b32 v10, exec_lo, 0
	s_mov_b32 s10, exec_lo
	s_delay_alu instid0(VALU_DEP_1)
	v_cmpx_eq_u32_e32 0, v10
	s_xor_b32 s10, exec_lo, s10
	s_cbranch_execz .LBB39_74
; %bb.73:                               ;   in Loop: Header=BB39_13 Depth=1
	v_mov_b32_e32 v10, s9
	ds_min_i32 v8, v10 offset:10304
.LBB39_74:                              ;   in Loop: Header=BB39_13 Depth=1
	s_or_b32 exec_lo, exec_lo, s8
	s_waitcnt lgkmcnt(0)
	s_waitcnt_vscnt null, 0x0
	s_barrier
	buffer_gl0_inv
	ds_load_b32 v10, v26
	s_waitcnt lgkmcnt(0)
	s_barrier
	buffer_gl0_inv
	s_and_saveexec_b32 s8, s3
	s_cbranch_execz .LBB39_76
; %bb.75:                               ;   in Loop: Header=BB39_13 Depth=1
	ds_load_b32 v11, v27
	s_waitcnt lgkmcnt(0)
	v_add_nc_u32_e32 v10, v11, v10
.LBB39_76:                              ;   in Loop: Header=BB39_13 Depth=1
	s_or_b32 exec_lo, exec_lo, s8
	s_barrier
	buffer_gl0_inv
	ds_store_b32 v26, v10
	s_waitcnt lgkmcnt(0)
	s_barrier
	buffer_gl0_inv
	s_and_saveexec_b32 s8, s4
	s_cbranch_execz .LBB39_78
; %bb.77:                               ;   in Loop: Header=BB39_13 Depth=1
	ds_load_b32 v11, v28
	s_waitcnt lgkmcnt(0)
	v_add_nc_u32_e32 v10, v11, v10
.LBB39_78:                              ;   in Loop: Header=BB39_13 Depth=1
	s_or_b32 exec_lo, exec_lo, s8
	s_barrier
	buffer_gl0_inv
	ds_store_b32 v26, v10
	;; [unrolled: 14-line block ×4, first 2 shown]
	s_waitcnt lgkmcnt(0)
	s_barrier
	buffer_gl0_inv
	ds_load_b32 v12, v8 offset:10300
	v_mov_b32_e32 v11, 0
	s_and_saveexec_b32 s8, s18
	s_cbranch_execz .LBB39_84
; %bb.83:                               ;   in Loop: Header=BB39_13 Depth=1
	ds_load_b32 v11, v27
.LBB39_84:                              ;   in Loop: Header=BB39_13 Depth=1
	s_or_b32 exec_lo, exec_lo, s8
	s_waitcnt lgkmcnt(0)
	v_cmp_eq_u32_e32 vcc_lo, v10, v11
	s_barrier
	buffer_gl0_inv
	s_and_b32 s9, s18, vcc_lo
	s_delay_alu instid0(SALU_CYCLE_1)
	s_and_saveexec_b32 s8, s9
	s_cbranch_execz .LBB39_86
; %bb.85:                               ;   in Loop: Header=BB39_13 Depth=1
	ds_store_b32 v26, v8
.LBB39_86:                              ;   in Loop: Header=BB39_13 Depth=1
	s_or_b32 exec_lo, exec_lo, s8
	v_dual_mov_b32 v16, v20 :: v_dual_add_nc_u32 v13, -1, v34
	v_dual_mov_b32 v15, v33 :: v_dual_add_nc_u32 v14, s30, v36
	v_mov_b32_e32 v17, v19
	s_mov_b32 s8, 0
	s_waitcnt lgkmcnt(0)
	s_barrier
	buffer_gl0_inv
	s_set_inst_prefetch_distance 0x1
	s_branch .LBB39_88
	.p2align	6
.LBB39_87:                              ;   in Loop: Header=BB39_88 Depth=2
	s_or_b32 exec_lo, exec_lo, s9
	v_add_nc_u32_e32 v10, 4, v17
	v_cmp_lt_u32_e32 vcc_lo, 11, v17
	v_add_nc_u32_e32 v16, 0x800, v16
	v_add_nc_u32_e32 v15, 16, v15
	s_delay_alu instid0(VALU_DEP_4) | instskip(SKIP_1) | instid1(SALU_CYCLE_1)
	v_mov_b32_e32 v17, v10
	s_or_b32 s8, vcc_lo, s8
	s_and_not1_b32 exec_lo, exec_lo, s8
	s_cbranch_execz .LBB39_12
.LBB39_88:                              ;   Parent Loop BB39_13 Depth=1
                                        ; =>  This Inner Loop Header: Depth=2
	ds_load_b32 v10, v15
	s_mov_b32 s9, exec_lo
	s_waitcnt lgkmcnt(0)
	v_cmpx_ne_u32_e32 0, v10
	s_cbranch_execz .LBB39_87
; %bb.89:                               ;   in Loop: Header=BB39_88 Depth=2
	v_add_nc_u32_e32 v10, v13, v10
	s_delay_alu instid0(VALU_DEP_1) | instskip(NEXT) | instid1(VALU_DEP_1)
	v_ashrrev_i32_e32 v11, 31, v10
	v_lshlrev_b64 v[36:37], 2, v[10:11]
	v_add_nc_u32_e32 v11, v14, v17
	s_delay_alu instid0(VALU_DEP_2) | instskip(NEXT) | instid1(VALU_DEP_3)
	v_add_co_u32 v36, vcc_lo, s40, v36
	v_add_co_ci_u32_e32 v37, vcc_lo, s41, v37, vcc_lo
	global_store_b32 v[36:37], v11, off
	s_and_b32 exec_lo, exec_lo, s7
	s_cbranch_execz .LBB39_87
; %bb.90:                               ;   in Loop: Header=BB39_88 Depth=2
	v_mad_u64_u32 v[36:37], null, v10, s38, v[0:1]
	s_delay_alu instid0(VALU_DEP_1) | instskip(SKIP_2) | instid1(VALU_DEP_1)
	v_mad_u64_u32 v[10:11], null, v36, s38, v[7:8]
	ds_load_b64 v[36:37], v16
	v_ashrrev_i32_e32 v11, 31, v10
	v_lshlrev_b64 v[10:11], 3, v[10:11]
	s_delay_alu instid0(VALU_DEP_1) | instskip(NEXT) | instid1(VALU_DEP_2)
	v_add_co_u32 v10, vcc_lo, s42, v10
	v_add_co_ci_u32_e32 v11, vcc_lo, s43, v11, vcc_lo
	s_waitcnt lgkmcnt(0)
	global_store_b64 v[10:11], v[36:37], off
	s_branch .LBB39_87
.LBB39_91:
	s_endpgm
	.section	.rodata,"a",@progbits
	.p2align	6, 0x0
	.amdhsa_kernel _ZN9rocsparseL38bsrgemm_block_per_row_atomic_multipassILj256ELj16ELj8EiidEEv20rocsparse_direction_T3_S2_PKS2_S4_NS_24const_host_device_scalarIT4_EEPKT2_S4_PKS6_SA_S4_SC_S7_SA_S4_SC_SA_PS2_PS6_PS8_21rocsparse_index_base_SG_SG_SG_bbb
		.amdhsa_group_segment_fixed_size 10312
		.amdhsa_private_segment_fixed_size 0
		.amdhsa_kernarg_size 172
		.amdhsa_user_sgpr_count 15
		.amdhsa_user_sgpr_dispatch_ptr 0
		.amdhsa_user_sgpr_queue_ptr 0
		.amdhsa_user_sgpr_kernarg_segment_ptr 1
		.amdhsa_user_sgpr_dispatch_id 0
		.amdhsa_user_sgpr_private_segment_size 0
		.amdhsa_wavefront_size32 1
		.amdhsa_uses_dynamic_stack 0
		.amdhsa_enable_private_segment 0
		.amdhsa_system_sgpr_workgroup_id_x 1
		.amdhsa_system_sgpr_workgroup_id_y 0
		.amdhsa_system_sgpr_workgroup_id_z 0
		.amdhsa_system_sgpr_workgroup_info 0
		.amdhsa_system_vgpr_workitem_id 0
		.amdhsa_next_free_vgpr 47
		.amdhsa_next_free_sgpr 57
		.amdhsa_reserve_vcc 1
		.amdhsa_float_round_mode_32 0
		.amdhsa_float_round_mode_16_64 0
		.amdhsa_float_denorm_mode_32 3
		.amdhsa_float_denorm_mode_16_64 3
		.amdhsa_dx10_clamp 1
		.amdhsa_ieee_mode 1
		.amdhsa_fp16_overflow 0
		.amdhsa_workgroup_processor_mode 1
		.amdhsa_memory_ordered 1
		.amdhsa_forward_progress 0
		.amdhsa_shared_vgpr_count 0
		.amdhsa_exception_fp_ieee_invalid_op 0
		.amdhsa_exception_fp_denorm_src 0
		.amdhsa_exception_fp_ieee_div_zero 0
		.amdhsa_exception_fp_ieee_overflow 0
		.amdhsa_exception_fp_ieee_underflow 0
		.amdhsa_exception_fp_ieee_inexact 0
		.amdhsa_exception_int_div_zero 0
	.end_amdhsa_kernel
	.section	.text._ZN9rocsparseL38bsrgemm_block_per_row_atomic_multipassILj256ELj16ELj8EiidEEv20rocsparse_direction_T3_S2_PKS2_S4_NS_24const_host_device_scalarIT4_EEPKT2_S4_PKS6_SA_S4_SC_S7_SA_S4_SC_SA_PS2_PS6_PS8_21rocsparse_index_base_SG_SG_SG_bbb,"axG",@progbits,_ZN9rocsparseL38bsrgemm_block_per_row_atomic_multipassILj256ELj16ELj8EiidEEv20rocsparse_direction_T3_S2_PKS2_S4_NS_24const_host_device_scalarIT4_EEPKT2_S4_PKS6_SA_S4_SC_S7_SA_S4_SC_SA_PS2_PS6_PS8_21rocsparse_index_base_SG_SG_SG_bbb,comdat
.Lfunc_end39:
	.size	_ZN9rocsparseL38bsrgemm_block_per_row_atomic_multipassILj256ELj16ELj8EiidEEv20rocsparse_direction_T3_S2_PKS2_S4_NS_24const_host_device_scalarIT4_EEPKT2_S4_PKS6_SA_S4_SC_S7_SA_S4_SC_SA_PS2_PS6_PS8_21rocsparse_index_base_SG_SG_SG_bbb, .Lfunc_end39-_ZN9rocsparseL38bsrgemm_block_per_row_atomic_multipassILj256ELj16ELj8EiidEEv20rocsparse_direction_T3_S2_PKS2_S4_NS_24const_host_device_scalarIT4_EEPKT2_S4_PKS6_SA_S4_SC_S7_SA_S4_SC_SA_PS2_PS6_PS8_21rocsparse_index_base_SG_SG_SG_bbb
                                        ; -- End function
	.section	.AMDGPU.csdata,"",@progbits
; Kernel info:
; codeLenInByte = 3292
; NumSgprs: 59
; NumVgprs: 47
; ScratchSize: 0
; MemoryBound: 0
; FloatMode: 240
; IeeeMode: 1
; LDSByteSize: 10312 bytes/workgroup (compile time only)
; SGPRBlocks: 7
; VGPRBlocks: 5
; NumSGPRsForWavesPerEU: 59
; NumVGPRsForWavesPerEU: 47
; Occupancy: 16
; WaveLimiterHint : 1
; COMPUTE_PGM_RSRC2:SCRATCH_EN: 0
; COMPUTE_PGM_RSRC2:USER_SGPR: 15
; COMPUTE_PGM_RSRC2:TRAP_HANDLER: 0
; COMPUTE_PGM_RSRC2:TGID_X_EN: 1
; COMPUTE_PGM_RSRC2:TGID_Y_EN: 0
; COMPUTE_PGM_RSRC2:TGID_Z_EN: 0
; COMPUTE_PGM_RSRC2:TIDIG_COMP_CNT: 0
	.section	.text._ZN9rocsparseL38bsrgemm_block_per_row_atomic_multipassILj256ELj32ELj8EiidEEv20rocsparse_direction_T3_S2_PKS2_S4_NS_24const_host_device_scalarIT4_EEPKT2_S4_PKS6_SA_S4_SC_S7_SA_S4_SC_SA_PS2_PS6_PS8_21rocsparse_index_base_SG_SG_SG_bbb,"axG",@progbits,_ZN9rocsparseL38bsrgemm_block_per_row_atomic_multipassILj256ELj32ELj8EiidEEv20rocsparse_direction_T3_S2_PKS2_S4_NS_24const_host_device_scalarIT4_EEPKT2_S4_PKS6_SA_S4_SC_S7_SA_S4_SC_SA_PS2_PS6_PS8_21rocsparse_index_base_SG_SG_SG_bbb,comdat
	.globl	_ZN9rocsparseL38bsrgemm_block_per_row_atomic_multipassILj256ELj32ELj8EiidEEv20rocsparse_direction_T3_S2_PKS2_S4_NS_24const_host_device_scalarIT4_EEPKT2_S4_PKS6_SA_S4_SC_S7_SA_S4_SC_SA_PS2_PS6_PS8_21rocsparse_index_base_SG_SG_SG_bbb ; -- Begin function _ZN9rocsparseL38bsrgemm_block_per_row_atomic_multipassILj256ELj32ELj8EiidEEv20rocsparse_direction_T3_S2_PKS2_S4_NS_24const_host_device_scalarIT4_EEPKT2_S4_PKS6_SA_S4_SC_S7_SA_S4_SC_SA_PS2_PS6_PS8_21rocsparse_index_base_SG_SG_SG_bbb
	.p2align	8
	.type	_ZN9rocsparseL38bsrgemm_block_per_row_atomic_multipassILj256ELj32ELj8EiidEEv20rocsparse_direction_T3_S2_PKS2_S4_NS_24const_host_device_scalarIT4_EEPKT2_S4_PKS6_SA_S4_SC_S7_SA_S4_SC_SA_PS2_PS6_PS8_21rocsparse_index_base_SG_SG_SG_bbb,@function
_ZN9rocsparseL38bsrgemm_block_per_row_atomic_multipassILj256ELj32ELj8EiidEEv20rocsparse_direction_T3_S2_PKS2_S4_NS_24const_host_device_scalarIT4_EEPKT2_S4_PKS6_SA_S4_SC_S7_SA_S4_SC_SA_PS2_PS6_PS8_21rocsparse_index_base_SG_SG_SG_bbb: ; @_ZN9rocsparseL38bsrgemm_block_per_row_atomic_multipassILj256ELj32ELj8EiidEEv20rocsparse_direction_T3_S2_PKS2_S4_NS_24const_host_device_scalarIT4_EEPKT2_S4_PKS6_SA_S4_SC_S7_SA_S4_SC_SA_PS2_PS6_PS8_21rocsparse_index_base_SG_SG_SG_bbb
; %bb.0:
	s_clause 0x3
	s_load_b32 s3, s[0:1], 0xa8
	s_load_b64 s[6:7], s[0:1], 0x20
	s_load_b128 s[36:39], s[0:1], 0x98
	s_load_b64 s[4:5], s[0:1], 0x58
	s_mov_b32 s2, s15
	s_waitcnt lgkmcnt(0)
	s_and_b32 s9, 1, s3
	s_bitcmp1_b32 s3, 16
	s_cselect_b32 s8, -1, 0
	s_cmp_eq_u32 s9, 1
	s_cselect_b32 s12, -1, 0
	s_delay_alu instid0(SALU_CYCLE_1)
	s_and_b32 s9, s12, exec_lo
	s_cselect_b32 s11, s7, 0
	s_cselect_b32 s10, s6, 0
	s_xor_b32 s9, s12, -1
	v_dual_mov_b32 v1, s10 :: v_dual_mov_b32 v2, s11
	s_or_b32 s9, s9, s8
	s_delay_alu instid0(SALU_CYCLE_1)
	s_and_b32 vcc_lo, exec_lo, s9
	s_cbranch_vccnz .LBB40_2
; %bb.1:
	v_dual_mov_b32 v1, s6 :: v_dual_mov_b32 v2, s7
	flat_load_b64 v[1:2], v[1:2]
.LBB40_2:
	s_load_b64 s[6:7], s[0:1], 0x18
	s_bitcmp1_b32 s3, 8
	s_cselect_b32 s15, -1, 0
	s_delay_alu instid0(SALU_CYCLE_1)
	s_and_b32 s3, s15, exec_lo
	s_cselect_b32 s11, s5, 0
	s_cselect_b32 s10, s4, 0
	s_xor_b32 s3, s15, -1
	v_dual_mov_b32 v3, s10 :: v_dual_mov_b32 v4, s11
	s_or_b32 s3, s3, s8
	s_delay_alu instid0(SALU_CYCLE_1)
	s_and_b32 vcc_lo, exec_lo, s3
	s_cbranch_vccnz .LBB40_4
; %bb.3:
	v_dual_mov_b32 v3, s4 :: v_dual_mov_b32 v4, s5
	flat_load_b64 v[3:4], v[3:4]
.LBB40_4:
	s_load_b64 s[4:5], s[0:1], 0x28
	s_waitcnt lgkmcnt(0)
	s_cmp_eq_u64 s[6:7], 0
	s_cbranch_scc1 .LBB40_6
; %bb.5:
	s_load_b64 s[8:9], s[0:1], 0x10
	s_waitcnt lgkmcnt(0)
	s_load_b32 s3, s[8:9], 0x0
	s_waitcnt lgkmcnt(0)
	s_add_i32 s2, s3, s2
	s_mov_b32 s3, 0
	s_delay_alu instid0(SALU_CYCLE_1) | instskip(NEXT) | instid1(SALU_CYCLE_1)
	s_lshl_b64 s[2:3], s[2:3], 2
	s_add_u32 s2, s6, s2
	s_addc_u32 s3, s7, s3
	s_load_b32 s2, s[2:3], 0x0
.LBB40_6:
	s_mov_b32 s33, 0
	s_and_not1_b32 vcc_lo, exec_lo, s12
	s_mov_b32 s50, 0
	s_cbranch_vccz .LBB40_9
; %bb.7:
	s_and_not1_b32 vcc_lo, exec_lo, s12
	s_cbranch_vccz .LBB40_10
.LBB40_8:
	s_load_b128 s[40:43], s[0:1], 0x0
	s_waitcnt lgkmcnt(0)
	s_cmp_lt_i32 s41, 1
	s_cbranch_scc0 .LBB40_11
	s_branch .LBB40_97
.LBB40_9:
	s_waitcnt lgkmcnt(0)
	s_ashr_i32 s3, s2, 31
	s_delay_alu instid0(SALU_CYCLE_1) | instskip(NEXT) | instid1(SALU_CYCLE_1)
	s_lshl_b64 s[6:7], s[2:3], 2
	s_add_u32 s6, s4, s6
	s_addc_u32 s7, s5, s7
	s_load_b32 s3, s[6:7], 0x0
	s_waitcnt lgkmcnt(0)
	s_sub_i32 s50, s3, s36
	s_and_not1_b32 vcc_lo, exec_lo, s12
	s_cbranch_vccnz .LBB40_8
.LBB40_10:
	s_waitcnt lgkmcnt(0)
	s_ashr_i32 s3, s2, 31
	s_delay_alu instid0(SALU_CYCLE_1) | instskip(NEXT) | instid1(SALU_CYCLE_1)
	s_lshl_b64 s[6:7], s[2:3], 2
	s_add_u32 s4, s4, s6
	s_addc_u32 s5, s5, s7
	s_load_b32 s3, s[4:5], 0x4
	s_waitcnt lgkmcnt(0)
	s_sub_i32 s33, s3, s36
	s_load_b128 s[40:43], s[0:1], 0x0
	s_waitcnt lgkmcnt(0)
	s_cmp_lt_i32 s41, 1
	s_cbranch_scc1 .LBB40_97
.LBB40_11:
	s_clause 0x4
	s_load_b256 s[16:23], s[0:1], 0x60
	s_load_b64 s[34:35], s[0:1], 0x90
	s_load_b128 s[44:47], s[0:1], 0x80
	s_load_b64 s[48:49], s[0:1], 0x50
	s_load_b256 s[24:31], s[0:1], 0x30
	s_ashr_i32 s3, s2, 31
	v_dual_mov_b32 v40, 32 :: v_dual_and_b32 v5, 7, v0
	s_lshl_b64 s[10:11], s[2:3], 2
	v_bfe_u32 v6, v0, 3, 3
	v_and_b32_e32 v8, 31, v0
	v_or_b32_e32 v9, 0x400, v0
	v_lshrrev_b32_e32 v22, 6, v0
	s_mov_b32 s52, 0
	v_max_i32_e32 v10, v5, v6
	s_mov_b32 s53, s52
	s_movk_i32 s43, 0x7c0
	v_cmp_gt_u32_e64 s0, 32, v0
	v_cmp_eq_u32_e64 s1, 0, v0
	v_cmp_gt_i32_e64 s8, s42, v10
	s_waitcnt lgkmcnt(0)
	s_add_u32 s2, s22, s10
	s_addc_u32 s3, s23, s11
	v_lshlrev_b32_e32 v10, 9, v22
	s_load_b32 s9, s[2:3], 0x0
	v_lshl_or_b32 v25, v0, 2, 0x4800
	v_subrev_nc_u32_e32 v27, s39, v22
	v_lshl_or_b32 v35, v22, 2, 0x4800
	v_dual_mov_b32 v37, 0 :: v_dual_mov_b32 v38, 1
	v_mov_b32_e32 v39, 0
	s_waitcnt lgkmcnt(0)
	s_sub_i32 s13, s9, s38
	s_cmp_lt_i32 s50, s33
	v_cmp_gt_u32_e64 s9, 0x700, v9
	s_cselect_b32 s14, -1, 0
	s_cmp_eq_u32 s40, 0
	v_mov_b32_e32 v9, 0
	s_cselect_b32 vcc_lo, -1, 0
	v_and_b32_e32 v7, 63, v0
	v_add_co_u32 v11, s22, v8, -1
	v_dual_mov_b32 v36, s13 :: v_dual_lshlrev_b32 v23, 3, v0
	v_and_b32_e32 v24, 56, v0
	s_delay_alu instid0(VALU_DEP_4)
	v_cmp_eq_u32_e64 s2, 63, v7
	v_lshlrev_b32_e32 v7, 2, v8
	s_cmp_lg_u32 s40, 0
	v_lshl_add_u32 v29, v11, 2, 0x4800
	s_cselect_b32 s23, -1, 0
	s_cmp_gt_i32 s42, 0
	v_dual_mov_b32 v11, s52 :: v_dual_mov_b32 v12, s53
	s_cselect_b32 s40, -1, 0
	s_add_u32 s16, s16, s10
	v_or_b32_e32 v26, 0x4000, v23
	v_cmp_ne_u32_e64 s3, 0, v8
	v_cmp_lt_u32_e64 s4, 1, v8
	v_cmp_lt_u32_e64 s5, 3, v8
	;; [unrolled: 1-line block ×4, first 2 shown]
	v_or_b32_e32 v28, 0x4800, v7
	v_add_nc_u32_e32 v30, 0x47f8, v7
	v_add_nc_u32_e32 v31, 0x47f0, v7
	;; [unrolled: 1-line block ×4, first 2 shown]
	v_dual_cndmask_b32 v7, v5, v6 :: v_dual_cndmask_b32 v8, v6, v5
	s_addc_u32 s17, s17, s11
	v_cmp_gt_u32_e64 s10, 0x200, v0
	v_cmp_gt_u32_e64 s11, 0x100, v0
	v_or3_b32 v0, v10, v24, 0x4000
	v_and_or_b32 v34, v23, s43, 0x4000
	s_and_b32 s43, s12, s14
	s_add_u32 s51, s28, 4
	s_addc_u32 s52, s29, 0
	s_mul_i32 s53, s42, s42
	s_branch .LBB40_13
.LBB40_12:                              ;   in Loop: Header=BB40_13 Depth=1
	s_set_inst_prefetch_distance 0x2
	s_or_b32 exec_lo, exec_lo, s12
	s_waitcnt_vscnt null, 0x0
	s_barrier
	buffer_gl0_inv
	ds_load_b32 v39, v37 offset:18560
	v_add_nc_u32_e32 v36, v10, v36
	s_waitcnt lgkmcnt(0)
	s_barrier
	buffer_gl0_inv
	v_cmp_le_i32_e32 vcc_lo, s41, v39
	v_add_nc_u32_e32 v40, 32, v39
	s_cbranch_vccnz .LBB40_97
.LBB40_13:                              ; =>This Loop Header: Depth=1
                                        ;     Child Loop BB40_26 Depth 2
                                        ;       Child Loop BB40_38 Depth 3
                                        ;         Child Loop BB40_47 Depth 4
                                        ;         Child Loop BB40_52 Depth 4
	;; [unrolled: 1-line block ×3, first 2 shown]
                                        ;     Child Loop BB40_65 Depth 2
                                        ;       Child Loop BB40_70 Depth 3
                                        ;     Child Loop BB40_75 Depth 2
                                        ;     Child Loop BB40_94 Depth 2
	s_and_saveexec_b32 s12, s0
	s_cbranch_execz .LBB40_15
; %bb.14:                               ;   in Loop: Header=BB40_13 Depth=1
	ds_store_b32 v25, v37
.LBB40_15:                              ;   in Loop: Header=BB40_13 Depth=1
	s_or_b32 exec_lo, exec_lo, s12
	ds_store_2addr_stride64_b64 v23, v[11:12], v[11:12] offset1:4
	ds_store_2addr_stride64_b64 v23, v[11:12], v[11:12] offset0:8 offset1:12
	ds_store_b64 v23, v[11:12] offset:8192
	s_and_saveexec_b32 s12, s9
	s_delay_alu instid0(SALU_CYCLE_1)
	s_xor_b32 s12, exec_lo, s12
	s_cbranch_execz .LBB40_21
; %bb.16:                               ;   in Loop: Header=BB40_13 Depth=1
	v_mov_b32_e32 v10, v9
	ds_store_b64 v23, v[9:10] offset:10240
	s_and_saveexec_b32 s13, s10
	s_delay_alu instid0(SALU_CYCLE_1)
	s_xor_b32 s13, exec_lo, s13
	s_cbranch_execz .LBB40_20
; %bb.17:                               ;   in Loop: Header=BB40_13 Depth=1
	ds_store_b64 v23, v[9:10] offset:12288
	s_and_saveexec_b32 s14, s11
	s_delay_alu instid0(SALU_CYCLE_1)
	s_xor_b32 s14, exec_lo, s14
	s_cbranch_execz .LBB40_19
; %bb.18:                               ;   in Loop: Header=BB40_13 Depth=1
	v_mov_b32_e32 v10, v9
	ds_store_b64 v23, v[9:10] offset:14336
.LBB40_19:                              ;   in Loop: Header=BB40_13 Depth=1
	s_or_b32 exec_lo, exec_lo, s14
.LBB40_20:                              ;   in Loop: Header=BB40_13 Depth=1
	s_delay_alu instid0(SALU_CYCLE_1)
	s_or_b32 exec_lo, exec_lo, s13
.LBB40_21:                              ;   in Loop: Header=BB40_13 Depth=1
	s_delay_alu instid0(SALU_CYCLE_1)
	s_or_b32 exec_lo, exec_lo, s12
	s_and_saveexec_b32 s12, s1
	s_cbranch_execz .LBB40_23
; %bb.22:                               ;   in Loop: Header=BB40_13 Depth=1
	v_mov_b32_e32 v10, s41
	ds_store_b32 v37, v10 offset:18560
.LBB40_23:                              ;   in Loop: Header=BB40_13 Depth=1
	s_or_b32 exec_lo, exec_lo, s12
	v_mov_b32_e32 v10, s41
	s_and_not1_b32 vcc_lo, exec_lo, s43
	s_waitcnt vmcnt(0) lgkmcnt(0)
	s_barrier
	buffer_gl0_inv
	s_cbranch_vccnz .LBB40_60
; %bb.24:                               ;   in Loop: Header=BB40_13 Depth=1
	v_cmp_ne_u32_e64 s12, 0, v39
	v_mov_b32_e32 v10, s41
	s_mov_b32 s54, s50
	s_branch .LBB40_26
.LBB40_25:                              ;   in Loop: Header=BB40_26 Depth=2
	s_or_b32 exec_lo, exec_lo, s14
	s_add_i32 s54, s54, 4
	s_delay_alu instid0(SALU_CYCLE_1)
	s_cmp_lt_i32 s54, s33
	s_cbranch_scc0 .LBB40_60
.LBB40_26:                              ;   Parent Loop BB40_13 Depth=1
                                        ; =>  This Loop Header: Depth=2
                                        ;       Child Loop BB40_38 Depth 3
                                        ;         Child Loop BB40_47 Depth 4
                                        ;         Child Loop BB40_52 Depth 4
	;; [unrolled: 1-line block ×3, first 2 shown]
	v_add_nc_u32_e32 v13, s54, v22
	s_waitcnt_vscnt null, 0x0
	s_barrier
	buffer_gl0_inv
	v_cmp_gt_i32_e64 s13, s33, v13
	s_delay_alu instid0(VALU_DEP_1)
	s_and_saveexec_b32 s14, s13
	s_cbranch_execz .LBB40_30
; %bb.27:                               ;   in Loop: Header=BB40_26 Depth=2
	v_mov_b32_e32 v14, 0
	v_mov_b32_e32 v15, 0
	s_and_saveexec_b32 s55, s8
	s_cbranch_execz .LBB40_29
; %bb.28:                               ;   in Loop: Header=BB40_26 Depth=2
	v_mad_u64_u32 v[14:15], null, v13, s42, v[6:7]
	s_delay_alu instid0(VALU_DEP_1) | instskip(NEXT) | instid1(VALU_DEP_1)
	v_mad_u64_u32 v[15:16], null, v14, s42, v[5:6]
	v_ashrrev_i32_e32 v16, 31, v15
	s_delay_alu instid0(VALU_DEP_1) | instskip(NEXT) | instid1(VALU_DEP_1)
	v_lshlrev_b64 v[14:15], 3, v[15:16]
	v_add_co_u32 v14, vcc_lo, s26, v14
	s_delay_alu instid0(VALU_DEP_2)
	v_add_co_ci_u32_e32 v15, vcc_lo, s27, v15, vcc_lo
	global_load_b64 v[14:15], v[14:15], off
.LBB40_29:                              ;   in Loop: Header=BB40_26 Depth=2
	s_or_b32 exec_lo, exec_lo, s55
	s_waitcnt vmcnt(0)
	ds_store_b64 v26, v[14:15]
.LBB40_30:                              ;   in Loop: Header=BB40_26 Depth=2
	s_or_b32 exec_lo, exec_lo, s14
	v_mov_b32_e32 v15, 0
	v_ashrrev_i32_e32 v14, 31, v13
	s_waitcnt lgkmcnt(0)
	s_barrier
	buffer_gl0_inv
	s_and_saveexec_b32 s55, s13
	s_cbranch_execz .LBB40_57
; %bb.31:                               ;   in Loop: Header=BB40_26 Depth=2
	v_lshlrev_b64 v[18:19], 2, v[13:14]
	s_delay_alu instid0(VALU_DEP_1) | instskip(NEXT) | instid1(VALU_DEP_2)
	v_add_co_u32 v15, vcc_lo, s24, v18
	v_add_co_ci_u32_e32 v16, vcc_lo, s25, v19, vcc_lo
	s_and_b32 vcc_lo, exec_lo, s12
	global_load_b32 v15, v[15:16], off
	s_waitcnt vmcnt(0)
	v_subrev_nc_u32_e32 v16, s36, v15
	s_delay_alu instid0(VALU_DEP_1)
	v_ashrrev_i32_e32 v17, 31, v16
	s_cbranch_vccz .LBB40_59
; %bb.32:                               ;   in Loop: Header=BB40_26 Depth=2
	v_add_co_u32 v18, vcc_lo, s34, v18
	v_add_co_ci_u32_e32 v19, vcc_lo, s35, v19, vcc_lo
	global_load_b32 v15, v[18:19], off
	s_cbranch_execnz .LBB40_34
.LBB40_33:                              ;   in Loop: Header=BB40_26 Depth=2
	s_delay_alu instid0(VALU_DEP_1) | instskip(NEXT) | instid1(VALU_DEP_1)
	v_lshlrev_b64 v[18:19], 2, v[16:17]
	v_add_co_u32 v18, vcc_lo, s28, v18
	s_delay_alu instid0(VALU_DEP_2)
	v_add_co_ci_u32_e32 v19, vcc_lo, s29, v19, vcc_lo
	global_load_b32 v15, v[18:19], off
	s_waitcnt vmcnt(0)
	v_subrev_nc_u32_e32 v15, s37, v15
.LBB40_34:                              ;   in Loop: Header=BB40_26 Depth=2
	v_lshlrev_b64 v[16:17], 2, v[16:17]
	s_mov_b32 s56, exec_lo
	s_delay_alu instid0(VALU_DEP_1) | instskip(NEXT) | instid1(VALU_DEP_2)
	v_add_co_u32 v16, vcc_lo, s51, v16
	v_add_co_ci_u32_e32 v17, vcc_lo, s52, v17, vcc_lo
	global_load_b32 v16, v[16:17], off
	s_waitcnt vmcnt(0)
	v_subrev_nc_u32_e32 v41, s37, v16
	s_delay_alu instid0(VALU_DEP_1)
	v_cmpx_lt_i32_e64 v15, v41
	s_cbranch_execz .LBB40_56
; %bb.35:                               ;   in Loop: Header=BB40_26 Depth=2
	v_mad_u64_u32 v[16:17], null, s42, v15, v[5:6]
	v_mad_u64_u32 v[17:18], null, s53, v15, v[5:6]
	v_mov_b32_e32 v43, v15
	s_mov_b32 s57, 0
	s_delay_alu instid0(VALU_DEP_3)
	v_mul_lo_u32 v42, s42, v16
	s_branch .LBB40_38
.LBB40_36:                              ;   in Loop: Header=BB40_38 Depth=3
	s_or_b32 exec_lo, exec_lo, s60
	s_delay_alu instid0(SALU_CYCLE_1)
	s_or_b32 s58, s58, exec_lo
.LBB40_37:                              ;   in Loop: Header=BB40_38 Depth=3
	s_or_b32 exec_lo, exec_lo, s59
	v_add_nc_u32_e32 v15, 1, v15
	s_xor_b32 s14, s58, -1
	v_add_nc_u32_e32 v42, s53, v42
	v_add_nc_u32_e32 v17, s53, v17
	s_delay_alu instid0(VALU_DEP_3) | instskip(SKIP_1) | instid1(SALU_CYCLE_1)
	v_cmp_ge_i32_e32 vcc_lo, v15, v41
	s_or_b32 s14, s14, vcc_lo
	s_and_b32 s14, exec_lo, s14
	s_delay_alu instid0(SALU_CYCLE_1) | instskip(NEXT) | instid1(SALU_CYCLE_1)
	s_or_b32 s57, s14, s57
	s_and_not1_b32 exec_lo, exec_lo, s57
	s_cbranch_execz .LBB40_55
.LBB40_38:                              ;   Parent Loop BB40_13 Depth=1
                                        ;     Parent Loop BB40_26 Depth=2
                                        ; =>    This Loop Header: Depth=3
                                        ;         Child Loop BB40_47 Depth 4
                                        ;         Child Loop BB40_52 Depth 4
	;; [unrolled: 1-line block ×3, first 2 shown]
	v_ashrrev_i32_e32 v16, 31, v15
                                        ; implicit-def: $sgpr58
	s_delay_alu instid0(VALU_DEP_1) | instskip(NEXT) | instid1(VALU_DEP_1)
	v_lshlrev_b64 v[18:19], 2, v[15:16]
	v_add_co_u32 v18, vcc_lo, s30, v18
	s_delay_alu instid0(VALU_DEP_2) | instskip(SKIP_3) | instid1(VALU_DEP_1)
	v_add_co_ci_u32_e32 v19, vcc_lo, s31, v19, vcc_lo
	global_load_b32 v16, v[18:19], off
	s_waitcnt vmcnt(0)
	v_subrev_nc_u32_e32 v16, s37, v16
	v_cmp_lt_i32_e64 s14, v16, v39
	v_cmp_ge_i32_e32 vcc_lo, v16, v40
	s_delay_alu instid0(VALU_DEP_2) | instskip(NEXT) | instid1(SALU_CYCLE_1)
	s_or_b32 s14, s14, vcc_lo
	s_and_saveexec_b32 s59, s14
	s_delay_alu instid0(SALU_CYCLE_1)
	s_xor_b32 s14, exec_lo, s59
	s_cbranch_execz .LBB40_42
; %bb.39:                               ;   in Loop: Header=BB40_38 Depth=3
	s_mov_b32 s58, -1
	s_and_saveexec_b32 s59, vcc_lo
; %bb.40:                               ;   in Loop: Header=BB40_38 Depth=3
	v_min_i32_e32 v10, v16, v10
	v_mov_b32_e32 v43, v15
	s_xor_b32 s58, exec_lo, -1
; %bb.41:                               ;   in Loop: Header=BB40_38 Depth=3
	s_or_b32 exec_lo, exec_lo, s59
	s_delay_alu instid0(SALU_CYCLE_1)
	s_and_b32 s58, s58, exec_lo
                                        ; implicit-def: $vgpr16
.LBB40_42:                              ;   in Loop: Header=BB40_38 Depth=3
	s_and_not1_saveexec_b32 s59, s14
	s_cbranch_execz .LBB40_37
; %bb.43:                               ;   in Loop: Header=BB40_38 Depth=3
	v_sub_nc_u32_e32 v16, v16, v39
	s_delay_alu instid0(VALU_DEP_1)
	v_lshlrev_b32_e32 v18, 2, v16
	ds_store_b32 v18, v38 offset:18432
	s_and_saveexec_b32 s60, s8
	s_cbranch_execz .LBB40_36
; %bb.44:                               ;   in Loop: Header=BB40_38 Depth=3
	v_cndmask_b32_e64 v18, 0, 1, s40
	s_and_not1_b32 vcc_lo, exec_lo, s23
	s_delay_alu instid0(VALU_DEP_1)
	v_cmp_ne_u32_e64 s14, 1, v18
	s_cbranch_vccnz .LBB40_49
; %bb.45:                               ;   in Loop: Header=BB40_38 Depth=3
	v_mov_b32_e32 v18, 0
	v_mov_b32_e32 v19, 0
	s_delay_alu instid0(VALU_DEP_3)
	s_and_b32 vcc_lo, exec_lo, s14
	s_cbranch_vccnz .LBB40_48
; %bb.46:                               ;   in Loop: Header=BB40_38 Depth=3
	v_mov_b32_e32 v20, v42
	v_mov_b32_e32 v44, v0
	s_mov_b32 s14, s42
	.p2align	6
.LBB40_47:                              ;   Parent Loop BB40_13 Depth=1
                                        ;     Parent Loop BB40_26 Depth=2
                                        ;       Parent Loop BB40_38 Depth=3
                                        ; =>      This Inner Loop Header: Depth=4
	s_delay_alu instid0(VALU_DEP_2) | instskip(SKIP_3) | instid1(SALU_CYCLE_1)
	v_ashrrev_i32_e32 v21, 31, v20
	ds_load_b64 v[47:48], v44
	v_add_nc_u32_e32 v44, 64, v44
	s_add_i32 s14, s14, -1
	s_cmp_lg_u32 s14, 0
	v_lshlrev_b64 v[45:46], 3, v[20:21]
	v_add_nc_u32_e32 v20, 1, v20
	s_delay_alu instid0(VALU_DEP_2) | instskip(NEXT) | instid1(VALU_DEP_3)
	v_add_co_u32 v45, vcc_lo, s48, v45
	v_add_co_ci_u32_e32 v46, vcc_lo, s49, v46, vcc_lo
	global_load_b64 v[45:46], v[45:46], off
	s_waitcnt vmcnt(0) lgkmcnt(0)
	v_fma_f64 v[18:19], v[47:48], v[45:46], v[18:19]
	s_cbranch_scc1 .LBB40_47
.LBB40_48:                              ;   in Loop: Header=BB40_38 Depth=3
	s_cbranch_execz .LBB40_50
	s_branch .LBB40_53
.LBB40_49:                              ;   in Loop: Header=BB40_38 Depth=3
                                        ; implicit-def: $vgpr18_vgpr19
.LBB40_50:                              ;   in Loop: Header=BB40_38 Depth=3
	v_mov_b32_e32 v18, 0
	v_mov_b32_e32 v19, 0
	s_and_not1_b32 vcc_lo, exec_lo, s40
	s_cbranch_vccnz .LBB40_53
; %bb.51:                               ;   in Loop: Header=BB40_38 Depth=3
	v_mov_b32_e32 v44, v34
	v_mov_b32_e32 v20, v17
	s_mov_b32 s14, s42
	.p2align	6
.LBB40_52:                              ;   Parent Loop BB40_13 Depth=1
                                        ;     Parent Loop BB40_26 Depth=2
                                        ;       Parent Loop BB40_38 Depth=3
                                        ; =>      This Inner Loop Header: Depth=4
	s_delay_alu instid0(VALU_DEP_1) | instskip(SKIP_3) | instid1(SALU_CYCLE_1)
	v_ashrrev_i32_e32 v21, 31, v20
	ds_load_b64 v[47:48], v44
	v_add_nc_u32_e32 v44, 8, v44
	s_add_i32 s14, s14, -1
	s_cmp_eq_u32 s14, 0
	v_lshlrev_b64 v[45:46], 3, v[20:21]
	v_add_nc_u32_e32 v20, s42, v20
	s_delay_alu instid0(VALU_DEP_2) | instskip(NEXT) | instid1(VALU_DEP_3)
	v_add_co_u32 v45, vcc_lo, s48, v45
	v_add_co_ci_u32_e32 v46, vcc_lo, s49, v46, vcc_lo
	global_load_b64 v[45:46], v[45:46], off
	s_waitcnt vmcnt(0) lgkmcnt(0)
	v_fma_f64 v[18:19], v[47:48], v[45:46], v[18:19]
	s_cbranch_scc0 .LBB40_52
.LBB40_53:                              ;   in Loop: Header=BB40_38 Depth=3
	s_delay_alu instid0(VALU_DEP_1) | instskip(SKIP_2) | instid1(VALU_DEP_1)
	v_mul_f64 v[18:19], v[1:2], v[18:19]
	v_lshlrev_b32_e32 v16, 6, v16
	s_mov_b32 s14, 0
	v_or3_b32 v16, v16, v24, v5
	s_delay_alu instid0(VALU_DEP_1)
	v_lshlrev_b32_e32 v16, 3, v16
	ds_load_b64 v[20:21], v16
.LBB40_54:                              ;   Parent Loop BB40_13 Depth=1
                                        ;     Parent Loop BB40_26 Depth=2
                                        ;       Parent Loop BB40_38 Depth=3
                                        ; =>      This Inner Loop Header: Depth=4
	s_waitcnt lgkmcnt(0)
	v_add_f64 v[44:45], v[20:21], v[18:19]
	ds_cmpstore_rtn_b64 v[44:45], v16, v[44:45], v[20:21]
	s_waitcnt lgkmcnt(0)
	v_cmp_eq_u64_e32 vcc_lo, v[44:45], v[20:21]
	v_dual_mov_b32 v20, v44 :: v_dual_mov_b32 v21, v45
	s_or_b32 s14, vcc_lo, s14
	s_delay_alu instid0(SALU_CYCLE_1)
	s_and_not1_b32 exec_lo, exec_lo, s14
	s_cbranch_execnz .LBB40_54
	s_branch .LBB40_36
.LBB40_55:                              ;   in Loop: Header=BB40_26 Depth=2
	s_or_b32 exec_lo, exec_lo, s57
	v_mov_b32_e32 v15, v43
.LBB40_56:                              ;   in Loop: Header=BB40_26 Depth=2
	s_or_b32 exec_lo, exec_lo, s56
.LBB40_57:                              ;   in Loop: Header=BB40_26 Depth=2
	s_delay_alu instid0(SALU_CYCLE_1)
	s_or_b32 exec_lo, exec_lo, s55
	s_waitcnt lgkmcnt(0)
	s_barrier
	buffer_gl0_inv
	s_and_saveexec_b32 s14, s13
	s_cbranch_execz .LBB40_25
; %bb.58:                               ;   in Loop: Header=BB40_26 Depth=2
	v_lshlrev_b64 v[13:14], 2, v[13:14]
	s_delay_alu instid0(VALU_DEP_1) | instskip(NEXT) | instid1(VALU_DEP_2)
	v_add_co_u32 v13, vcc_lo, s34, v13
	v_add_co_ci_u32_e32 v14, vcc_lo, s35, v14, vcc_lo
	global_store_b32 v[13:14], v15, off
	s_branch .LBB40_25
.LBB40_59:                              ;   in Loop: Header=BB40_26 Depth=2
                                        ; implicit-def: $vgpr15
	s_branch .LBB40_33
.LBB40_60:                              ;   in Loop: Header=BB40_13 Depth=1
	s_and_not1_b32 vcc_lo, exec_lo, s15
	s_cbranch_vccnz .LBB40_73
; %bb.61:                               ;   in Loop: Header=BB40_13 Depth=1
	s_load_b64 s[12:13], s[16:17], 0x0
	s_mov_b32 s14, exec_lo
	s_waitcnt lgkmcnt(0)
	v_add_nc_u32_e32 v13, s12, v27
	s_sub_i32 s54, s13, s39
	s_delay_alu instid0(VALU_DEP_1) | instid1(SALU_CYCLE_1)
	v_cmpx_gt_i32_e64 s54, v13
	s_cbranch_execz .LBB40_72
; %bb.62:                               ;   in Loop: Header=BB40_13 Depth=1
	s_mov_b32 s55, 0
	s_branch .LBB40_65
.LBB40_63:                              ;   in Loop: Header=BB40_65 Depth=2
	s_or_b32 exec_lo, exec_lo, s56
	s_delay_alu instid0(SALU_CYCLE_1)
	s_or_b32 s12, s12, exec_lo
.LBB40_64:                              ;   in Loop: Header=BB40_65 Depth=2
	s_or_b32 exec_lo, exec_lo, s13
	v_add_nc_u32_e32 v13, 4, v13
	s_xor_b32 s12, s12, -1
	s_delay_alu instid0(VALU_DEP_1) | instskip(SKIP_1) | instid1(SALU_CYCLE_1)
	v_cmp_le_i32_e32 vcc_lo, s54, v13
	s_or_b32 s12, vcc_lo, s12
	s_and_b32 s12, exec_lo, s12
	s_delay_alu instid0(SALU_CYCLE_1) | instskip(NEXT) | instid1(SALU_CYCLE_1)
	s_or_b32 s55, s12, s55
	s_and_not1_b32 exec_lo, exec_lo, s55
	s_cbranch_execz .LBB40_71
.LBB40_65:                              ;   Parent Loop BB40_13 Depth=1
                                        ; =>  This Loop Header: Depth=2
                                        ;       Child Loop BB40_70 Depth 3
	v_ashrrev_i32_e32 v14, 31, v13
	s_delay_alu instid0(VALU_DEP_1) | instskip(NEXT) | instid1(VALU_DEP_1)
	v_lshlrev_b64 v[14:15], 2, v[13:14]
	v_add_co_u32 v14, vcc_lo, s18, v14
	s_delay_alu instid0(VALU_DEP_2) | instskip(SKIP_3) | instid1(VALU_DEP_1)
	v_add_co_ci_u32_e32 v15, vcc_lo, s19, v15, vcc_lo
	global_load_b32 v14, v[14:15], off
	s_waitcnt vmcnt(0)
	v_subrev_nc_u32_e32 v14, s39, v14
	v_cmp_lt_i32_e64 s12, v14, v39
	v_cmp_ge_i32_e64 s13, v14, v40
	v_cmp_lt_i32_e32 vcc_lo, v14, v40
	s_delay_alu instid0(VALU_DEP_2) | instskip(NEXT) | instid1(SALU_CYCLE_1)
	s_or_b32 s13, s12, s13
                                        ; implicit-def: $sgpr12
	s_and_saveexec_b32 s56, s13
	s_delay_alu instid0(SALU_CYCLE_1)
	s_xor_b32 s13, exec_lo, s56
; %bb.66:                               ;   in Loop: Header=BB40_65 Depth=2
	v_min_i32_e32 v14, v14, v10
	s_and_b32 s12, vcc_lo, exec_lo
	s_delay_alu instid0(VALU_DEP_1)
	v_cndmask_b32_e32 v10, v14, v10, vcc_lo
                                        ; implicit-def: $vgpr14
; %bb.67:                               ;   in Loop: Header=BB40_65 Depth=2
	s_and_not1_saveexec_b32 s13, s13
	s_cbranch_execz .LBB40_64
; %bb.68:                               ;   in Loop: Header=BB40_65 Depth=2
	v_sub_nc_u32_e32 v16, v14, v39
	s_delay_alu instid0(VALU_DEP_1)
	v_lshlrev_b32_e32 v14, 2, v16
	ds_store_b32 v14, v38 offset:18432
	s_and_saveexec_b32 s56, s8
	s_cbranch_execz .LBB40_63
; %bb.69:                               ;   in Loop: Header=BB40_65 Depth=2
	v_mad_u64_u32 v[14:15], null, v13, s42, v[7:8]
	v_lshlrev_b32_e32 v16, 6, v16
	s_mov_b32 s57, 0
	s_delay_alu instid0(VALU_DEP_1) | instskip(NEXT) | instid1(VALU_DEP_3)
	v_or3_b32 v16, v16, v24, v5
	v_mad_u64_u32 v[17:18], null, v14, s42, v[8:9]
	s_delay_alu instid0(VALU_DEP_1) | instskip(NEXT) | instid1(VALU_DEP_1)
	v_ashrrev_i32_e32 v18, 31, v17
	v_lshlrev_b64 v[14:15], 3, v[17:18]
	s_delay_alu instid0(VALU_DEP_4)
	v_lshlrev_b32_e32 v18, 3, v16
	ds_load_b64 v[16:17], v18
	v_add_co_u32 v14, vcc_lo, s20, v14
	v_add_co_ci_u32_e32 v15, vcc_lo, s21, v15, vcc_lo
	global_load_b64 v[14:15], v[14:15], off
	s_waitcnt vmcnt(0)
	v_mul_f64 v[14:15], v[3:4], v[14:15]
.LBB40_70:                              ;   Parent Loop BB40_13 Depth=1
                                        ;     Parent Loop BB40_65 Depth=2
                                        ; =>    This Inner Loop Header: Depth=3
	s_waitcnt lgkmcnt(0)
	s_delay_alu instid0(VALU_DEP_1)
	v_add_f64 v[19:20], v[16:17], v[14:15]
	ds_cmpstore_rtn_b64 v[19:20], v18, v[19:20], v[16:17]
	s_waitcnt lgkmcnt(0)
	v_cmp_eq_u64_e32 vcc_lo, v[19:20], v[16:17]
	v_dual_mov_b32 v16, v19 :: v_dual_mov_b32 v17, v20
	s_or_b32 s57, vcc_lo, s57
	s_delay_alu instid0(SALU_CYCLE_1)
	s_and_not1_b32 exec_lo, exec_lo, s57
	s_cbranch_execnz .LBB40_70
	s_branch .LBB40_63
.LBB40_71:                              ;   in Loop: Header=BB40_13 Depth=1
	s_or_b32 exec_lo, exec_lo, s55
.LBB40_72:                              ;   in Loop: Header=BB40_13 Depth=1
	s_delay_alu instid0(SALU_CYCLE_1)
	s_or_b32 exec_lo, exec_lo, s14
.LBB40_73:                              ;   in Loop: Header=BB40_13 Depth=1
	s_and_saveexec_b32 s12, s2
	s_cbranch_execz .LBB40_78
; %bb.74:                               ;   in Loop: Header=BB40_13 Depth=1
	s_mov_b32 s14, exec_lo
	s_brev_b32 s13, -2
.LBB40_75:                              ;   Parent Loop BB40_13 Depth=1
                                        ; =>  This Inner Loop Header: Depth=2
	s_ctz_i32_b32 s54, s14
	s_delay_alu instid0(SALU_CYCLE_1) | instskip(SKIP_1) | instid1(SALU_CYCLE_1)
	v_readlane_b32 s55, v10, s54
	s_lshl_b32 s54, 1, s54
	s_and_not1_b32 s14, s14, s54
	s_delay_alu instid0(VALU_DEP_1)
	s_min_i32 s13, s13, s55
	s_cmp_lg_u32 s14, 0
	s_cbranch_scc1 .LBB40_75
; %bb.76:                               ;   in Loop: Header=BB40_13 Depth=1
	v_mbcnt_lo_u32_b32 v10, exec_lo, 0
	s_mov_b32 s14, exec_lo
	s_delay_alu instid0(VALU_DEP_1)
	v_cmpx_eq_u32_e32 0, v10
	s_xor_b32 s14, exec_lo, s14
	s_cbranch_execz .LBB40_78
; %bb.77:                               ;   in Loop: Header=BB40_13 Depth=1
	v_mov_b32_e32 v10, s13
	ds_min_i32 v37, v10 offset:18560
.LBB40_78:                              ;   in Loop: Header=BB40_13 Depth=1
	s_or_b32 exec_lo, exec_lo, s12
	s_waitcnt lgkmcnt(0)
	s_waitcnt_vscnt null, 0x0
	s_barrier
	buffer_gl0_inv
	ds_load_b32 v13, v28
	s_waitcnt lgkmcnt(0)
	s_barrier
	buffer_gl0_inv
	s_and_saveexec_b32 s12, s3
	s_cbranch_execz .LBB40_80
; %bb.79:                               ;   in Loop: Header=BB40_13 Depth=1
	ds_load_b32 v10, v29
	s_waitcnt lgkmcnt(0)
	v_add_nc_u32_e32 v13, v10, v13
.LBB40_80:                              ;   in Loop: Header=BB40_13 Depth=1
	s_or_b32 exec_lo, exec_lo, s12
	s_barrier
	buffer_gl0_inv
	ds_store_b32 v28, v13
	s_waitcnt lgkmcnt(0)
	s_barrier
	buffer_gl0_inv
	s_and_saveexec_b32 s12, s4
	s_cbranch_execz .LBB40_82
; %bb.81:                               ;   in Loop: Header=BB40_13 Depth=1
	ds_load_b32 v10, v30
	s_waitcnt lgkmcnt(0)
	v_add_nc_u32_e32 v13, v10, v13
.LBB40_82:                              ;   in Loop: Header=BB40_13 Depth=1
	s_or_b32 exec_lo, exec_lo, s12
	s_barrier
	buffer_gl0_inv
	ds_store_b32 v28, v13
	s_waitcnt lgkmcnt(0)
	s_barrier
	buffer_gl0_inv
	s_and_saveexec_b32 s12, s5
	s_cbranch_execz .LBB40_84
; %bb.83:                               ;   in Loop: Header=BB40_13 Depth=1
	ds_load_b32 v10, v31
	s_waitcnt lgkmcnt(0)
	v_add_nc_u32_e32 v13, v10, v13
.LBB40_84:                              ;   in Loop: Header=BB40_13 Depth=1
	s_or_b32 exec_lo, exec_lo, s12
	s_barrier
	buffer_gl0_inv
	ds_store_b32 v28, v13
	s_waitcnt lgkmcnt(0)
	s_barrier
	buffer_gl0_inv
	s_and_saveexec_b32 s12, s6
	s_cbranch_execz .LBB40_86
; %bb.85:                               ;   in Loop: Header=BB40_13 Depth=1
	ds_load_b32 v10, v32
	s_waitcnt lgkmcnt(0)
	v_add_nc_u32_e32 v13, v10, v13
.LBB40_86:                              ;   in Loop: Header=BB40_13 Depth=1
	s_or_b32 exec_lo, exec_lo, s12
	s_barrier
	buffer_gl0_inv
	ds_store_b32 v28, v13
	s_waitcnt lgkmcnt(0)
	s_barrier
	buffer_gl0_inv
	s_and_saveexec_b32 s12, s7
	s_cbranch_execz .LBB40_88
; %bb.87:                               ;   in Loop: Header=BB40_13 Depth=1
	ds_load_b32 v10, v33
	s_waitcnt lgkmcnt(0)
	v_add_nc_u32_e32 v13, v10, v13
.LBB40_88:                              ;   in Loop: Header=BB40_13 Depth=1
	s_or_b32 exec_lo, exec_lo, s12
	s_barrier
	buffer_gl0_inv
	ds_store_b32 v28, v13
	s_waitcnt lgkmcnt(0)
	s_barrier
	buffer_gl0_inv
	ds_load_b32 v10, v37 offset:18556
	v_mov_b32_e32 v14, 0
	s_and_saveexec_b32 s12, s22
	s_cbranch_execz .LBB40_90
; %bb.89:                               ;   in Loop: Header=BB40_13 Depth=1
	ds_load_b32 v14, v29
.LBB40_90:                              ;   in Loop: Header=BB40_13 Depth=1
	s_or_b32 exec_lo, exec_lo, s12
	s_waitcnt lgkmcnt(0)
	v_cmp_eq_u32_e32 vcc_lo, v13, v14
	s_barrier
	buffer_gl0_inv
	s_and_b32 s13, s22, vcc_lo
	s_delay_alu instid0(SALU_CYCLE_1)
	s_and_saveexec_b32 s12, s13
	s_cbranch_execz .LBB40_92
; %bb.91:                               ;   in Loop: Header=BB40_13 Depth=1
	ds_store_b32 v28, v37
.LBB40_92:                              ;   in Loop: Header=BB40_13 Depth=1
	s_or_b32 exec_lo, exec_lo, s12
	v_dual_mov_b32 v18, v23 :: v_dual_add_nc_u32 v15, -1, v36
	v_dual_mov_b32 v17, v35 :: v_dual_add_nc_u32 v16, s38, v39
	v_mov_b32_e32 v19, v22
	s_mov_b32 s12, 0
	s_waitcnt lgkmcnt(0)
	s_barrier
	buffer_gl0_inv
	s_set_inst_prefetch_distance 0x1
	s_branch .LBB40_94
	.p2align	6
.LBB40_93:                              ;   in Loop: Header=BB40_94 Depth=2
	s_or_b32 exec_lo, exec_lo, s13
	v_add_nc_u32_e32 v13, 4, v19
	v_cmp_lt_u32_e32 vcc_lo, 27, v19
	v_add_nc_u32_e32 v18, 0x800, v18
	v_add_nc_u32_e32 v17, 16, v17
	s_delay_alu instid0(VALU_DEP_4) | instskip(SKIP_1) | instid1(SALU_CYCLE_1)
	v_mov_b32_e32 v19, v13
	s_or_b32 s12, vcc_lo, s12
	s_and_not1_b32 exec_lo, exec_lo, s12
	s_cbranch_execz .LBB40_12
.LBB40_94:                              ;   Parent Loop BB40_13 Depth=1
                                        ; =>  This Inner Loop Header: Depth=2
	ds_load_b32 v13, v17
	s_mov_b32 s13, exec_lo
	s_waitcnt lgkmcnt(0)
	v_cmpx_ne_u32_e32 0, v13
	s_cbranch_execz .LBB40_93
; %bb.95:                               ;   in Loop: Header=BB40_94 Depth=2
	v_add_nc_u32_e32 v13, v15, v13
	s_delay_alu instid0(VALU_DEP_1) | instskip(NEXT) | instid1(VALU_DEP_1)
	v_ashrrev_i32_e32 v14, 31, v13
	v_lshlrev_b64 v[20:21], 2, v[13:14]
	v_add_nc_u32_e32 v14, v16, v19
	s_delay_alu instid0(VALU_DEP_2) | instskip(NEXT) | instid1(VALU_DEP_3)
	v_add_co_u32 v20, vcc_lo, s44, v20
	v_add_co_ci_u32_e32 v21, vcc_lo, s45, v21, vcc_lo
	global_store_b32 v[20:21], v14, off
	s_and_b32 exec_lo, exec_lo, s8
	s_cbranch_execz .LBB40_93
; %bb.96:                               ;   in Loop: Header=BB40_94 Depth=2
	v_mad_u64_u32 v[20:21], null, v13, s42, v[7:8]
	s_delay_alu instid0(VALU_DEP_1) | instskip(SKIP_2) | instid1(VALU_DEP_1)
	v_mad_u64_u32 v[13:14], null, v20, s42, v[8:9]
	ds_load_b64 v[20:21], v18
	v_ashrrev_i32_e32 v14, 31, v13
	v_lshlrev_b64 v[13:14], 3, v[13:14]
	s_delay_alu instid0(VALU_DEP_1) | instskip(NEXT) | instid1(VALU_DEP_2)
	v_add_co_u32 v13, vcc_lo, s46, v13
	v_add_co_ci_u32_e32 v14, vcc_lo, s47, v14, vcc_lo
	s_waitcnt lgkmcnt(0)
	global_store_b64 v[13:14], v[20:21], off
	s_branch .LBB40_93
.LBB40_97:
	s_endpgm
	.section	.rodata,"a",@progbits
	.p2align	6, 0x0
	.amdhsa_kernel _ZN9rocsparseL38bsrgemm_block_per_row_atomic_multipassILj256ELj32ELj8EiidEEv20rocsparse_direction_T3_S2_PKS2_S4_NS_24const_host_device_scalarIT4_EEPKT2_S4_PKS6_SA_S4_SC_S7_SA_S4_SC_SA_PS2_PS6_PS8_21rocsparse_index_base_SG_SG_SG_bbb
		.amdhsa_group_segment_fixed_size 18568
		.amdhsa_private_segment_fixed_size 0
		.amdhsa_kernarg_size 172
		.amdhsa_user_sgpr_count 15
		.amdhsa_user_sgpr_dispatch_ptr 0
		.amdhsa_user_sgpr_queue_ptr 0
		.amdhsa_user_sgpr_kernarg_segment_ptr 1
		.amdhsa_user_sgpr_dispatch_id 0
		.amdhsa_user_sgpr_private_segment_size 0
		.amdhsa_wavefront_size32 1
		.amdhsa_uses_dynamic_stack 0
		.amdhsa_enable_private_segment 0
		.amdhsa_system_sgpr_workgroup_id_x 1
		.amdhsa_system_sgpr_workgroup_id_y 0
		.amdhsa_system_sgpr_workgroup_id_z 0
		.amdhsa_system_sgpr_workgroup_info 0
		.amdhsa_system_vgpr_workitem_id 0
		.amdhsa_next_free_vgpr 49
		.amdhsa_next_free_sgpr 61
		.amdhsa_reserve_vcc 1
		.amdhsa_float_round_mode_32 0
		.amdhsa_float_round_mode_16_64 0
		.amdhsa_float_denorm_mode_32 3
		.amdhsa_float_denorm_mode_16_64 3
		.amdhsa_dx10_clamp 1
		.amdhsa_ieee_mode 1
		.amdhsa_fp16_overflow 0
		.amdhsa_workgroup_processor_mode 1
		.amdhsa_memory_ordered 1
		.amdhsa_forward_progress 0
		.amdhsa_shared_vgpr_count 0
		.amdhsa_exception_fp_ieee_invalid_op 0
		.amdhsa_exception_fp_denorm_src 0
		.amdhsa_exception_fp_ieee_div_zero 0
		.amdhsa_exception_fp_ieee_overflow 0
		.amdhsa_exception_fp_ieee_underflow 0
		.amdhsa_exception_fp_ieee_inexact 0
		.amdhsa_exception_int_div_zero 0
	.end_amdhsa_kernel
	.section	.text._ZN9rocsparseL38bsrgemm_block_per_row_atomic_multipassILj256ELj32ELj8EiidEEv20rocsparse_direction_T3_S2_PKS2_S4_NS_24const_host_device_scalarIT4_EEPKT2_S4_PKS6_SA_S4_SC_S7_SA_S4_SC_SA_PS2_PS6_PS8_21rocsparse_index_base_SG_SG_SG_bbb,"axG",@progbits,_ZN9rocsparseL38bsrgemm_block_per_row_atomic_multipassILj256ELj32ELj8EiidEEv20rocsparse_direction_T3_S2_PKS2_S4_NS_24const_host_device_scalarIT4_EEPKT2_S4_PKS6_SA_S4_SC_S7_SA_S4_SC_SA_PS2_PS6_PS8_21rocsparse_index_base_SG_SG_SG_bbb,comdat
.Lfunc_end40:
	.size	_ZN9rocsparseL38bsrgemm_block_per_row_atomic_multipassILj256ELj32ELj8EiidEEv20rocsparse_direction_T3_S2_PKS2_S4_NS_24const_host_device_scalarIT4_EEPKT2_S4_PKS6_SA_S4_SC_S7_SA_S4_SC_SA_PS2_PS6_PS8_21rocsparse_index_base_SG_SG_SG_bbb, .Lfunc_end40-_ZN9rocsparseL38bsrgemm_block_per_row_atomic_multipassILj256ELj32ELj8EiidEEv20rocsparse_direction_T3_S2_PKS2_S4_NS_24const_host_device_scalarIT4_EEPKT2_S4_PKS6_SA_S4_SC_S7_SA_S4_SC_SA_PS2_PS6_PS8_21rocsparse_index_base_SG_SG_SG_bbb
                                        ; -- End function
	.section	.AMDGPU.csdata,"",@progbits
; Kernel info:
; codeLenInByte = 3472
; NumSgprs: 63
; NumVgprs: 49
; ScratchSize: 0
; MemoryBound: 0
; FloatMode: 240
; IeeeMode: 1
; LDSByteSize: 18568 bytes/workgroup (compile time only)
; SGPRBlocks: 7
; VGPRBlocks: 6
; NumSGPRsForWavesPerEU: 63
; NumVGPRsForWavesPerEU: 49
; Occupancy: 14
; WaveLimiterHint : 1
; COMPUTE_PGM_RSRC2:SCRATCH_EN: 0
; COMPUTE_PGM_RSRC2:USER_SGPR: 15
; COMPUTE_PGM_RSRC2:TRAP_HANDLER: 0
; COMPUTE_PGM_RSRC2:TGID_X_EN: 1
; COMPUTE_PGM_RSRC2:TGID_Y_EN: 0
; COMPUTE_PGM_RSRC2:TGID_Z_EN: 0
; COMPUTE_PGM_RSRC2:TIDIG_COMP_CNT: 0
	.section	.text._ZN9rocsparseL31bsrgemm_block_per_row_multipassILj256ELj8ELj16EiidEEv20rocsparse_direction_T3_S2_PKS2_S4_NS_24const_host_device_scalarIT4_EEPKT2_S4_PKS6_SA_S4_SC_S7_SA_S4_SC_SA_PS2_PS6_PS8_21rocsparse_index_base_SG_SG_SG_bbb,"axG",@progbits,_ZN9rocsparseL31bsrgemm_block_per_row_multipassILj256ELj8ELj16EiidEEv20rocsparse_direction_T3_S2_PKS2_S4_NS_24const_host_device_scalarIT4_EEPKT2_S4_PKS6_SA_S4_SC_S7_SA_S4_SC_SA_PS2_PS6_PS8_21rocsparse_index_base_SG_SG_SG_bbb,comdat
	.globl	_ZN9rocsparseL31bsrgemm_block_per_row_multipassILj256ELj8ELj16EiidEEv20rocsparse_direction_T3_S2_PKS2_S4_NS_24const_host_device_scalarIT4_EEPKT2_S4_PKS6_SA_S4_SC_S7_SA_S4_SC_SA_PS2_PS6_PS8_21rocsparse_index_base_SG_SG_SG_bbb ; -- Begin function _ZN9rocsparseL31bsrgemm_block_per_row_multipassILj256ELj8ELj16EiidEEv20rocsparse_direction_T3_S2_PKS2_S4_NS_24const_host_device_scalarIT4_EEPKT2_S4_PKS6_SA_S4_SC_S7_SA_S4_SC_SA_PS2_PS6_PS8_21rocsparse_index_base_SG_SG_SG_bbb
	.p2align	8
	.type	_ZN9rocsparseL31bsrgemm_block_per_row_multipassILj256ELj8ELj16EiidEEv20rocsparse_direction_T3_S2_PKS2_S4_NS_24const_host_device_scalarIT4_EEPKT2_S4_PKS6_SA_S4_SC_S7_SA_S4_SC_SA_PS2_PS6_PS8_21rocsparse_index_base_SG_SG_SG_bbb,@function
_ZN9rocsparseL31bsrgemm_block_per_row_multipassILj256ELj8ELj16EiidEEv20rocsparse_direction_T3_S2_PKS2_S4_NS_24const_host_device_scalarIT4_EEPKT2_S4_PKS6_SA_S4_SC_S7_SA_S4_SC_SA_PS2_PS6_PS8_21rocsparse_index_base_SG_SG_SG_bbb: ; @_ZN9rocsparseL31bsrgemm_block_per_row_multipassILj256ELj8ELj16EiidEEv20rocsparse_direction_T3_S2_PKS2_S4_NS_24const_host_device_scalarIT4_EEPKT2_S4_PKS6_SA_S4_SC_S7_SA_S4_SC_SA_PS2_PS6_PS8_21rocsparse_index_base_SG_SG_SG_bbb
; %bb.0:
	s_clause 0x3
	s_load_b32 s3, s[0:1], 0xa8
	s_load_b64 s[6:7], s[0:1], 0x20
	s_load_b128 s[24:27], s[0:1], 0x98
	s_load_b64 s[4:5], s[0:1], 0x58
	s_mov_b32 s2, s15
	s_waitcnt lgkmcnt(0)
	s_and_b32 s9, 1, s3
	s_bitcmp1_b32 s3, 16
	s_cselect_b32 s8, -1, 0
	s_cmp_eq_u32 s9, 1
	s_cselect_b32 s42, -1, 0
	s_delay_alu instid0(SALU_CYCLE_1)
	s_and_b32 s9, s42, exec_lo
	s_cselect_b32 s11, s7, 0
	s_cselect_b32 s10, s6, 0
	s_xor_b32 s9, s42, -1
	v_dual_mov_b32 v1, s10 :: v_dual_mov_b32 v2, s11
	s_or_b32 s9, s9, s8
	s_delay_alu instid0(SALU_CYCLE_1)
	s_and_b32 vcc_lo, exec_lo, s9
	s_cbranch_vccnz .LBB41_2
; %bb.1:
	v_dual_mov_b32 v1, s6 :: v_dual_mov_b32 v2, s7
	flat_load_b64 v[1:2], v[1:2]
.LBB41_2:
	s_load_b64 s[6:7], s[0:1], 0x18
	s_bitcmp1_b32 s3, 8
	s_cselect_b32 s33, -1, 0
	s_delay_alu instid0(SALU_CYCLE_1)
	s_and_b32 s3, s33, exec_lo
	s_cselect_b32 s11, s5, 0
	s_cselect_b32 s10, s4, 0
	s_xor_b32 s3, s33, -1
	v_dual_mov_b32 v3, s10 :: v_dual_mov_b32 v4, s11
	s_or_b32 s3, s3, s8
	s_delay_alu instid0(SALU_CYCLE_1)
	s_and_b32 vcc_lo, exec_lo, s3
	s_cbranch_vccnz .LBB41_4
; %bb.3:
	v_dual_mov_b32 v3, s4 :: v_dual_mov_b32 v4, s5
	flat_load_b64 v[3:4], v[3:4]
.LBB41_4:
	s_load_b64 s[4:5], s[0:1], 0x28
	s_waitcnt lgkmcnt(0)
	s_cmp_eq_u64 s[6:7], 0
	s_cbranch_scc1 .LBB41_6
; %bb.5:
	s_load_b64 s[8:9], s[0:1], 0x10
	s_waitcnt lgkmcnt(0)
	s_load_b32 s3, s[8:9], 0x0
	s_waitcnt lgkmcnt(0)
	s_add_i32 s2, s3, s2
	s_mov_b32 s3, 0
	s_delay_alu instid0(SALU_CYCLE_1) | instskip(NEXT) | instid1(SALU_CYCLE_1)
	s_lshl_b64 s[2:3], s[2:3], 2
	s_add_u32 s2, s6, s2
	s_addc_u32 s3, s7, s3
	s_load_b32 s2, s[2:3], 0x0
.LBB41_6:
	s_mov_b32 s48, 0
	s_and_not1_b32 vcc_lo, exec_lo, s42
	s_mov_b32 s49, 0
	s_cbranch_vccz .LBB41_9
; %bb.7:
	s_and_not1_b32 vcc_lo, exec_lo, s42
	s_cbranch_vccz .LBB41_10
.LBB41_8:
	s_load_b128 s[28:31], s[0:1], 0x0
	s_waitcnt lgkmcnt(0)
	s_cmp_lt_i32 s29, 1
	s_cbranch_scc0 .LBB41_11
	s_branch .LBB41_95
.LBB41_9:
	s_waitcnt lgkmcnt(0)
	s_ashr_i32 s3, s2, 31
	s_delay_alu instid0(SALU_CYCLE_1) | instskip(NEXT) | instid1(SALU_CYCLE_1)
	s_lshl_b64 s[6:7], s[2:3], 2
	s_add_u32 s6, s4, s6
	s_addc_u32 s7, s5, s7
	s_load_b32 s3, s[6:7], 0x0
	s_waitcnt lgkmcnt(0)
	s_sub_i32 s49, s3, s24
	s_and_not1_b32 vcc_lo, exec_lo, s42
	s_cbranch_vccnz .LBB41_8
.LBB41_10:
	s_waitcnt lgkmcnt(0)
	s_ashr_i32 s3, s2, 31
	s_delay_alu instid0(SALU_CYCLE_1) | instskip(NEXT) | instid1(SALU_CYCLE_1)
	s_lshl_b64 s[6:7], s[2:3], 2
	s_add_u32 s4, s4, s6
	s_addc_u32 s5, s5, s7
	s_load_b32 s3, s[4:5], 0x4
	s_waitcnt lgkmcnt(0)
	s_sub_i32 s48, s3, s24
	s_load_b128 s[28:31], s[0:1], 0x0
	s_waitcnt lgkmcnt(0)
	s_cmp_lt_i32 s29, 1
	s_cbranch_scc1 .LBB41_95
.LBB41_11:
	s_clause 0x4
	s_load_b256 s[8:15], s[0:1], 0x60
	s_load_b64 s[6:7], s[0:1], 0x90
	s_load_b128 s[36:39], s[0:1], 0x80
	s_load_b64 s[34:35], s[0:1], 0x50
	s_load_b256 s[16:23], s[0:1], 0x30
	s_ashr_i32 s3, s2, 31
	s_mov_b32 s40, 0
	s_lshl_b64 s[44:45], s[2:3], 2
	v_lshrrev_b32_e32 v6, 4, v0
	s_mov_b32 s41, s40
	v_dual_mov_b32 v8, s40 :: v_dual_and_b32 v5, 15, v0
	v_dual_mov_b32 v7, 0 :: v_dual_lshlrev_b32 v22, 3, v0
	s_delay_alu instid0(VALU_DEP_3) | instskip(NEXT) | instid1(VALU_DEP_3)
	v_cmp_gt_i32_e64 s4, s30, v6
	v_cmp_gt_u32_e32 vcc_lo, s30, v5
	v_dual_mov_b32 v9, s41 :: v_dual_mov_b32 v26, 1
	s_delay_alu instid0(VALU_DEP_4)
	v_mad_u64_u32 v[12:13], null, s49, s30, v[6:7]
	s_waitcnt lgkmcnt(0)
	s_add_u32 s2, s14, s44
	s_addc_u32 s3, s15, s45
	v_or_b32_e32 v10, 0x400, v0
	s_load_b32 s5, s[2:3], 0x0
	s_mul_i32 s31, s30, s30
	v_cmp_gt_u32_e64 s0, 8, v0
	v_mul_lo_u32 v24, s30, v12
	v_cmp_gt_u32_e64 s3, 0x700, v10
	v_mad_u64_u32 v[10:11], null, s49, s31, v[6:7]
	v_cmp_gt_u32_e64 s1, 0x200, v0
	v_cmp_gt_u32_e64 s2, 0x100, v0
	s_mov_b32 s55, 8
	s_waitcnt lgkmcnt(0)
	s_sub_i32 s14, s5, s26
	s_cmp_lt_i32 s49, s48
	s_cselect_b32 s5, -1, 0
	s_and_b32 s41, vcc_lo, s4
	s_cmp_eq_u32 s28, 0
	s_cselect_b32 vcc_lo, -1, 0
	v_dual_cndmask_b32 v12, v6, v5 :: v_dual_and_b32 v21, 0xf0, v0
	s_cmp_lg_u32 s28, 0
	v_cndmask_b32_e32 v11, v5, v6, vcc_lo
	s_cselect_b32 s28, -1, 0
	s_delay_alu instid0(VALU_DEP_2) | instskip(SKIP_3) | instid1(VALU_DEP_1)
	v_or_b32_e32 v14, v21, v5
	s_cmp_gt_i32 s30, 0
	s_cselect_b32 s50, -1, 0
	s_add_u32 s8, s8, s44
	v_lshlrev_b32_e32 v23, 3, v14
	v_cndmask_b32_e64 v25, 0, 1, s50
	s_addc_u32 s9, s9, s45
	s_and_b32 s51, s42, s5
	s_add_u32 s52, s20, 4
	s_addc_u32 s53, s21, 0
	s_sub_i32 s54, 1, s27
	s_branch .LBB41_14
.LBB41_12:                              ;   in Loop: Header=BB41_14 Depth=1
	s_or_b32 exec_lo, exec_lo, s5
	s_add_i32 s15, s15, 1
.LBB41_13:                              ;   in Loop: Header=BB41_14 Depth=1
	s_min_i32 s40, s43, s29
	s_add_i32 s14, s15, s14
	s_add_i32 s55, s40, 8
	s_cmp_lt_i32 s43, s29
	s_waitcnt_vscnt null, 0x0
	s_barrier
	buffer_gl0_inv
	s_barrier
	buffer_gl0_inv
	s_cbranch_scc0 .LBB41_95
.LBB41_14:                              ; =>This Loop Header: Depth=1
                                        ;     Child Loop BB41_24 Depth 2
                                        ;       Child Loop BB41_29 Depth 3
                                        ;         Child Loop BB41_38 Depth 4
                                        ;         Child Loop BB41_43 Depth 4
                                        ;     Child Loop BB41_55 Depth 2
	s_and_saveexec_b32 s4, s0
	s_cbranch_execz .LBB41_16
; %bb.15:                               ;   in Loop: Header=BB41_14 Depth=1
	ds_store_b8 v0, v7 offset:16384
.LBB41_16:                              ;   in Loop: Header=BB41_14 Depth=1
	s_or_b32 exec_lo, exec_lo, s4
	ds_store_2addr_stride64_b64 v22, v[8:9], v[8:9] offset1:4
	ds_store_2addr_stride64_b64 v22, v[8:9], v[8:9] offset0:8 offset1:12
	ds_store_b64 v22, v[8:9] offset:8192
	s_and_saveexec_b32 s4, s3
	s_delay_alu instid0(SALU_CYCLE_1)
	s_xor_b32 s4, exec_lo, s4
	s_cbranch_execz .LBB41_22
; %bb.17:                               ;   in Loop: Header=BB41_14 Depth=1
	v_mov_b32_e32 v6, v7
	ds_store_b64 v22, v[6:7] offset:10240
	s_and_saveexec_b32 s5, s1
	s_delay_alu instid0(SALU_CYCLE_1)
	s_xor_b32 s5, exec_lo, s5
	s_cbranch_execz .LBB41_21
; %bb.18:                               ;   in Loop: Header=BB41_14 Depth=1
	ds_store_b64 v22, v[6:7] offset:12288
	s_and_saveexec_b32 s15, s2
	s_delay_alu instid0(SALU_CYCLE_1)
	s_xor_b32 s15, exec_lo, s15
	s_cbranch_execz .LBB41_20
; %bb.19:                               ;   in Loop: Header=BB41_14 Depth=1
	v_mov_b32_e32 v6, v7
	ds_store_b64 v22, v[6:7] offset:14336
.LBB41_20:                              ;   in Loop: Header=BB41_14 Depth=1
	s_or_b32 exec_lo, exec_lo, s15
.LBB41_21:                              ;   in Loop: Header=BB41_14 Depth=1
	s_delay_alu instid0(SALU_CYCLE_1)
	s_or_b32 exec_lo, exec_lo, s5
.LBB41_22:                              ;   in Loop: Header=BB41_14 Depth=1
	s_delay_alu instid0(SALU_CYCLE_1) | instskip(NEXT) | instid1(SALU_CYCLE_1)
	s_or_b32 exec_lo, exec_lo, s4
	s_and_not1_b32 vcc_lo, exec_lo, s51
	s_mov_b32 s43, s29
	s_waitcnt vmcnt(0) lgkmcnt(0)
	s_barrier
	buffer_gl0_inv
	s_cbranch_vccnz .LBB41_52
; %bb.23:                               ;   in Loop: Header=BB41_14 Depth=1
	v_mov_b32_e32 v13, v24
	v_mov_b32_e32 v27, v10
	s_cmp_lg_u32 s40, 0
	s_mov_b32 s56, s29
	s_cselect_b32 s15, -1, 0
	s_mov_b32 s42, s49
.LBB41_24:                              ;   Parent Loop BB41_14 Depth=1
                                        ; =>  This Loop Header: Depth=2
                                        ;       Child Loop BB41_29 Depth 3
                                        ;         Child Loop BB41_38 Depth 4
                                        ;         Child Loop BB41_43 Depth 4
	s_delay_alu instid0(SALU_CYCLE_1) | instskip(NEXT) | instid1(SALU_CYCLE_1)
	s_ashr_i32 s43, s42, 31
	s_lshl_b64 s[44:45], s[42:43], 2
	s_delay_alu instid0(SALU_CYCLE_1)
	s_add_u32 s4, s16, s44
	s_addc_u32 s5, s17, s45
	s_and_b32 vcc_lo, exec_lo, s15
	s_load_b32 s4, s[4:5], 0x0
	s_waitcnt lgkmcnt(0)
	s_sub_i32 s4, s4, s24
	s_cbranch_vccz .LBB41_51
; %bb.25:                               ;   in Loop: Header=BB41_24 Depth=2
	s_add_u32 s46, s6, s44
	s_addc_u32 s47, s7, s45
	s_ashr_i32 s5, s4, 31
	global_load_b32 v6, v7, s[46:47]
	s_waitcnt vmcnt(0)
	v_readfirstlane_b32 s46, v6
	s_cbranch_execnz .LBB41_27
.LBB41_26:                              ;   in Loop: Header=BB41_24 Depth=2
	s_ashr_i32 s5, s4, 31
	s_delay_alu instid0(SALU_CYCLE_1) | instskip(NEXT) | instid1(SALU_CYCLE_1)
	s_lshl_b64 s[46:47], s[4:5], 2
	s_add_u32 s46, s20, s46
	s_addc_u32 s47, s21, s47
	s_load_b32 s43, s[46:47], 0x0
	s_waitcnt lgkmcnt(0)
	s_sub_i32 s46, s43, s25
.LBB41_27:                              ;   in Loop: Header=BB41_24 Depth=2
	s_lshl_b64 s[4:5], s[4:5], 2
	s_delay_alu instid0(SALU_CYCLE_1) | instskip(SKIP_4) | instid1(SALU_CYCLE_1)
	s_add_u32 s4, s52, s4
	s_addc_u32 s5, s53, s5
	s_load_b32 s4, s[4:5], 0x0
	s_waitcnt lgkmcnt(0)
	s_sub_i32 s5, s4, s25
	s_cmp_ge_i32 s46, s5
	s_cbranch_scc1 .LBB41_48
; %bb.28:                               ;   in Loop: Header=BB41_24 Depth=2
	v_ashrrev_i32_e32 v14, 31, v13
	v_mad_u64_u32 v[16:17], null, s30, s46, v[5:6]
	s_mov_b32 s57, s46
	s_delay_alu instid0(VALU_DEP_2) | instskip(SKIP_1) | instid1(VALU_DEP_3)
	v_lshlrev_b64 v[17:18], 3, v[13:14]
	v_mad_u64_u32 v[14:15], null, s31, s46, v[5:6]
	v_mul_lo_u32 v28, s30, v16
	s_delay_alu instid0(VALU_DEP_3) | instskip(NEXT) | instid1(VALU_DEP_4)
	v_add_co_u32 v15, vcc_lo, s18, v17
	v_add_co_ci_u32_e32 v16, vcc_lo, s19, v18, vcc_lo
.LBB41_29:                              ;   Parent Loop BB41_14 Depth=1
                                        ;     Parent Loop BB41_24 Depth=2
                                        ; =>    This Loop Header: Depth=3
                                        ;         Child Loop BB41_38 Depth 4
                                        ;         Child Loop BB41_43 Depth 4
	s_ashr_i32 s47, s46, 31
                                        ; implicit-def: $sgpr43
	s_delay_alu instid0(SALU_CYCLE_1) | instskip(NEXT) | instid1(SALU_CYCLE_1)
	s_lshl_b64 s[58:59], s[46:47], 2
	s_add_u32 s58, s22, s58
	s_addc_u32 s59, s23, s59
	s_load_b32 s4, s[58:59], 0x0
	s_mov_b32 s59, -1
                                        ; implicit-def: $sgpr58
	s_waitcnt lgkmcnt(0)
	s_sub_i32 s47, s4, s25
	s_delay_alu instid0(SALU_CYCLE_1) | instskip(SKIP_3) | instid1(SALU_CYCLE_1)
	s_cmp_lt_i32 s47, s40
	s_cselect_b32 s4, -1, 0
	s_cmp_ge_i32 s47, s55
	s_cselect_b32 s60, -1, 0
	s_or_b32 s4, s4, s60
	s_delay_alu instid0(SALU_CYCLE_1)
	s_and_b32 vcc_lo, exec_lo, s4
                                        ; implicit-def: $sgpr4
	s_cbranch_vccz .LBB41_33
; %bb.30:                               ;   in Loop: Header=BB41_29 Depth=3
	s_mov_b32 s58, -1
	s_and_not1_b32 vcc_lo, exec_lo, s60
	s_mov_b32 s4, s57
	s_mov_b32 s43, s56
	s_cbranch_vccnz .LBB41_32
; %bb.31:                               ;   in Loop: Header=BB41_29 Depth=3
	s_min_i32 s43, s47, s56
	s_mov_b32 s58, 0
	s_mov_b32 s4, s46
.LBB41_32:                              ;   in Loop: Header=BB41_29 Depth=3
	s_mov_b32 s59, 0
.LBB41_33:                              ;   in Loop: Header=BB41_29 Depth=3
	s_delay_alu instid0(SALU_CYCLE_1)
	s_and_not1_b32 vcc_lo, exec_lo, s59
	s_cbranch_vccnz .LBB41_46
; %bb.34:                               ;   in Loop: Header=BB41_29 Depth=3
	s_sub_i32 s47, s47, s40
	s_delay_alu instid0(SALU_CYCLE_1)
	v_mov_b32_e32 v6, s47
	ds_store_b8 v6, v26 offset:16384
	s_and_saveexec_b32 s43, s41
	s_cbranch_execz .LBB41_45
; %bb.35:                               ;   in Loop: Header=BB41_29 Depth=3
	v_cmp_ne_u32_e64 s4, 1, v25
	s_and_not1_b32 vcc_lo, exec_lo, s28
	s_cbranch_vccnz .LBB41_40
; %bb.36:                               ;   in Loop: Header=BB41_29 Depth=3
	v_mov_b32_e32 v17, 0
	v_mov_b32_e32 v18, 0
	s_and_b32 vcc_lo, exec_lo, s4
	s_cbranch_vccnz .LBB41_39
; %bb.37:                               ;   in Loop: Header=BB41_29 Depth=3
	v_mov_b32_e32 v19, v27
	s_mov_b32 s4, 0
	.p2align	6
.LBB41_38:                              ;   Parent Loop BB41_14 Depth=1
                                        ;     Parent Loop BB41_24 Depth=2
                                        ;       Parent Loop BB41_29 Depth=3
                                        ; =>      This Inner Loop Header: Depth=4
	s_delay_alu instid0(VALU_DEP_1) | instskip(SKIP_2) | instid1(SALU_CYCLE_1)
	v_ashrrev_i32_e32 v20, 31, v19
	v_add_nc_u32_e32 v6, s4, v28
	s_add_i32 s4, s4, 1
	s_cmp_lg_u32 s30, s4
	s_delay_alu instid0(VALU_DEP_2) | instskip(NEXT) | instid1(VALU_DEP_2)
	v_lshlrev_b64 v[29:30], 3, v[19:20]
	v_lshlrev_b64 v[31:32], 3, v[6:7]
	v_add_nc_u32_e32 v19, s30, v19
	s_delay_alu instid0(VALU_DEP_3) | instskip(NEXT) | instid1(VALU_DEP_4)
	v_add_co_u32 v29, vcc_lo, s18, v29
	v_add_co_ci_u32_e32 v30, vcc_lo, s19, v30, vcc_lo
	s_delay_alu instid0(VALU_DEP_4)
	v_add_co_u32 v31, vcc_lo, s34, v31
	v_add_co_ci_u32_e32 v32, vcc_lo, s35, v32, vcc_lo
	global_load_b64 v[29:30], v[29:30], off
	global_load_b64 v[31:32], v[31:32], off
	s_waitcnt vmcnt(0)
	v_fma_f64 v[17:18], v[29:30], v[31:32], v[17:18]
	s_cbranch_scc1 .LBB41_38
.LBB41_39:                              ;   in Loop: Header=BB41_29 Depth=3
	s_cbranch_execz .LBB41_41
	s_branch .LBB41_44
.LBB41_40:                              ;   in Loop: Header=BB41_29 Depth=3
                                        ; implicit-def: $vgpr17_vgpr18
.LBB41_41:                              ;   in Loop: Header=BB41_29 Depth=3
	v_mov_b32_e32 v17, 0
	v_mov_b32_e32 v18, 0
	s_and_not1_b32 vcc_lo, exec_lo, s50
	s_cbranch_vccnz .LBB41_44
; %bb.42:                               ;   in Loop: Header=BB41_29 Depth=3
	v_dual_mov_b32 v20, v16 :: v_dual_mov_b32 v19, v15
	v_mov_b32_e32 v6, v14
	s_mov_b32 s4, s30
	.p2align	6
.LBB41_43:                              ;   Parent Loop BB41_14 Depth=1
                                        ;     Parent Loop BB41_24 Depth=2
                                        ;       Parent Loop BB41_29 Depth=3
                                        ; =>      This Inner Loop Header: Depth=4
	s_delay_alu instid0(VALU_DEP_1) | instskip(SKIP_2) | instid1(SALU_CYCLE_1)
	v_lshlrev_b64 v[29:30], 3, v[6:7]
	v_add_nc_u32_e32 v6, s30, v6
	s_add_i32 s4, s4, -1
	s_cmp_eq_u32 s4, 0
	s_delay_alu instid0(VALU_DEP_2) | instskip(NEXT) | instid1(VALU_DEP_3)
	v_add_co_u32 v29, vcc_lo, s34, v29
	v_add_co_ci_u32_e32 v30, vcc_lo, s35, v30, vcc_lo
	global_load_b64 v[31:32], v[19:20], off
	global_load_b64 v[29:30], v[29:30], off
	v_add_co_u32 v19, vcc_lo, v19, 8
	v_add_co_ci_u32_e32 v20, vcc_lo, 0, v20, vcc_lo
	s_waitcnt vmcnt(0)
	v_fma_f64 v[17:18], v[31:32], v[29:30], v[17:18]
	s_cbranch_scc0 .LBB41_43
.LBB41_44:                              ;   in Loop: Header=BB41_29 Depth=3
	s_lshl_b32 s4, s47, 8
	s_delay_alu instid0(SALU_CYCLE_1) | instskip(NEXT) | instid1(VALU_DEP_1)
	v_or3_b32 v6, s4, v21, v5
	v_lshlrev_b32_e32 v6, 3, v6
	ds_load_b64 v[19:20], v6
	s_waitcnt lgkmcnt(0)
	v_fma_f64 v[17:18], v[1:2], v[17:18], v[19:20]
	ds_store_b64 v6, v[17:18]
.LBB41_45:                              ;   in Loop: Header=BB41_29 Depth=3
	s_or_b32 exec_lo, exec_lo, s43
	s_mov_b32 s58, -1
	s_mov_b32 s4, s57
	s_mov_b32 s43, s56
	s_waitcnt lgkmcnt(0)
	s_waitcnt_vscnt null, 0x0
	s_barrier
	buffer_gl0_inv
.LBB41_46:                              ;   in Loop: Header=BB41_29 Depth=3
	s_add_i32 s46, s46, 1
	v_add_nc_u32_e32 v28, s31, v28
	s_cmp_lt_i32 s46, s5
	v_add_nc_u32_e32 v14, s31, v14
	s_cselect_b32 s47, -1, 0
	s_delay_alu instid0(SALU_CYCLE_1) | instskip(NEXT) | instid1(SALU_CYCLE_1)
	s_and_b32 s47, s58, s47
	s_and_b32 vcc_lo, exec_lo, s47
	s_cbranch_vccz .LBB41_49
; %bb.47:                               ;   in Loop: Header=BB41_29 Depth=3
	s_mov_b32 s57, s4
	s_mov_b32 s56, s43
	s_branch .LBB41_29
.LBB41_48:                              ;   in Loop: Header=BB41_24 Depth=2
	s_mov_b32 s4, s46
	s_mov_b32 s43, s56
.LBB41_49:                              ;   in Loop: Header=BB41_24 Depth=2
	s_add_u32 s44, s6, s44
	v_dual_mov_b32 v6, s4 :: v_dual_add_nc_u32 v27, s31, v27
	v_add_nc_u32_e32 v13, s31, v13
	s_addc_u32 s45, s7, s45
	s_add_i32 s42, s42, 1
	global_store_b32 v7, v6, s[44:45]
	s_cmp_lt_i32 s42, s48
	s_cbranch_scc0 .LBB41_52
; %bb.50:                               ;   in Loop: Header=BB41_24 Depth=2
	s_mov_b32 s56, s43
	s_branch .LBB41_24
.LBB41_51:                              ;   in Loop: Header=BB41_24 Depth=2
                                        ; implicit-def: $sgpr46
	s_branch .LBB41_26
.LBB41_52:                              ;   in Loop: Header=BB41_14 Depth=1
	s_and_not1_b32 vcc_lo, exec_lo, s33
	s_cbranch_vccnz .LBB41_64
; %bb.53:                               ;   in Loop: Header=BB41_14 Depth=1
	s_load_b64 s[4:5], s[8:9], 0x0
	s_waitcnt lgkmcnt(0)
	s_cmp_ge_i32 s4, s5
	s_cbranch_scc1 .LBB41_64
; %bb.54:                               ;   in Loop: Header=BB41_14 Depth=1
	s_sub_i32 s44, s4, s27
	s_sub_i32 s15, s5, s27
	v_mad_u64_u32 v[13:14], null, s30, s44, v[11:12]
	s_ashr_i32 s45, s44, 31
	s_add_i32 s42, s54, s4
	s_lshl_b64 s[44:45], s[44:45], 2
	s_delay_alu instid0(SALU_CYCLE_1) | instskip(SKIP_1) | instid1(VALU_DEP_1)
	s_add_u32 s4, s10, s44
	s_addc_u32 s5, s11, s45
	v_mad_u64_u32 v[14:15], null, s30, v13, v[12:13]
	s_delay_alu instid0(VALU_DEP_1)
	v_mov_b32_e32 v6, v14
.LBB41_55:                              ;   Parent Loop BB41_14 Depth=1
                                        ; =>  This Inner Loop Header: Depth=2
	s_load_b32 s44, s[4:5], 0x0
	s_waitcnt lgkmcnt(0)
	s_sub_i32 s46, s44, s27
	s_delay_alu instid0(SALU_CYCLE_1)
	s_cmp_lt_i32 s46, s40
	s_cselect_b32 s44, -1, 0
	s_cmp_lt_i32 s46, s55
	s_cselect_b32 s45, -1, 0
	s_cmp_ge_i32 s46, s55
	s_cselect_b32 s47, -1, 0
	s_delay_alu instid0(SALU_CYCLE_1)
	s_or_b32 s44, s44, s47
	s_mov_b32 s47, -1
	s_and_b32 vcc_lo, exec_lo, s44
                                        ; implicit-def: $sgpr44
	s_cbranch_vccz .LBB41_57
; %bb.56:                               ;   in Loop: Header=BB41_55 Depth=2
	s_min_i32 s44, s46, s43
	s_and_b32 s47, s45, exec_lo
	s_cselect_b32 s44, s43, s44
	s_mov_b32 s47, 0
.LBB41_57:                              ;   in Loop: Header=BB41_55 Depth=2
	s_delay_alu instid0(SALU_CYCLE_1)
	s_and_not1_b32 vcc_lo, exec_lo, s47
	s_cbranch_vccnz .LBB41_61
; %bb.58:                               ;   in Loop: Header=BB41_55 Depth=2
	s_sub_i32 s45, s46, s40
	s_delay_alu instid0(SALU_CYCLE_1)
	v_mov_b32_e32 v13, s45
	ds_store_b8 v13, v26 offset:16384
	s_and_saveexec_b32 s44, s41
	s_cbranch_execz .LBB41_60
; %bb.59:                               ;   in Loop: Header=BB41_55 Depth=2
	v_lshlrev_b64 v[13:14], 3, v[6:7]
	s_lshl_b32 s45, s45, 8
	s_delay_alu instid0(SALU_CYCLE_1) | instskip(NEXT) | instid1(VALU_DEP_2)
	v_or3_b32 v15, s45, v21, v5
	v_add_co_u32 v13, vcc_lo, s12, v13
	s_delay_alu instid0(VALU_DEP_3) | instskip(NEXT) | instid1(VALU_DEP_3)
	v_add_co_ci_u32_e32 v14, vcc_lo, s13, v14, vcc_lo
	v_lshlrev_b32_e32 v17, 3, v15
	global_load_b64 v[13:14], v[13:14], off
	ds_load_b64 v[15:16], v17
	s_waitcnt vmcnt(0) lgkmcnt(0)
	v_fma_f64 v[13:14], v[3:4], v[13:14], v[15:16]
	ds_store_b64 v17, v[13:14]
.LBB41_60:                              ;   in Loop: Header=BB41_55 Depth=2
	s_or_b32 exec_lo, exec_lo, s44
	s_mov_b32 s45, -1
	s_mov_b32 s44, s43
	s_waitcnt lgkmcnt(0)
	s_waitcnt_vscnt null, 0x0
	s_barrier
	buffer_gl0_inv
.LBB41_61:                              ;   in Loop: Header=BB41_55 Depth=2
	s_cmp_lt_i32 s42, s15
	v_add_nc_u32_e32 v6, s31, v6
	s_cselect_b32 s43, -1, 0
	s_add_i32 s42, s42, 1
	s_and_b32 s43, s45, s43
	s_add_u32 s4, s4, 4
	s_addc_u32 s5, s5, 0
	s_and_b32 vcc_lo, exec_lo, s43
	s_cbranch_vccz .LBB41_63
; %bb.62:                               ;   in Loop: Header=BB41_55 Depth=2
	s_mov_b32 s43, s44
	s_branch .LBB41_55
.LBB41_63:                              ;   in Loop: Header=BB41_14 Depth=1
	s_mov_b32 s43, s44
.LBB41_64:                              ;   in Loop: Header=BB41_14 Depth=1
	s_waitcnt_vscnt null, 0x0
	s_barrier
	buffer_gl0_inv
	ds_load_u8 v6, v7 offset:16384
	s_add_i32 s40, s40, s26
	s_mov_b32 s15, 0
	s_waitcnt lgkmcnt(0)
	v_cmp_eq_u32_e32 vcc_lo, 0, v6
	s_cbranch_vccz .LBB41_72
; %bb.65:                               ;   in Loop: Header=BB41_14 Depth=1
	ds_load_u8 v6, v7 offset:16385
	s_waitcnt lgkmcnt(0)
	v_cmp_eq_u32_e32 vcc_lo, 0, v6
	s_cbranch_vccz .LBB41_75
.LBB41_66:                              ;   in Loop: Header=BB41_14 Depth=1
	ds_load_u8 v6, v7 offset:16386
	s_waitcnt lgkmcnt(0)
	v_cmp_eq_u32_e32 vcc_lo, 0, v6
	s_cbranch_vccz .LBB41_78
.LBB41_67:                              ;   in Loop: Header=BB41_14 Depth=1
	ds_load_u8 v6, v7 offset:16387
	s_waitcnt lgkmcnt(0)
	v_cmp_eq_u32_e32 vcc_lo, 0, v6
	s_cbranch_vccz .LBB41_81
.LBB41_68:                              ;   in Loop: Header=BB41_14 Depth=1
	ds_load_u8 v6, v7 offset:16388
	s_waitcnt lgkmcnt(0)
	v_cmp_eq_u32_e32 vcc_lo, 0, v6
	s_cbranch_vccz .LBB41_84
.LBB41_69:                              ;   in Loop: Header=BB41_14 Depth=1
	ds_load_u8 v6, v7 offset:16389
	s_waitcnt lgkmcnt(0)
	v_cmp_eq_u32_e32 vcc_lo, 0, v6
	s_cbranch_vccz .LBB41_87
.LBB41_70:                              ;   in Loop: Header=BB41_14 Depth=1
	ds_load_u8 v6, v7 offset:16390
	s_waitcnt lgkmcnt(0)
	v_cmp_eq_u32_e32 vcc_lo, 0, v6
	s_cbranch_vccz .LBB41_90
.LBB41_71:                              ;   in Loop: Header=BB41_14 Depth=1
	ds_load_u8 v6, v7 offset:16391
	s_waitcnt lgkmcnt(0)
	v_cmp_eq_u32_e32 vcc_lo, 0, v6
	s_cbranch_vccnz .LBB41_13
	s_branch .LBB41_93
.LBB41_72:                              ;   in Loop: Header=BB41_14 Depth=1
	s_ashr_i32 s15, s14, 31
	v_mov_b32_e32 v6, s40
	s_lshl_b64 s[4:5], s[14:15], 2
	s_delay_alu instid0(SALU_CYCLE_1)
	s_add_u32 s4, s36, s4
	s_addc_u32 s5, s37, s5
	global_store_b32 v7, v6, s[4:5]
	s_and_saveexec_b32 s4, s41
	s_cbranch_execz .LBB41_74
; %bb.73:                               ;   in Loop: Header=BB41_14 Depth=1
	v_mad_u64_u32 v[13:14], null, s14, s30, v[11:12]
	ds_load_b64 v[16:17], v22
	v_mad_u64_u32 v[14:15], null, v13, s30, v[12:13]
	v_mov_b32_e32 v15, v7
	s_delay_alu instid0(VALU_DEP_1) | instskip(NEXT) | instid1(VALU_DEP_1)
	v_lshlrev_b64 v[13:14], 3, v[14:15]
	v_add_co_u32 v13, vcc_lo, s38, v13
	s_delay_alu instid0(VALU_DEP_2)
	v_add_co_ci_u32_e32 v14, vcc_lo, s39, v14, vcc_lo
	s_waitcnt lgkmcnt(0)
	global_store_b64 v[13:14], v[16:17], off
.LBB41_74:                              ;   in Loop: Header=BB41_14 Depth=1
	s_or_b32 exec_lo, exec_lo, s4
	s_mov_b32 s15, 1
	ds_load_u8 v6, v7 offset:16385
	s_waitcnt lgkmcnt(0)
	v_cmp_eq_u32_e32 vcc_lo, 0, v6
	s_cbranch_vccnz .LBB41_66
.LBB41_75:                              ;   in Loop: Header=BB41_14 Depth=1
	s_add_i32 s4, s15, s14
	s_add_i32 s42, s40, 1
	s_ashr_i32 s5, s4, 31
	v_mov_b32_e32 v6, s42
	s_lshl_b64 s[44:45], s[4:5], 2
	s_delay_alu instid0(SALU_CYCLE_1)
	s_add_u32 s44, s36, s44
	s_addc_u32 s45, s37, s45
	global_store_b32 v7, v6, s[44:45]
	s_and_saveexec_b32 s5, s41
	s_cbranch_execz .LBB41_77
; %bb.76:                               ;   in Loop: Header=BB41_14 Depth=1
	v_mad_u64_u32 v[13:14], null, s4, s30, v[11:12]
	ds_load_b64 v[16:17], v23 offset:2048
	v_mad_u64_u32 v[14:15], null, v13, s30, v[12:13]
	v_mov_b32_e32 v15, v7
	s_delay_alu instid0(VALU_DEP_1) | instskip(NEXT) | instid1(VALU_DEP_1)
	v_lshlrev_b64 v[13:14], 3, v[14:15]
	v_add_co_u32 v13, vcc_lo, s38, v13
	s_delay_alu instid0(VALU_DEP_2)
	v_add_co_ci_u32_e32 v14, vcc_lo, s39, v14, vcc_lo
	s_waitcnt lgkmcnt(0)
	global_store_b64 v[13:14], v[16:17], off
.LBB41_77:                              ;   in Loop: Header=BB41_14 Depth=1
	s_or_b32 exec_lo, exec_lo, s5
	s_add_i32 s15, s15, 1
	ds_load_u8 v6, v7 offset:16386
	s_waitcnt lgkmcnt(0)
	v_cmp_eq_u32_e32 vcc_lo, 0, v6
	s_cbranch_vccnz .LBB41_67
.LBB41_78:                              ;   in Loop: Header=BB41_14 Depth=1
	s_add_i32 s4, s15, s14
	s_add_i32 s42, s40, 2
	s_ashr_i32 s5, s4, 31
	v_mov_b32_e32 v6, s42
	s_lshl_b64 s[44:45], s[4:5], 2
	s_delay_alu instid0(SALU_CYCLE_1)
	s_add_u32 s44, s36, s44
	s_addc_u32 s45, s37, s45
	global_store_b32 v7, v6, s[44:45]
	s_and_saveexec_b32 s5, s41
	s_cbranch_execz .LBB41_80
; %bb.79:                               ;   in Loop: Header=BB41_14 Depth=1
	v_mad_u64_u32 v[13:14], null, s4, s30, v[11:12]
	ds_load_b64 v[16:17], v23 offset:4096
	v_mad_u64_u32 v[14:15], null, v13, s30, v[12:13]
	v_mov_b32_e32 v15, v7
	s_delay_alu instid0(VALU_DEP_1) | instskip(NEXT) | instid1(VALU_DEP_1)
	v_lshlrev_b64 v[13:14], 3, v[14:15]
	v_add_co_u32 v13, vcc_lo, s38, v13
	s_delay_alu instid0(VALU_DEP_2)
	v_add_co_ci_u32_e32 v14, vcc_lo, s39, v14, vcc_lo
	s_waitcnt lgkmcnt(0)
	global_store_b64 v[13:14], v[16:17], off
.LBB41_80:                              ;   in Loop: Header=BB41_14 Depth=1
	s_or_b32 exec_lo, exec_lo, s5
	s_add_i32 s15, s15, 1
	ds_load_u8 v6, v7 offset:16387
	s_waitcnt lgkmcnt(0)
	v_cmp_eq_u32_e32 vcc_lo, 0, v6
	s_cbranch_vccnz .LBB41_68
.LBB41_81:                              ;   in Loop: Header=BB41_14 Depth=1
	s_add_i32 s4, s15, s14
	s_add_i32 s42, s40, 3
	s_ashr_i32 s5, s4, 31
	v_mov_b32_e32 v6, s42
	s_lshl_b64 s[44:45], s[4:5], 2
	s_delay_alu instid0(SALU_CYCLE_1)
	s_add_u32 s44, s36, s44
	s_addc_u32 s45, s37, s45
	global_store_b32 v7, v6, s[44:45]
	s_and_saveexec_b32 s5, s41
	s_cbranch_execz .LBB41_83
; %bb.82:                               ;   in Loop: Header=BB41_14 Depth=1
	v_mad_u64_u32 v[13:14], null, s4, s30, v[11:12]
	ds_load_b64 v[16:17], v23 offset:6144
	v_mad_u64_u32 v[14:15], null, v13, s30, v[12:13]
	v_mov_b32_e32 v15, v7
	s_delay_alu instid0(VALU_DEP_1) | instskip(NEXT) | instid1(VALU_DEP_1)
	v_lshlrev_b64 v[13:14], 3, v[14:15]
	v_add_co_u32 v13, vcc_lo, s38, v13
	s_delay_alu instid0(VALU_DEP_2)
	v_add_co_ci_u32_e32 v14, vcc_lo, s39, v14, vcc_lo
	s_waitcnt lgkmcnt(0)
	global_store_b64 v[13:14], v[16:17], off
.LBB41_83:                              ;   in Loop: Header=BB41_14 Depth=1
	s_or_b32 exec_lo, exec_lo, s5
	s_add_i32 s15, s15, 1
	ds_load_u8 v6, v7 offset:16388
	s_waitcnt lgkmcnt(0)
	v_cmp_eq_u32_e32 vcc_lo, 0, v6
	s_cbranch_vccnz .LBB41_69
.LBB41_84:                              ;   in Loop: Header=BB41_14 Depth=1
	s_add_i32 s4, s15, s14
	s_add_i32 s42, s40, 4
	s_ashr_i32 s5, s4, 31
	v_mov_b32_e32 v6, s42
	s_lshl_b64 s[44:45], s[4:5], 2
	s_delay_alu instid0(SALU_CYCLE_1)
	s_add_u32 s44, s36, s44
	s_addc_u32 s45, s37, s45
	global_store_b32 v7, v6, s[44:45]
	s_and_saveexec_b32 s5, s41
	s_cbranch_execz .LBB41_86
; %bb.85:                               ;   in Loop: Header=BB41_14 Depth=1
	v_mad_u64_u32 v[13:14], null, s4, s30, v[11:12]
	ds_load_b64 v[16:17], v22 offset:8192
	v_mad_u64_u32 v[14:15], null, v13, s30, v[12:13]
	v_mov_b32_e32 v15, v7
	s_delay_alu instid0(VALU_DEP_1) | instskip(NEXT) | instid1(VALU_DEP_1)
	v_lshlrev_b64 v[13:14], 3, v[14:15]
	v_add_co_u32 v13, vcc_lo, s38, v13
	s_delay_alu instid0(VALU_DEP_2)
	v_add_co_ci_u32_e32 v14, vcc_lo, s39, v14, vcc_lo
	s_waitcnt lgkmcnt(0)
	global_store_b64 v[13:14], v[16:17], off
.LBB41_86:                              ;   in Loop: Header=BB41_14 Depth=1
	s_or_b32 exec_lo, exec_lo, s5
	s_add_i32 s15, s15, 1
	ds_load_u8 v6, v7 offset:16389
	s_waitcnt lgkmcnt(0)
	v_cmp_eq_u32_e32 vcc_lo, 0, v6
	s_cbranch_vccnz .LBB41_70
.LBB41_87:                              ;   in Loop: Header=BB41_14 Depth=1
	s_add_i32 s4, s15, s14
	s_add_i32 s42, s40, 5
	s_ashr_i32 s5, s4, 31
	v_mov_b32_e32 v6, s42
	s_lshl_b64 s[44:45], s[4:5], 2
	s_delay_alu instid0(SALU_CYCLE_1)
	s_add_u32 s44, s36, s44
	s_addc_u32 s45, s37, s45
	global_store_b32 v7, v6, s[44:45]
	s_and_saveexec_b32 s5, s41
	s_cbranch_execz .LBB41_89
; %bb.88:                               ;   in Loop: Header=BB41_14 Depth=1
	v_mad_u64_u32 v[13:14], null, s4, s30, v[11:12]
	ds_load_b64 v[16:17], v23 offset:10240
	v_mad_u64_u32 v[14:15], null, v13, s30, v[12:13]
	v_mov_b32_e32 v15, v7
	s_delay_alu instid0(VALU_DEP_1) | instskip(NEXT) | instid1(VALU_DEP_1)
	v_lshlrev_b64 v[13:14], 3, v[14:15]
	v_add_co_u32 v13, vcc_lo, s38, v13
	s_delay_alu instid0(VALU_DEP_2)
	v_add_co_ci_u32_e32 v14, vcc_lo, s39, v14, vcc_lo
	s_waitcnt lgkmcnt(0)
	global_store_b64 v[13:14], v[16:17], off
.LBB41_89:                              ;   in Loop: Header=BB41_14 Depth=1
	s_or_b32 exec_lo, exec_lo, s5
	s_add_i32 s15, s15, 1
	ds_load_u8 v6, v7 offset:16390
	s_waitcnt lgkmcnt(0)
	v_cmp_eq_u32_e32 vcc_lo, 0, v6
	s_cbranch_vccnz .LBB41_71
.LBB41_90:                              ;   in Loop: Header=BB41_14 Depth=1
	s_add_i32 s4, s15, s14
	s_add_i32 s42, s40, 6
	s_ashr_i32 s5, s4, 31
	v_mov_b32_e32 v6, s42
	s_lshl_b64 s[44:45], s[4:5], 2
	s_delay_alu instid0(SALU_CYCLE_1)
	s_add_u32 s44, s36, s44
	s_addc_u32 s45, s37, s45
	global_store_b32 v7, v6, s[44:45]
	s_and_saveexec_b32 s5, s41
	s_cbranch_execz .LBB41_92
; %bb.91:                               ;   in Loop: Header=BB41_14 Depth=1
	v_mad_u64_u32 v[13:14], null, s4, s30, v[11:12]
	ds_load_b64 v[16:17], v23 offset:12288
	v_mad_u64_u32 v[14:15], null, v13, s30, v[12:13]
	v_mov_b32_e32 v15, v7
	s_delay_alu instid0(VALU_DEP_1) | instskip(NEXT) | instid1(VALU_DEP_1)
	v_lshlrev_b64 v[13:14], 3, v[14:15]
	v_add_co_u32 v13, vcc_lo, s38, v13
	s_delay_alu instid0(VALU_DEP_2)
	v_add_co_ci_u32_e32 v14, vcc_lo, s39, v14, vcc_lo
	s_waitcnt lgkmcnt(0)
	global_store_b64 v[13:14], v[16:17], off
.LBB41_92:                              ;   in Loop: Header=BB41_14 Depth=1
	s_or_b32 exec_lo, exec_lo, s5
	s_add_i32 s15, s15, 1
	ds_load_u8 v6, v7 offset:16391
	s_waitcnt lgkmcnt(0)
	v_cmp_eq_u32_e32 vcc_lo, 0, v6
	s_cbranch_vccnz .LBB41_13
.LBB41_93:                              ;   in Loop: Header=BB41_14 Depth=1
	s_add_i32 s4, s15, s14
	s_add_i32 s40, s40, 7
	s_ashr_i32 s5, s4, 31
	v_mov_b32_e32 v6, s40
	s_lshl_b64 s[44:45], s[4:5], 2
	s_delay_alu instid0(SALU_CYCLE_1)
	s_add_u32 s44, s36, s44
	s_addc_u32 s45, s37, s45
	global_store_b32 v7, v6, s[44:45]
	s_and_saveexec_b32 s5, s41
	s_cbranch_execz .LBB41_12
; %bb.94:                               ;   in Loop: Header=BB41_14 Depth=1
	v_mad_u64_u32 v[13:14], null, s4, s30, v[11:12]
	ds_load_b64 v[16:17], v23 offset:14336
	v_mad_u64_u32 v[14:15], null, v13, s30, v[12:13]
	v_mov_b32_e32 v15, v7
	s_delay_alu instid0(VALU_DEP_1) | instskip(NEXT) | instid1(VALU_DEP_1)
	v_lshlrev_b64 v[13:14], 3, v[14:15]
	v_add_co_u32 v13, vcc_lo, s38, v13
	s_delay_alu instid0(VALU_DEP_2)
	v_add_co_ci_u32_e32 v14, vcc_lo, s39, v14, vcc_lo
	s_waitcnt lgkmcnt(0)
	global_store_b64 v[13:14], v[16:17], off
	s_branch .LBB41_12
.LBB41_95:
	s_endpgm
	.section	.rodata,"a",@progbits
	.p2align	6, 0x0
	.amdhsa_kernel _ZN9rocsparseL31bsrgemm_block_per_row_multipassILj256ELj8ELj16EiidEEv20rocsparse_direction_T3_S2_PKS2_S4_NS_24const_host_device_scalarIT4_EEPKT2_S4_PKS6_SA_S4_SC_S7_SA_S4_SC_SA_PS2_PS6_PS8_21rocsparse_index_base_SG_SG_SG_bbb
		.amdhsa_group_segment_fixed_size 16392
		.amdhsa_private_segment_fixed_size 0
		.amdhsa_kernarg_size 172
		.amdhsa_user_sgpr_count 15
		.amdhsa_user_sgpr_dispatch_ptr 0
		.amdhsa_user_sgpr_queue_ptr 0
		.amdhsa_user_sgpr_kernarg_segment_ptr 1
		.amdhsa_user_sgpr_dispatch_id 0
		.amdhsa_user_sgpr_private_segment_size 0
		.amdhsa_wavefront_size32 1
		.amdhsa_uses_dynamic_stack 0
		.amdhsa_enable_private_segment 0
		.amdhsa_system_sgpr_workgroup_id_x 1
		.amdhsa_system_sgpr_workgroup_id_y 0
		.amdhsa_system_sgpr_workgroup_id_z 0
		.amdhsa_system_sgpr_workgroup_info 0
		.amdhsa_system_vgpr_workitem_id 0
		.amdhsa_next_free_vgpr 33
		.amdhsa_next_free_sgpr 61
		.amdhsa_reserve_vcc 1
		.amdhsa_float_round_mode_32 0
		.amdhsa_float_round_mode_16_64 0
		.amdhsa_float_denorm_mode_32 3
		.amdhsa_float_denorm_mode_16_64 3
		.amdhsa_dx10_clamp 1
		.amdhsa_ieee_mode 1
		.amdhsa_fp16_overflow 0
		.amdhsa_workgroup_processor_mode 1
		.amdhsa_memory_ordered 1
		.amdhsa_forward_progress 0
		.amdhsa_shared_vgpr_count 0
		.amdhsa_exception_fp_ieee_invalid_op 0
		.amdhsa_exception_fp_denorm_src 0
		.amdhsa_exception_fp_ieee_div_zero 0
		.amdhsa_exception_fp_ieee_overflow 0
		.amdhsa_exception_fp_ieee_underflow 0
		.amdhsa_exception_fp_ieee_inexact 0
		.amdhsa_exception_int_div_zero 0
	.end_amdhsa_kernel
	.section	.text._ZN9rocsparseL31bsrgemm_block_per_row_multipassILj256ELj8ELj16EiidEEv20rocsparse_direction_T3_S2_PKS2_S4_NS_24const_host_device_scalarIT4_EEPKT2_S4_PKS6_SA_S4_SC_S7_SA_S4_SC_SA_PS2_PS6_PS8_21rocsparse_index_base_SG_SG_SG_bbb,"axG",@progbits,_ZN9rocsparseL31bsrgemm_block_per_row_multipassILj256ELj8ELj16EiidEEv20rocsparse_direction_T3_S2_PKS2_S4_NS_24const_host_device_scalarIT4_EEPKT2_S4_PKS6_SA_S4_SC_S7_SA_S4_SC_SA_PS2_PS6_PS8_21rocsparse_index_base_SG_SG_SG_bbb,comdat
.Lfunc_end41:
	.size	_ZN9rocsparseL31bsrgemm_block_per_row_multipassILj256ELj8ELj16EiidEEv20rocsparse_direction_T3_S2_PKS2_S4_NS_24const_host_device_scalarIT4_EEPKT2_S4_PKS6_SA_S4_SC_S7_SA_S4_SC_SA_PS2_PS6_PS8_21rocsparse_index_base_SG_SG_SG_bbb, .Lfunc_end41-_ZN9rocsparseL31bsrgemm_block_per_row_multipassILj256ELj8ELj16EiidEEv20rocsparse_direction_T3_S2_PKS2_S4_NS_24const_host_device_scalarIT4_EEPKT2_S4_PKS6_SA_S4_SC_S7_SA_S4_SC_SA_PS2_PS6_PS8_21rocsparse_index_base_SG_SG_SG_bbb
                                        ; -- End function
	.section	.AMDGPU.csdata,"",@progbits
; Kernel info:
; codeLenInByte = 3512
; NumSgprs: 63
; NumVgprs: 33
; ScratchSize: 0
; MemoryBound: 0
; FloatMode: 240
; IeeeMode: 1
; LDSByteSize: 16392 bytes/workgroup (compile time only)
; SGPRBlocks: 7
; VGPRBlocks: 4
; NumSGPRsForWavesPerEU: 63
; NumVGPRsForWavesPerEU: 33
; Occupancy: 14
; WaveLimiterHint : 1
; COMPUTE_PGM_RSRC2:SCRATCH_EN: 0
; COMPUTE_PGM_RSRC2:USER_SGPR: 15
; COMPUTE_PGM_RSRC2:TRAP_HANDLER: 0
; COMPUTE_PGM_RSRC2:TGID_X_EN: 1
; COMPUTE_PGM_RSRC2:TGID_Y_EN: 0
; COMPUTE_PGM_RSRC2:TGID_Z_EN: 0
; COMPUTE_PGM_RSRC2:TIDIG_COMP_CNT: 0
	.section	.text._ZN9rocsparseL31bsrgemm_block_per_row_multipassILj256ELj2ELj32EiidEEv20rocsparse_direction_T3_S2_PKS2_S4_NS_24const_host_device_scalarIT4_EEPKT2_S4_PKS6_SA_S4_SC_S7_SA_S4_SC_SA_PS2_PS6_PS8_21rocsparse_index_base_SG_SG_SG_bbb,"axG",@progbits,_ZN9rocsparseL31bsrgemm_block_per_row_multipassILj256ELj2ELj32EiidEEv20rocsparse_direction_T3_S2_PKS2_S4_NS_24const_host_device_scalarIT4_EEPKT2_S4_PKS6_SA_S4_SC_S7_SA_S4_SC_SA_PS2_PS6_PS8_21rocsparse_index_base_SG_SG_SG_bbb,comdat
	.globl	_ZN9rocsparseL31bsrgemm_block_per_row_multipassILj256ELj2ELj32EiidEEv20rocsparse_direction_T3_S2_PKS2_S4_NS_24const_host_device_scalarIT4_EEPKT2_S4_PKS6_SA_S4_SC_S7_SA_S4_SC_SA_PS2_PS6_PS8_21rocsparse_index_base_SG_SG_SG_bbb ; -- Begin function _ZN9rocsparseL31bsrgemm_block_per_row_multipassILj256ELj2ELj32EiidEEv20rocsparse_direction_T3_S2_PKS2_S4_NS_24const_host_device_scalarIT4_EEPKT2_S4_PKS6_SA_S4_SC_S7_SA_S4_SC_SA_PS2_PS6_PS8_21rocsparse_index_base_SG_SG_SG_bbb
	.p2align	8
	.type	_ZN9rocsparseL31bsrgemm_block_per_row_multipassILj256ELj2ELj32EiidEEv20rocsparse_direction_T3_S2_PKS2_S4_NS_24const_host_device_scalarIT4_EEPKT2_S4_PKS6_SA_S4_SC_S7_SA_S4_SC_SA_PS2_PS6_PS8_21rocsparse_index_base_SG_SG_SG_bbb,@function
_ZN9rocsparseL31bsrgemm_block_per_row_multipassILj256ELj2ELj32EiidEEv20rocsparse_direction_T3_S2_PKS2_S4_NS_24const_host_device_scalarIT4_EEPKT2_S4_PKS6_SA_S4_SC_S7_SA_S4_SC_SA_PS2_PS6_PS8_21rocsparse_index_base_SG_SG_SG_bbb: ; @_ZN9rocsparseL31bsrgemm_block_per_row_multipassILj256ELj2ELj32EiidEEv20rocsparse_direction_T3_S2_PKS2_S4_NS_24const_host_device_scalarIT4_EEPKT2_S4_PKS6_SA_S4_SC_S7_SA_S4_SC_SA_PS2_PS6_PS8_21rocsparse_index_base_SG_SG_SG_bbb
; %bb.0:
	s_clause 0x3
	s_load_b32 s3, s[0:1], 0xa8
	s_load_b64 s[6:7], s[0:1], 0x20
	s_load_b128 s[24:27], s[0:1], 0x98
	s_load_b64 s[4:5], s[0:1], 0x58
	s_mov_b32 s2, s15
	s_waitcnt lgkmcnt(0)
	s_and_b32 s9, 1, s3
	s_bitcmp1_b32 s3, 16
	s_cselect_b32 s8, -1, 0
	s_cmp_eq_u32 s9, 1
	s_cselect_b32 s44, -1, 0
	s_delay_alu instid0(SALU_CYCLE_1)
	s_and_b32 s9, s44, exec_lo
	s_cselect_b32 s11, s7, 0
	s_cselect_b32 s10, s6, 0
	s_xor_b32 s9, s44, -1
	v_dual_mov_b32 v1, s10 :: v_dual_mov_b32 v2, s11
	s_or_b32 s9, s9, s8
	s_delay_alu instid0(SALU_CYCLE_1)
	s_and_b32 vcc_lo, exec_lo, s9
	s_cbranch_vccnz .LBB42_2
; %bb.1:
	v_dual_mov_b32 v1, s6 :: v_dual_mov_b32 v2, s7
	flat_load_b64 v[1:2], v[1:2]
.LBB42_2:
	s_load_b64 s[6:7], s[0:1], 0x18
	s_bitcmp1_b32 s3, 8
	s_cselect_b32 s33, -1, 0
	s_delay_alu instid0(SALU_CYCLE_1)
	s_and_b32 s3, s33, exec_lo
	s_cselect_b32 s11, s5, 0
	s_cselect_b32 s10, s4, 0
	s_xor_b32 s3, s33, -1
	v_dual_mov_b32 v3, s10 :: v_dual_mov_b32 v4, s11
	s_or_b32 s3, s3, s8
	s_delay_alu instid0(SALU_CYCLE_1)
	s_and_b32 vcc_lo, exec_lo, s3
	s_cbranch_vccnz .LBB42_4
; %bb.3:
	v_dual_mov_b32 v3, s4 :: v_dual_mov_b32 v4, s5
	flat_load_b64 v[3:4], v[3:4]
.LBB42_4:
	s_load_b64 s[4:5], s[0:1], 0x28
	s_waitcnt lgkmcnt(0)
	s_cmp_eq_u64 s[6:7], 0
	s_cbranch_scc1 .LBB42_6
; %bb.5:
	s_load_b64 s[8:9], s[0:1], 0x10
	s_waitcnt lgkmcnt(0)
	s_load_b32 s3, s[8:9], 0x0
	s_waitcnt lgkmcnt(0)
	s_add_i32 s2, s3, s2
	s_mov_b32 s3, 0
	s_delay_alu instid0(SALU_CYCLE_1) | instskip(NEXT) | instid1(SALU_CYCLE_1)
	s_lshl_b64 s[2:3], s[2:3], 2
	s_add_u32 s2, s6, s2
	s_addc_u32 s3, s7, s3
	s_load_b32 s2, s[2:3], 0x0
.LBB42_6:
	s_mov_b32 s48, 0
	s_and_not1_b32 vcc_lo, exec_lo, s44
	s_mov_b32 s49, 0
	s_cbranch_vccz .LBB42_9
; %bb.7:
	s_and_not1_b32 vcc_lo, exec_lo, s44
	s_cbranch_vccz .LBB42_10
.LBB42_8:
	s_load_b128 s[28:31], s[0:1], 0x0
	s_waitcnt lgkmcnt(0)
	s_cmp_lt_i32 s29, 1
	s_cbranch_scc0 .LBB42_11
	s_branch .LBB42_168
.LBB42_9:
	s_waitcnt lgkmcnt(0)
	s_ashr_i32 s3, s2, 31
	s_delay_alu instid0(SALU_CYCLE_1) | instskip(NEXT) | instid1(SALU_CYCLE_1)
	s_lshl_b64 s[6:7], s[2:3], 2
	s_add_u32 s6, s4, s6
	s_addc_u32 s7, s5, s7
	s_load_b32 s3, s[6:7], 0x0
	s_waitcnt lgkmcnt(0)
	s_sub_i32 s49, s3, s24
	s_and_not1_b32 vcc_lo, exec_lo, s44
	s_cbranch_vccnz .LBB42_8
.LBB42_10:
	s_waitcnt lgkmcnt(0)
	s_ashr_i32 s3, s2, 31
	s_delay_alu instid0(SALU_CYCLE_1) | instskip(NEXT) | instid1(SALU_CYCLE_1)
	s_lshl_b64 s[6:7], s[2:3], 2
	s_add_u32 s4, s4, s6
	s_addc_u32 s5, s5, s7
	s_load_b32 s3, s[4:5], 0x4
	s_waitcnt lgkmcnt(0)
	s_sub_i32 s48, s3, s24
	s_load_b128 s[28:31], s[0:1], 0x0
	s_waitcnt lgkmcnt(0)
	s_cmp_lt_i32 s29, 1
	s_cbranch_scc1 .LBB42_168
.LBB42_11:
	s_clause 0x4
	s_load_b256 s[8:15], s[0:1], 0x60
	s_load_b64 s[34:35], s[0:1], 0x90
	s_load_b128 s[36:39], s[0:1], 0x80
	s_load_b64 s[40:41], s[0:1], 0x50
	s_load_b256 s[16:23], s[0:1], 0x30
	s_ashr_i32 s3, s2, 31
	s_mov_b32 s42, 0
	s_lshl_b64 s[46:47], s[2:3], 2
	v_lshrrev_b32_e32 v5, 3, v0
	s_mov_b32 s43, s42
	v_and_b32_e32 v18, 7, v0
	v_or_b32_e32 v6, 0x400, v0
	s_mul_i32 s31, s30, s30
	v_lshlrev_b32_e32 v20, 5, v5
	v_cmp_gt_i32_e32 vcc_lo, s30, v5
	v_or_b32_e32 v21, 8, v18
	v_mad_u64_u32 v[8:9], null, s49, s30, v[5:6]
	v_cmp_gt_u32_e64 s0, 2, v0
	v_lshlrev_b32_e32 v19, 3, v0
	s_waitcnt lgkmcnt(0)
	s_add_u32 s2, s14, s46
	s_addc_u32 s3, s15, s47
	v_or_b32_e32 v7, v20, v21
	s_load_b32 s7, s[2:3], 0x0
	v_cmp_gt_u32_e64 s2, 0x700, v6
	v_or_b32_e32 v6, v20, v18
	v_mul_lo_u32 v28, s30, v8
	v_lshlrev_b32_e32 v25, 3, v7
	v_cmp_gt_u32_e64 s4, s30, v21
	v_cmp_gt_u32_e64 s1, 0x200, v0
	v_lshlrev_b32_e32 v24, 3, v6
	v_mad_u64_u32 v[6:7], null, s49, s31, v[5:6]
	v_mov_b32_e32 v7, s42
	v_or_b32_e32 v22, 16, v18
	v_or_b32_e32 v23, 24, v18
	v_cmp_gt_u32_e64 s3, s30, v18
	v_mov_b32_e32 v8, s43
	s_mov_b32 s58, 2
	v_or_b32_e32 v9, v20, v22
	v_or_b32_e32 v10, v20, v23
	v_cmp_gt_u32_e64 s5, s30, v22
	v_cmp_gt_u32_e64 s6, s30, v23
	s_waitcnt lgkmcnt(0)
	s_sub_i32 s14, s7, s26
	s_cmp_lt_i32 s49, s48
	v_lshlrev_b32_e32 v26, 3, v9
	s_cselect_b32 s7, -1, 0
	s_cmp_lg_u32 s28, 0
	v_dual_mov_b32 v30, 1 :: v_dual_lshlrev_b32 v27, 3, v10
	s_cselect_b32 s28, -1, 0
	s_cmp_gt_i32 s30, 0
	v_mov_b32_e32 v10, 0
	s_cselect_b32 s50, -1, 0
	s_add_u32 s8, s8, s46
	s_addc_u32 s9, s9, s47
	s_and_b32 s51, vcc_lo, s3
	v_cmp_gt_u32_e64 s3, 0x100, v0
	v_cndmask_b32_e64 v29, 0, 1, s50
	s_and_b32 s52, vcc_lo, s4
	s_and_b32 s53, vcc_lo, s5
	;; [unrolled: 1-line block ×3, first 2 shown]
	s_and_b32 s43, s44, s7
	s_add_u32 s55, s20, 4
	s_addc_u32 s56, s21, 0
	s_sub_i32 s57, 1, s27
	s_branch .LBB42_15
.LBB42_12:                              ;   in Loop: Header=BB42_15 Depth=1
	ds_load_b64 v[11:12], v27 offset:8192
	v_lshlrev_b64 v[13:14], 3, v[9:10]
	s_delay_alu instid0(VALU_DEP_1) | instskip(NEXT) | instid1(VALU_DEP_2)
	v_add_co_u32 v13, vcc_lo, s38, v13
	v_add_co_ci_u32_e32 v14, vcc_lo, s39, v14, vcc_lo
	s_waitcnt lgkmcnt(0)
	global_store_b64 v[13:14], v[11:12], off
.LBB42_13:                              ;   in Loop: Header=BB42_15 Depth=1
	s_or_b32 exec_lo, exec_lo, s5
	s_add_i32 s4, s4, 1
.LBB42_14:                              ;   in Loop: Header=BB42_15 Depth=1
	s_min_i32 s42, s47, s29
	s_add_i32 s14, s4, s14
	s_add_i32 s58, s42, 2
	s_cmp_lt_i32 s47, s29
	s_waitcnt_vscnt null, 0x0
	s_barrier
	buffer_gl0_inv
	s_barrier
	buffer_gl0_inv
	s_cbranch_scc0 .LBB42_168
.LBB42_15:                              ; =>This Loop Header: Depth=1
                                        ;     Child Loop BB42_25 Depth 2
                                        ;       Child Loop BB42_30 Depth 3
                                        ;         Child Loop BB42_42 Depth 4
                                        ;         Child Loop BB42_47 Depth 4
	;; [unrolled: 1-line block ×8, first 2 shown]
                                        ;     Child Loop BB42_92 Depth 2
	s_and_saveexec_b32 s4, s0
	s_cbranch_execz .LBB42_17
; %bb.16:                               ;   in Loop: Header=BB42_15 Depth=1
	ds_store_b8 v0, v10 offset:16384
.LBB42_17:                              ;   in Loop: Header=BB42_15 Depth=1
	s_or_b32 exec_lo, exec_lo, s4
	ds_store_2addr_stride64_b64 v19, v[7:8], v[7:8] offset1:4
	ds_store_2addr_stride64_b64 v19, v[7:8], v[7:8] offset0:8 offset1:12
	ds_store_b64 v19, v[7:8] offset:8192
	s_and_saveexec_b32 s4, s2
	s_delay_alu instid0(SALU_CYCLE_1)
	s_xor_b32 s4, exec_lo, s4
	s_cbranch_execz .LBB42_23
; %bb.18:                               ;   in Loop: Header=BB42_15 Depth=1
	v_mov_b32_e32 v9, v10
	ds_store_b64 v19, v[9:10] offset:10240
	s_and_saveexec_b32 s5, s1
	s_delay_alu instid0(SALU_CYCLE_1)
	s_xor_b32 s5, exec_lo, s5
	s_cbranch_execz .LBB42_22
; %bb.19:                               ;   in Loop: Header=BB42_15 Depth=1
	ds_store_b64 v19, v[9:10] offset:12288
	s_and_saveexec_b32 s6, s3
	s_delay_alu instid0(SALU_CYCLE_1)
	s_xor_b32 s6, exec_lo, s6
	s_cbranch_execz .LBB42_21
; %bb.20:                               ;   in Loop: Header=BB42_15 Depth=1
	v_mov_b32_e32 v9, v10
	ds_store_b64 v19, v[9:10] offset:14336
.LBB42_21:                              ;   in Loop: Header=BB42_15 Depth=1
	s_or_b32 exec_lo, exec_lo, s6
.LBB42_22:                              ;   in Loop: Header=BB42_15 Depth=1
	s_delay_alu instid0(SALU_CYCLE_1)
	s_or_b32 exec_lo, exec_lo, s5
.LBB42_23:                              ;   in Loop: Header=BB42_15 Depth=1
	s_delay_alu instid0(SALU_CYCLE_1) | instskip(NEXT) | instid1(SALU_CYCLE_1)
	s_or_b32 exec_lo, exec_lo, s4
	s_and_not1_b32 vcc_lo, exec_lo, s43
	s_mov_b32 s47, s29
	s_waitcnt vmcnt(0) lgkmcnt(0)
	s_barrier
	buffer_gl0_inv
	s_cbranch_vccnz .LBB42_86
; %bb.24:                               ;   in Loop: Header=BB42_15 Depth=1
	v_mov_b32_e32 v11, v28
	v_mov_b32_e32 v31, v6
	s_cmp_lg_u32 s42, 0
	s_mov_b32 s59, s29
	s_cselect_b32 s15, -1, 0
	s_mov_b32 s6, s49
.LBB42_25:                              ;   Parent Loop BB42_15 Depth=1
                                        ; =>  This Loop Header: Depth=2
                                        ;       Child Loop BB42_30 Depth 3
                                        ;         Child Loop BB42_42 Depth 4
                                        ;         Child Loop BB42_47 Depth 4
	;; [unrolled: 1-line block ×8, first 2 shown]
	s_delay_alu instid0(SALU_CYCLE_1) | instskip(NEXT) | instid1(SALU_CYCLE_1)
	s_ashr_i32 s7, s6, 31
	s_lshl_b64 s[44:45], s[6:7], 2
	s_delay_alu instid0(SALU_CYCLE_1)
	s_add_u32 s4, s16, s44
	s_addc_u32 s5, s17, s45
	s_and_b32 vcc_lo, exec_lo, s15
	s_load_b32 s4, s[4:5], 0x0
	s_waitcnt lgkmcnt(0)
	s_sub_i32 s4, s4, s24
	s_cbranch_vccz .LBB42_85
; %bb.26:                               ;   in Loop: Header=BB42_25 Depth=2
	s_add_u32 s46, s34, s44
	s_addc_u32 s47, s35, s45
	s_ashr_i32 s5, s4, 31
	global_load_b32 v9, v10, s[46:47]
	s_waitcnt vmcnt(0)
	v_readfirstlane_b32 s46, v9
	s_cbranch_execnz .LBB42_28
.LBB42_27:                              ;   in Loop: Header=BB42_25 Depth=2
	s_ashr_i32 s5, s4, 31
	s_delay_alu instid0(SALU_CYCLE_1) | instskip(NEXT) | instid1(SALU_CYCLE_1)
	s_lshl_b64 s[46:47], s[4:5], 2
	s_add_u32 s46, s20, s46
	s_addc_u32 s47, s21, s47
	s_load_b32 s7, s[46:47], 0x0
	s_waitcnt lgkmcnt(0)
	s_sub_i32 s46, s7, s25
.LBB42_28:                              ;   in Loop: Header=BB42_25 Depth=2
	s_lshl_b64 s[4:5], s[4:5], 2
	s_delay_alu instid0(SALU_CYCLE_1) | instskip(SKIP_4) | instid1(SALU_CYCLE_1)
	s_add_u32 s4, s55, s4
	s_addc_u32 s5, s56, s5
	s_load_b32 s4, s[4:5], 0x0
	s_waitcnt lgkmcnt(0)
	s_sub_i32 s5, s4, s25
	s_cmp_ge_i32 s46, s5
	s_cbranch_scc1 .LBB42_82
; %bb.29:                               ;   in Loop: Header=BB42_25 Depth=2
	v_ashrrev_i32_e32 v12, 31, v11
	s_mul_i32 s4, s30, s46
	s_mul_i32 s7, s31, s46
	v_add_nc_u32_e32 v9, s4, v18
	v_add_nc_u32_e32 v14, s4, v21
	v_lshlrev_b64 v[12:13], 3, v[11:12]
	v_add_nc_u32_e32 v15, s4, v22
	v_add_nc_u32_e32 v16, s4, v23
	v_mul_lo_u32 v32, s30, v9
	v_mul_lo_u32 v34, s30, v14
	v_add_nc_u32_e32 v33, s7, v18
	v_mul_lo_u32 v35, s30, v15
	v_mul_lo_u32 v36, s30, v16
	v_add_co_u32 v12, vcc_lo, s18, v12
	v_add_co_ci_u32_e32 v13, vcc_lo, s19, v13, vcc_lo
	v_add_nc_u32_e32 v37, s7, v21
	v_add_nc_u32_e32 v38, s7, v22
	;; [unrolled: 1-line block ×3, first 2 shown]
	s_mov_b32 s7, s46
.LBB42_30:                              ;   Parent Loop BB42_15 Depth=1
                                        ;     Parent Loop BB42_25 Depth=2
                                        ; =>    This Loop Header: Depth=3
                                        ;         Child Loop BB42_42 Depth 4
                                        ;         Child Loop BB42_47 Depth 4
                                        ;         Child Loop BB42_52 Depth 4
                                        ;         Child Loop BB42_57 Depth 4
                                        ;         Child Loop BB42_62 Depth 4
                                        ;         Child Loop BB42_67 Depth 4
                                        ;         Child Loop BB42_72 Depth 4
                                        ;         Child Loop BB42_77 Depth 4
	s_ashr_i32 s47, s46, 31
	s_mov_b32 s62, -1
	s_lshl_b64 s[60:61], s[46:47], 2
                                        ; implicit-def: $sgpr47
	s_delay_alu instid0(SALU_CYCLE_1) | instskip(SKIP_4) | instid1(SALU_CYCLE_1)
	s_add_u32 s60, s22, s60
	s_addc_u32 s61, s23, s61
	s_load_b32 s4, s[60:61], 0x0
                                        ; implicit-def: $sgpr60
	s_waitcnt lgkmcnt(0)
	s_sub_i32 s61, s4, s25
	s_cmp_lt_i32 s61, s42
	s_cselect_b32 s4, -1, 0
	s_cmp_ge_i32 s61, s58
	s_cselect_b32 s63, -1, 0
	s_delay_alu instid0(SALU_CYCLE_1) | instskip(NEXT) | instid1(SALU_CYCLE_1)
	s_or_b32 s4, s4, s63
	s_and_b32 vcc_lo, exec_lo, s4
                                        ; implicit-def: $sgpr4
	s_cbranch_vccz .LBB42_34
; %bb.31:                               ;   in Loop: Header=BB42_30 Depth=3
	s_mov_b32 s60, -1
	s_and_not1_b32 vcc_lo, exec_lo, s63
	s_mov_b32 s4, s7
	s_mov_b32 s47, s59
	s_cbranch_vccnz .LBB42_33
; %bb.32:                               ;   in Loop: Header=BB42_30 Depth=3
	s_min_i32 s47, s61, s59
	s_mov_b32 s60, 0
	s_mov_b32 s4, s46
.LBB42_33:                              ;   in Loop: Header=BB42_30 Depth=3
	s_mov_b32 s62, 0
.LBB42_34:                              ;   in Loop: Header=BB42_30 Depth=3
	s_delay_alu instid0(SALU_CYCLE_1)
	s_and_not1_b32 vcc_lo, exec_lo, s62
	s_cbranch_vccnz .LBB42_80
; %bb.35:                               ;   in Loop: Header=BB42_30 Depth=3
	s_sub_i32 s4, s61, s42
	s_delay_alu instid0(SALU_CYCLE_1)
	v_mov_b32_e32 v9, s4
	v_lshl_or_b32 v40, s4, 10, v20
	ds_store_b8 v9, v30 offset:16384
	s_and_saveexec_b32 s4, s51
	s_cbranch_execnz .LBB42_39
; %bb.36:                               ;   in Loop: Header=BB42_30 Depth=3
	s_or_b32 exec_lo, exec_lo, s4
	s_and_saveexec_b32 s4, s52
	s_cbranch_execnz .LBB42_49
.LBB42_37:                              ;   in Loop: Header=BB42_30 Depth=3
	s_or_b32 exec_lo, exec_lo, s4
	s_and_saveexec_b32 s4, s53
	s_cbranch_execnz .LBB42_59
.LBB42_38:                              ;   in Loop: Header=BB42_30 Depth=3
	s_or_b32 exec_lo, exec_lo, s4
	s_and_saveexec_b32 s47, s54
	s_cbranch_execnz .LBB42_69
	s_branch .LBB42_79
.LBB42_39:                              ;   in Loop: Header=BB42_30 Depth=3
	s_and_not1_b32 vcc_lo, exec_lo, s28
	s_cbranch_vccnz .LBB42_44
; %bb.40:                               ;   in Loop: Header=BB42_30 Depth=3
	v_mov_b32_e32 v14, 0
	v_mov_b32_e32 v15, 0
	s_and_not1_b32 vcc_lo, exec_lo, s50
	s_cbranch_vccnz .LBB42_43
; %bb.41:                               ;   in Loop: Header=BB42_30 Depth=3
	v_mov_b32_e32 v16, v31
	s_mov_b32 s47, 0
	.p2align	6
.LBB42_42:                              ;   Parent Loop BB42_15 Depth=1
                                        ;     Parent Loop BB42_25 Depth=2
                                        ;       Parent Loop BB42_30 Depth=3
                                        ; =>      This Inner Loop Header: Depth=4
	s_delay_alu instid0(VALU_DEP_1) | instskip(SKIP_2) | instid1(SALU_CYCLE_1)
	v_ashrrev_i32_e32 v17, 31, v16
	v_add_nc_u32_e32 v9, s47, v32
	s_add_i32 s47, s47, 1
	s_cmp_lg_u32 s30, s47
	s_delay_alu instid0(VALU_DEP_2) | instskip(NEXT) | instid1(VALU_DEP_2)
	v_lshlrev_b64 v[41:42], 3, v[16:17]
	v_lshlrev_b64 v[43:44], 3, v[9:10]
	v_add_nc_u32_e32 v16, s30, v16
	s_delay_alu instid0(VALU_DEP_3) | instskip(NEXT) | instid1(VALU_DEP_4)
	v_add_co_u32 v41, vcc_lo, s18, v41
	v_add_co_ci_u32_e32 v42, vcc_lo, s19, v42, vcc_lo
	s_delay_alu instid0(VALU_DEP_4)
	v_add_co_u32 v43, vcc_lo, s40, v43
	v_add_co_ci_u32_e32 v44, vcc_lo, s41, v44, vcc_lo
	global_load_b64 v[41:42], v[41:42], off
	global_load_b64 v[43:44], v[43:44], off
	s_waitcnt vmcnt(0)
	v_fma_f64 v[14:15], v[41:42], v[43:44], v[14:15]
	s_cbranch_scc1 .LBB42_42
.LBB42_43:                              ;   in Loop: Header=BB42_30 Depth=3
	s_cbranch_execz .LBB42_45
	s_branch .LBB42_48
.LBB42_44:                              ;   in Loop: Header=BB42_30 Depth=3
                                        ; implicit-def: $vgpr14_vgpr15
.LBB42_45:                              ;   in Loop: Header=BB42_30 Depth=3
	v_mov_b32_e32 v14, 0
	v_mov_b32_e32 v15, 0
	s_and_not1_b32 vcc_lo, exec_lo, s50
	s_cbranch_vccnz .LBB42_48
; %bb.46:                               ;   in Loop: Header=BB42_30 Depth=3
	v_dual_mov_b32 v17, v13 :: v_dual_mov_b32 v16, v12
	v_mov_b32_e32 v9, v33
	s_mov_b32 s47, s30
	.p2align	6
.LBB42_47:                              ;   Parent Loop BB42_15 Depth=1
                                        ;     Parent Loop BB42_25 Depth=2
                                        ;       Parent Loop BB42_30 Depth=3
                                        ; =>      This Inner Loop Header: Depth=4
	s_delay_alu instid0(VALU_DEP_1) | instskip(SKIP_2) | instid1(SALU_CYCLE_1)
	v_lshlrev_b64 v[41:42], 3, v[9:10]
	v_add_nc_u32_e32 v9, s30, v9
	s_add_i32 s47, s47, -1
	s_cmp_eq_u32 s47, 0
	s_delay_alu instid0(VALU_DEP_2) | instskip(NEXT) | instid1(VALU_DEP_3)
	v_add_co_u32 v41, vcc_lo, s40, v41
	v_add_co_ci_u32_e32 v42, vcc_lo, s41, v42, vcc_lo
	global_load_b64 v[43:44], v[16:17], off
	global_load_b64 v[41:42], v[41:42], off
	v_add_co_u32 v16, vcc_lo, v16, 8
	v_add_co_ci_u32_e32 v17, vcc_lo, 0, v17, vcc_lo
	s_waitcnt vmcnt(0)
	v_fma_f64 v[14:15], v[43:44], v[41:42], v[14:15]
	s_cbranch_scc0 .LBB42_47
.LBB42_48:                              ;   in Loop: Header=BB42_30 Depth=3
	v_or_b32_e32 v9, v40, v18
	s_delay_alu instid0(VALU_DEP_1)
	v_lshlrev_b32_e32 v9, 3, v9
	ds_load_b64 v[16:17], v9
	s_waitcnt lgkmcnt(0)
	v_fma_f64 v[14:15], v[1:2], v[14:15], v[16:17]
	ds_store_b64 v9, v[14:15]
	s_or_b32 exec_lo, exec_lo, s4
	s_and_saveexec_b32 s4, s52
	s_cbranch_execz .LBB42_37
.LBB42_49:                              ;   in Loop: Header=BB42_30 Depth=3
	s_and_not1_b32 vcc_lo, exec_lo, s28
	s_cbranch_vccnz .LBB42_54
; %bb.50:                               ;   in Loop: Header=BB42_30 Depth=3
	v_mov_b32_e32 v14, 0
	v_mov_b32_e32 v15, 0
	s_and_not1_b32 vcc_lo, exec_lo, s50
	s_cbranch_vccnz .LBB42_53
; %bb.51:                               ;   in Loop: Header=BB42_30 Depth=3
	v_mov_b32_e32 v16, v31
	s_mov_b32 s47, 0
	.p2align	6
.LBB42_52:                              ;   Parent Loop BB42_15 Depth=1
                                        ;     Parent Loop BB42_25 Depth=2
                                        ;       Parent Loop BB42_30 Depth=3
                                        ; =>      This Inner Loop Header: Depth=4
	s_delay_alu instid0(VALU_DEP_1) | instskip(SKIP_2) | instid1(SALU_CYCLE_1)
	v_ashrrev_i32_e32 v17, 31, v16
	v_add_nc_u32_e32 v9, s47, v34
	s_add_i32 s47, s47, 1
	s_cmp_eq_u32 s30, s47
	s_delay_alu instid0(VALU_DEP_2) | instskip(NEXT) | instid1(VALU_DEP_2)
	v_lshlrev_b64 v[41:42], 3, v[16:17]
	v_lshlrev_b64 v[43:44], 3, v[9:10]
	v_add_nc_u32_e32 v16, s30, v16
	s_delay_alu instid0(VALU_DEP_3) | instskip(NEXT) | instid1(VALU_DEP_4)
	v_add_co_u32 v41, vcc_lo, s18, v41
	v_add_co_ci_u32_e32 v42, vcc_lo, s19, v42, vcc_lo
	s_delay_alu instid0(VALU_DEP_4)
	v_add_co_u32 v43, vcc_lo, s40, v43
	v_add_co_ci_u32_e32 v44, vcc_lo, s41, v44, vcc_lo
	global_load_b64 v[41:42], v[41:42], off
	global_load_b64 v[43:44], v[43:44], off
	s_waitcnt vmcnt(0)
	v_fma_f64 v[14:15], v[41:42], v[43:44], v[14:15]
	s_cbranch_scc0 .LBB42_52
.LBB42_53:                              ;   in Loop: Header=BB42_30 Depth=3
	s_cbranch_execz .LBB42_55
	s_branch .LBB42_58
.LBB42_54:                              ;   in Loop: Header=BB42_30 Depth=3
                                        ; implicit-def: $vgpr14_vgpr15
.LBB42_55:                              ;   in Loop: Header=BB42_30 Depth=3
	v_mov_b32_e32 v14, 0
	v_mov_b32_e32 v15, 0
	s_and_not1_b32 vcc_lo, exec_lo, s50
	s_cbranch_vccnz .LBB42_58
; %bb.56:                               ;   in Loop: Header=BB42_30 Depth=3
	v_dual_mov_b32 v17, v13 :: v_dual_mov_b32 v16, v12
	v_mov_b32_e32 v9, v37
	s_mov_b32 s47, s30
	.p2align	6
.LBB42_57:                              ;   Parent Loop BB42_15 Depth=1
                                        ;     Parent Loop BB42_25 Depth=2
                                        ;       Parent Loop BB42_30 Depth=3
                                        ; =>      This Inner Loop Header: Depth=4
	s_delay_alu instid0(VALU_DEP_1) | instskip(SKIP_2) | instid1(SALU_CYCLE_1)
	v_lshlrev_b64 v[41:42], 3, v[9:10]
	v_add_nc_u32_e32 v9, s30, v9
	s_add_i32 s47, s47, -1
	s_cmp_eq_u32 s47, 0
	s_delay_alu instid0(VALU_DEP_2) | instskip(NEXT) | instid1(VALU_DEP_3)
	v_add_co_u32 v41, vcc_lo, s40, v41
	v_add_co_ci_u32_e32 v42, vcc_lo, s41, v42, vcc_lo
	global_load_b64 v[43:44], v[16:17], off
	global_load_b64 v[41:42], v[41:42], off
	v_add_co_u32 v16, vcc_lo, v16, 8
	v_add_co_ci_u32_e32 v17, vcc_lo, 0, v17, vcc_lo
	s_waitcnt vmcnt(0)
	v_fma_f64 v[14:15], v[43:44], v[41:42], v[14:15]
	s_cbranch_scc0 .LBB42_57
.LBB42_58:                              ;   in Loop: Header=BB42_30 Depth=3
	v_add_lshl_u32 v9, v40, v18, 3
	ds_load_b64 v[16:17], v9 offset:64
	s_waitcnt lgkmcnt(0)
	v_fma_f64 v[14:15], v[1:2], v[14:15], v[16:17]
	ds_store_b64 v9, v[14:15] offset:64
	s_or_b32 exec_lo, exec_lo, s4
	s_and_saveexec_b32 s4, s53
	s_cbranch_execz .LBB42_38
.LBB42_59:                              ;   in Loop: Header=BB42_30 Depth=3
	s_and_not1_b32 vcc_lo, exec_lo, s28
	s_cbranch_vccnz .LBB42_64
; %bb.60:                               ;   in Loop: Header=BB42_30 Depth=3
	v_mov_b32_e32 v14, 0
	v_mov_b32_e32 v15, 0
	s_and_not1_b32 vcc_lo, exec_lo, s50
	s_cbranch_vccnz .LBB42_63
; %bb.61:                               ;   in Loop: Header=BB42_30 Depth=3
	v_mov_b32_e32 v16, v31
	s_mov_b32 s47, 0
	.p2align	6
.LBB42_62:                              ;   Parent Loop BB42_15 Depth=1
                                        ;     Parent Loop BB42_25 Depth=2
                                        ;       Parent Loop BB42_30 Depth=3
                                        ; =>      This Inner Loop Header: Depth=4
	s_delay_alu instid0(VALU_DEP_1) | instskip(SKIP_2) | instid1(SALU_CYCLE_1)
	v_ashrrev_i32_e32 v17, 31, v16
	v_add_nc_u32_e32 v9, s47, v35
	s_add_i32 s47, s47, 1
	s_cmp_eq_u32 s30, s47
	s_delay_alu instid0(VALU_DEP_2) | instskip(NEXT) | instid1(VALU_DEP_2)
	v_lshlrev_b64 v[41:42], 3, v[16:17]
	v_lshlrev_b64 v[43:44], 3, v[9:10]
	v_add_nc_u32_e32 v16, s30, v16
	s_delay_alu instid0(VALU_DEP_3) | instskip(NEXT) | instid1(VALU_DEP_4)
	v_add_co_u32 v41, vcc_lo, s18, v41
	v_add_co_ci_u32_e32 v42, vcc_lo, s19, v42, vcc_lo
	s_delay_alu instid0(VALU_DEP_4)
	v_add_co_u32 v43, vcc_lo, s40, v43
	v_add_co_ci_u32_e32 v44, vcc_lo, s41, v44, vcc_lo
	global_load_b64 v[41:42], v[41:42], off
	global_load_b64 v[43:44], v[43:44], off
	s_waitcnt vmcnt(0)
	v_fma_f64 v[14:15], v[41:42], v[43:44], v[14:15]
	s_cbranch_scc0 .LBB42_62
.LBB42_63:                              ;   in Loop: Header=BB42_30 Depth=3
	s_cbranch_execz .LBB42_65
	s_branch .LBB42_68
.LBB42_64:                              ;   in Loop: Header=BB42_30 Depth=3
                                        ; implicit-def: $vgpr14_vgpr15
.LBB42_65:                              ;   in Loop: Header=BB42_30 Depth=3
	v_mov_b32_e32 v14, 0
	v_mov_b32_e32 v15, 0
	s_and_not1_b32 vcc_lo, exec_lo, s50
	s_cbranch_vccnz .LBB42_68
; %bb.66:                               ;   in Loop: Header=BB42_30 Depth=3
	v_dual_mov_b32 v17, v13 :: v_dual_mov_b32 v16, v12
	v_mov_b32_e32 v9, v38
	s_mov_b32 s47, s30
	.p2align	6
.LBB42_67:                              ;   Parent Loop BB42_15 Depth=1
                                        ;     Parent Loop BB42_25 Depth=2
                                        ;       Parent Loop BB42_30 Depth=3
                                        ; =>      This Inner Loop Header: Depth=4
	s_delay_alu instid0(VALU_DEP_1) | instskip(SKIP_2) | instid1(SALU_CYCLE_1)
	v_lshlrev_b64 v[41:42], 3, v[9:10]
	v_add_nc_u32_e32 v9, s30, v9
	s_add_i32 s47, s47, -1
	s_cmp_eq_u32 s47, 0
	s_delay_alu instid0(VALU_DEP_2) | instskip(NEXT) | instid1(VALU_DEP_3)
	v_add_co_u32 v41, vcc_lo, s40, v41
	v_add_co_ci_u32_e32 v42, vcc_lo, s41, v42, vcc_lo
	global_load_b64 v[43:44], v[16:17], off
	global_load_b64 v[41:42], v[41:42], off
	v_add_co_u32 v16, vcc_lo, v16, 8
	v_add_co_ci_u32_e32 v17, vcc_lo, 0, v17, vcc_lo
	s_waitcnt vmcnt(0)
	v_fma_f64 v[14:15], v[43:44], v[41:42], v[14:15]
	s_cbranch_scc0 .LBB42_67
.LBB42_68:                              ;   in Loop: Header=BB42_30 Depth=3
	v_add_lshl_u32 v9, v40, v18, 3
	ds_load_b64 v[16:17], v9 offset:128
	s_waitcnt lgkmcnt(0)
	v_fma_f64 v[14:15], v[1:2], v[14:15], v[16:17]
	ds_store_b64 v9, v[14:15] offset:128
	s_or_b32 exec_lo, exec_lo, s4
	s_and_saveexec_b32 s47, s54
	s_cbranch_execz .LBB42_79
.LBB42_69:                              ;   in Loop: Header=BB42_30 Depth=3
	v_cmp_ne_u32_e64 s4, 1, v29
	s_and_not1_b32 vcc_lo, exec_lo, s28
	s_cbranch_vccnz .LBB42_74
; %bb.70:                               ;   in Loop: Header=BB42_30 Depth=3
	v_mov_b32_e32 v14, 0
	v_mov_b32_e32 v15, 0
	s_and_b32 vcc_lo, exec_lo, s4
	s_cbranch_vccnz .LBB42_73
; %bb.71:                               ;   in Loop: Header=BB42_30 Depth=3
	v_mov_b32_e32 v16, v31
	s_mov_b32 s4, 0
	.p2align	6
.LBB42_72:                              ;   Parent Loop BB42_15 Depth=1
                                        ;     Parent Loop BB42_25 Depth=2
                                        ;       Parent Loop BB42_30 Depth=3
                                        ; =>      This Inner Loop Header: Depth=4
	s_delay_alu instid0(VALU_DEP_1) | instskip(SKIP_2) | instid1(SALU_CYCLE_1)
	v_ashrrev_i32_e32 v17, 31, v16
	v_add_nc_u32_e32 v9, s4, v36
	s_add_i32 s4, s4, 1
	s_cmp_eq_u32 s30, s4
	s_delay_alu instid0(VALU_DEP_2) | instskip(NEXT) | instid1(VALU_DEP_2)
	v_lshlrev_b64 v[41:42], 3, v[16:17]
	v_lshlrev_b64 v[43:44], 3, v[9:10]
	v_add_nc_u32_e32 v16, s30, v16
	s_delay_alu instid0(VALU_DEP_3) | instskip(NEXT) | instid1(VALU_DEP_4)
	v_add_co_u32 v41, vcc_lo, s18, v41
	v_add_co_ci_u32_e32 v42, vcc_lo, s19, v42, vcc_lo
	s_delay_alu instid0(VALU_DEP_4)
	v_add_co_u32 v43, vcc_lo, s40, v43
	v_add_co_ci_u32_e32 v44, vcc_lo, s41, v44, vcc_lo
	global_load_b64 v[41:42], v[41:42], off
	global_load_b64 v[43:44], v[43:44], off
	s_waitcnt vmcnt(0)
	v_fma_f64 v[14:15], v[41:42], v[43:44], v[14:15]
	s_cbranch_scc0 .LBB42_72
.LBB42_73:                              ;   in Loop: Header=BB42_30 Depth=3
	s_cbranch_execz .LBB42_75
	s_branch .LBB42_78
.LBB42_74:                              ;   in Loop: Header=BB42_30 Depth=3
                                        ; implicit-def: $vgpr14_vgpr15
.LBB42_75:                              ;   in Loop: Header=BB42_30 Depth=3
	v_mov_b32_e32 v14, 0
	v_mov_b32_e32 v15, 0
	s_and_not1_b32 vcc_lo, exec_lo, s50
	s_cbranch_vccnz .LBB42_78
; %bb.76:                               ;   in Loop: Header=BB42_30 Depth=3
	v_dual_mov_b32 v17, v13 :: v_dual_mov_b32 v16, v12
	v_mov_b32_e32 v9, v39
	s_mov_b32 s4, s30
	.p2align	6
.LBB42_77:                              ;   Parent Loop BB42_15 Depth=1
                                        ;     Parent Loop BB42_25 Depth=2
                                        ;       Parent Loop BB42_30 Depth=3
                                        ; =>      This Inner Loop Header: Depth=4
	s_delay_alu instid0(VALU_DEP_1) | instskip(SKIP_2) | instid1(SALU_CYCLE_1)
	v_lshlrev_b64 v[41:42], 3, v[9:10]
	v_add_nc_u32_e32 v9, s30, v9
	s_add_i32 s4, s4, -1
	s_cmp_eq_u32 s4, 0
	s_delay_alu instid0(VALU_DEP_2) | instskip(NEXT) | instid1(VALU_DEP_3)
	v_add_co_u32 v41, vcc_lo, s40, v41
	v_add_co_ci_u32_e32 v42, vcc_lo, s41, v42, vcc_lo
	global_load_b64 v[43:44], v[16:17], off
	global_load_b64 v[41:42], v[41:42], off
	v_add_co_u32 v16, vcc_lo, v16, 8
	v_add_co_ci_u32_e32 v17, vcc_lo, 0, v17, vcc_lo
	s_waitcnt vmcnt(0)
	v_fma_f64 v[14:15], v[43:44], v[41:42], v[14:15]
	s_cbranch_scc0 .LBB42_77
.LBB42_78:                              ;   in Loop: Header=BB42_30 Depth=3
	v_add_lshl_u32 v9, v40, v18, 3
	ds_load_b64 v[16:17], v9 offset:192
	s_waitcnt lgkmcnt(0)
	v_fma_f64 v[14:15], v[1:2], v[14:15], v[16:17]
	ds_store_b64 v9, v[14:15] offset:192
.LBB42_79:                              ;   in Loop: Header=BB42_30 Depth=3
	s_or_b32 exec_lo, exec_lo, s47
	s_mov_b32 s60, -1
	s_mov_b32 s4, s7
	s_mov_b32 s47, s59
	s_waitcnt lgkmcnt(0)
	s_waitcnt_vscnt null, 0x0
	s_barrier
	buffer_gl0_inv
.LBB42_80:                              ;   in Loop: Header=BB42_30 Depth=3
	s_add_i32 s46, s46, 1
	v_add_nc_u32_e32 v32, s31, v32
	s_cmp_lt_i32 s46, s5
	v_add_nc_u32_e32 v33, s31, v33
	s_cselect_b32 s7, -1, 0
	v_add_nc_u32_e32 v34, s31, v34
	v_add_nc_u32_e32 v37, s31, v37
	;; [unrolled: 1-line block ×6, first 2 shown]
	s_and_b32 s7, s60, s7
	s_delay_alu instid0(SALU_CYCLE_1)
	s_and_b32 vcc_lo, exec_lo, s7
	s_cbranch_vccz .LBB42_83
; %bb.81:                               ;   in Loop: Header=BB42_30 Depth=3
	s_mov_b32 s7, s4
	s_mov_b32 s59, s47
	s_branch .LBB42_30
.LBB42_82:                              ;   in Loop: Header=BB42_25 Depth=2
	s_mov_b32 s4, s46
	s_mov_b32 s47, s59
.LBB42_83:                              ;   in Loop: Header=BB42_25 Depth=2
	s_add_u32 s44, s34, s44
	v_mov_b32_e32 v9, s4
	v_add_nc_u32_e32 v31, s31, v31
	v_add_nc_u32_e32 v11, s31, v11
	s_addc_u32 s45, s35, s45
	s_add_i32 s6, s6, 1
	global_store_b32 v10, v9, s[44:45]
	s_cmp_lt_i32 s6, s48
	s_cbranch_scc0 .LBB42_86
; %bb.84:                               ;   in Loop: Header=BB42_25 Depth=2
	s_mov_b32 s59, s47
	s_branch .LBB42_25
.LBB42_85:                              ;   in Loop: Header=BB42_25 Depth=2
                                        ; implicit-def: $sgpr46
	s_branch .LBB42_27
.LBB42_86:                              ;   in Loop: Header=BB42_15 Depth=1
	s_and_not1_b32 vcc_lo, exec_lo, s33
	s_cbranch_vccnz .LBB42_118
; %bb.87:                               ;   in Loop: Header=BB42_15 Depth=1
	s_load_b64 s[6:7], s[8:9], 0x0
	s_waitcnt lgkmcnt(0)
	s_cmp_ge_i32 s6, s7
	s_cbranch_scc1 .LBB42_118
; %bb.88:                               ;   in Loop: Header=BB42_15 Depth=1
	s_sub_i32 s4, s6, s27
	s_sub_i32 s15, s7, s27
	s_mul_i32 s5, s30, s4
	v_mov_b32_e32 v15, v5
	v_add_nc_u32_e32 v9, s5, v18
	v_add_nc_u32_e32 v12, s5, v21
	v_add_nc_u32_e32 v13, s5, v22
	v_add_nc_u32_e32 v14, s5, v23
	s_ashr_i32 s5, s4, 31
	v_mul_lo_u32 v11, s30, v9
	v_mul_lo_u32 v12, s30, v12
	;; [unrolled: 1-line block ×4, first 2 shown]
	s_lshl_b64 s[44:45], s[4:5], 2
	s_add_i32 s5, s57, s6
	s_add_u32 s6, s10, s44
	s_addc_u32 s7, s11, s45
	s_branch .LBB42_92
.LBB42_89:                              ;   in Loop: Header=BB42_92 Depth=2
	s_delay_alu instid0(VALU_DEP_1)
	v_lshlrev_b64 v[31:32], 3, v[9:10]
	v_add_lshl_u32 v9, v16, v18, 3
	ds_load_b64 v[16:17], v9 offset:192
	v_add_co_u32 v31, vcc_lo, s12, v31
	v_add_co_ci_u32_e32 v32, vcc_lo, s13, v32, vcc_lo
	global_load_b64 v[31:32], v[31:32], off
	s_waitcnt vmcnt(0) lgkmcnt(0)
	v_fma_f64 v[16:17], v[3:4], v[31:32], v[16:17]
	ds_store_b64 v9, v[16:17] offset:192
.LBB42_90:                              ;   in Loop: Header=BB42_92 Depth=2
	s_or_b32 exec_lo, exec_lo, s44
	s_mov_b32 s45, -1
	s_mov_b32 s44, s47
	s_waitcnt lgkmcnt(0)
	s_waitcnt_vscnt null, 0x0
	s_barrier
	buffer_gl0_inv
.LBB42_91:                              ;   in Loop: Header=BB42_92 Depth=2
	s_add_i32 s4, s4, 1
	s_cmp_lt_i32 s5, s15
	v_add_nc_u32_e32 v15, s31, v15
	s_cselect_b32 s46, -1, 0
	s_add_i32 s5, s5, 1
	s_and_b32 s45, s45, s46
	s_add_u32 s6, s6, 4
	s_addc_u32 s7, s7, 0
	s_mov_b32 s47, s44
	s_and_b32 vcc_lo, exec_lo, s45
	s_cbranch_vccz .LBB42_118
.LBB42_92:                              ;   Parent Loop BB42_15 Depth=1
                                        ; =>  This Inner Loop Header: Depth=2
	s_load_b32 s44, s[6:7], 0x0
	s_waitcnt lgkmcnt(0)
	s_sub_i32 s46, s44, s27
	s_delay_alu instid0(SALU_CYCLE_1)
	s_cmp_lt_i32 s46, s42
	s_cselect_b32 s44, -1, 0
	s_cmp_lt_i32 s46, s58
	s_cselect_b32 s45, -1, 0
	s_cmp_ge_i32 s46, s58
	s_cselect_b32 s59, -1, 0
	s_delay_alu instid0(SALU_CYCLE_1)
	s_or_b32 s44, s44, s59
	s_mov_b32 s59, -1
	s_and_b32 vcc_lo, exec_lo, s44
                                        ; implicit-def: $sgpr44
	s_cbranch_vccz .LBB42_94
; %bb.93:                               ;   in Loop: Header=BB42_92 Depth=2
	s_min_i32 s44, s46, s47
	s_and_b32 s59, s45, exec_lo
	s_cselect_b32 s44, s47, s44
	s_mov_b32 s59, 0
.LBB42_94:                              ;   in Loop: Header=BB42_92 Depth=2
	s_delay_alu instid0(SALU_CYCLE_1)
	s_and_not1_b32 vcc_lo, exec_lo, s59
	s_cbranch_vccnz .LBB42_91
; %bb.95:                               ;   in Loop: Header=BB42_92 Depth=2
	v_mad_u64_u32 v[16:17], null, s4, s30, v[5:6]
	s_sub_i32 s44, s46, s42
	s_delay_alu instid0(SALU_CYCLE_1) | instskip(NEXT) | instid1(VALU_DEP_2)
	v_mov_b32_e32 v9, s44
	v_mul_lo_u32 v17, v16, s30
	v_lshl_or_b32 v16, s44, 10, v20
	ds_store_b8 v9, v30 offset:16384
	s_and_saveexec_b32 s44, s51
	s_cbranch_execnz .LBB42_99
; %bb.96:                               ;   in Loop: Header=BB42_92 Depth=2
	s_or_b32 exec_lo, exec_lo, s44
	s_and_saveexec_b32 s44, s52
	s_cbranch_execnz .LBB42_103
.LBB42_97:                              ;   in Loop: Header=BB42_92 Depth=2
	s_or_b32 exec_lo, exec_lo, s44
	s_and_saveexec_b32 s44, s53
	s_cbranch_execnz .LBB42_107
.LBB42_98:                              ;   in Loop: Header=BB42_92 Depth=2
	s_or_b32 exec_lo, exec_lo, s44
	s_and_saveexec_b32 s44, s54
	s_cbranch_execz .LBB42_90
	s_branch .LBB42_111
.LBB42_99:                              ;   in Loop: Header=BB42_92 Depth=2
	s_and_b32 vcc_lo, exec_lo, s28
	s_cbranch_vccz .LBB42_113
; %bb.100:                              ;   in Loop: Header=BB42_92 Depth=2
	v_add_nc_u32_e32 v9, v11, v15
	s_cbranch_execnz .LBB42_102
.LBB42_101:                             ;   in Loop: Header=BB42_92 Depth=2
	v_add_nc_u32_e32 v9, v17, v18
.LBB42_102:                             ;   in Loop: Header=BB42_92 Depth=2
	s_delay_alu instid0(VALU_DEP_1) | instskip(SKIP_1) | instid1(VALU_DEP_1)
	v_lshlrev_b64 v[31:32], 3, v[9:10]
	v_or_b32_e32 v9, v16, v18
	v_lshlrev_b32_e32 v9, 3, v9
	s_delay_alu instid0(VALU_DEP_3) | instskip(NEXT) | instid1(VALU_DEP_4)
	v_add_co_u32 v31, vcc_lo, s12, v31
	v_add_co_ci_u32_e32 v32, vcc_lo, s13, v32, vcc_lo
	ds_load_b64 v[33:34], v9
	global_load_b64 v[31:32], v[31:32], off
	s_waitcnt vmcnt(0) lgkmcnt(0)
	v_fma_f64 v[31:32], v[3:4], v[31:32], v[33:34]
	ds_store_b64 v9, v[31:32]
	s_or_b32 exec_lo, exec_lo, s44
	s_and_saveexec_b32 s44, s52
	s_cbranch_execz .LBB42_97
.LBB42_103:                             ;   in Loop: Header=BB42_92 Depth=2
	s_and_not1_b32 vcc_lo, exec_lo, s28
	s_cbranch_vccnz .LBB42_114
; %bb.104:                              ;   in Loop: Header=BB42_92 Depth=2
	v_add_nc_u32_e32 v9, v12, v15
	s_cbranch_execnz .LBB42_106
.LBB42_105:                             ;   in Loop: Header=BB42_92 Depth=2
	v_add_nc_u32_e32 v9, v17, v21
.LBB42_106:                             ;   in Loop: Header=BB42_92 Depth=2
	s_delay_alu instid0(VALU_DEP_1)
	v_lshlrev_b64 v[31:32], 3, v[9:10]
	v_add_lshl_u32 v9, v16, v18, 3
	ds_load_b64 v[33:34], v9 offset:64
	v_add_co_u32 v31, vcc_lo, s12, v31
	v_add_co_ci_u32_e32 v32, vcc_lo, s13, v32, vcc_lo
	global_load_b64 v[31:32], v[31:32], off
	s_waitcnt vmcnt(0) lgkmcnt(0)
	v_fma_f64 v[31:32], v[3:4], v[31:32], v[33:34]
	ds_store_b64 v9, v[31:32] offset:64
	s_or_b32 exec_lo, exec_lo, s44
	s_and_saveexec_b32 s44, s53
	s_cbranch_execz .LBB42_98
.LBB42_107:                             ;   in Loop: Header=BB42_92 Depth=2
	s_and_not1_b32 vcc_lo, exec_lo, s28
	s_cbranch_vccnz .LBB42_115
; %bb.108:                              ;   in Loop: Header=BB42_92 Depth=2
	v_add_nc_u32_e32 v9, v13, v15
	s_cbranch_execnz .LBB42_110
.LBB42_109:                             ;   in Loop: Header=BB42_92 Depth=2
	v_add_nc_u32_e32 v9, v17, v22
.LBB42_110:                             ;   in Loop: Header=BB42_92 Depth=2
	s_delay_alu instid0(VALU_DEP_1)
	v_lshlrev_b64 v[31:32], 3, v[9:10]
	v_add_lshl_u32 v9, v16, v18, 3
	ds_load_b64 v[33:34], v9 offset:128
	v_add_co_u32 v31, vcc_lo, s12, v31
	v_add_co_ci_u32_e32 v32, vcc_lo, s13, v32, vcc_lo
	global_load_b64 v[31:32], v[31:32], off
	s_waitcnt vmcnt(0) lgkmcnt(0)
	v_fma_f64 v[31:32], v[3:4], v[31:32], v[33:34]
	ds_store_b64 v9, v[31:32] offset:128
	s_or_b32 exec_lo, exec_lo, s44
	s_and_saveexec_b32 s44, s54
	s_cbranch_execz .LBB42_90
.LBB42_111:                             ;   in Loop: Header=BB42_92 Depth=2
	s_and_not1_b32 vcc_lo, exec_lo, s28
	s_cbranch_vccnz .LBB42_116
; %bb.112:                              ;   in Loop: Header=BB42_92 Depth=2
	v_add_nc_u32_e32 v9, v14, v15
	s_cbranch_execnz .LBB42_89
	s_branch .LBB42_117
.LBB42_113:                             ;   in Loop: Header=BB42_92 Depth=2
	s_branch .LBB42_101
.LBB42_114:                             ;   in Loop: Header=BB42_92 Depth=2
	s_branch .LBB42_105
.LBB42_115:                             ;   in Loop: Header=BB42_92 Depth=2
	s_branch .LBB42_109
.LBB42_116:                             ;   in Loop: Header=BB42_92 Depth=2
.LBB42_117:                             ;   in Loop: Header=BB42_92 Depth=2
	v_add_nc_u32_e32 v9, v17, v23
	s_branch .LBB42_89
.LBB42_118:                             ;   in Loop: Header=BB42_15 Depth=1
	s_waitcnt_vscnt null, 0x0
	s_barrier
	buffer_gl0_inv
	ds_load_u8 v9, v10 offset:16384
	s_add_i32 s5, s42, s26
	s_mov_b32 s4, 0
	s_waitcnt lgkmcnt(0)
	v_cmp_eq_u32_e32 vcc_lo, 0, v9
	s_cbranch_vccnz .LBB42_140
; %bb.119:                              ;   in Loop: Header=BB42_15 Depth=1
	s_mul_i32 s4, s14, s30
	s_ashr_i32 s15, s14, 31
	v_add_nc_u32_e32 v9, s4, v5
	s_lshl_b64 s[6:7], s[14:15], 2
	s_delay_alu instid0(SALU_CYCLE_1) | instskip(SKIP_1) | instid1(VALU_DEP_1)
	s_add_u32 s6, s36, s6
	s_addc_u32 s7, s37, s7
	v_mul_lo_u32 v11, v9, s30
	v_mov_b32_e32 v9, s5
	global_store_b32 v10, v9, s[6:7]
	s_and_saveexec_b32 s6, s51
	s_cbranch_execnz .LBB42_123
; %bb.120:                              ;   in Loop: Header=BB42_15 Depth=1
	s_or_b32 exec_lo, exec_lo, s6
	s_and_saveexec_b32 s6, s52
	s_cbranch_execnz .LBB42_127
.LBB42_121:                             ;   in Loop: Header=BB42_15 Depth=1
	s_or_b32 exec_lo, exec_lo, s6
	s_and_saveexec_b32 s6, s53
	s_cbranch_execnz .LBB42_131
.LBB42_122:                             ;   in Loop: Header=BB42_15 Depth=1
	s_or_b32 exec_lo, exec_lo, s6
	s_and_saveexec_b32 s6, s54
	s_cbranch_execnz .LBB42_135
	s_branch .LBB42_139
.LBB42_123:                             ;   in Loop: Header=BB42_15 Depth=1
	s_and_b32 vcc_lo, exec_lo, s28
	s_cbranch_vccz .LBB42_159
; %bb.124:                              ;   in Loop: Header=BB42_15 Depth=1
	v_add_nc_u32_e32 v9, s4, v18
	s_delay_alu instid0(VALU_DEP_1) | instskip(NEXT) | instid1(VALU_DEP_1)
	v_mad_u64_u32 v[12:13], null, v9, s30, v[5:6]
	v_mov_b32_e32 v9, v12
	s_cbranch_execnz .LBB42_126
.LBB42_125:                             ;   in Loop: Header=BB42_15 Depth=1
	v_add_nc_u32_e32 v9, v11, v18
.LBB42_126:                             ;   in Loop: Header=BB42_15 Depth=1
	ds_load_b64 v[12:13], v24
	v_lshlrev_b64 v[14:15], 3, v[9:10]
	s_delay_alu instid0(VALU_DEP_1) | instskip(NEXT) | instid1(VALU_DEP_2)
	v_add_co_u32 v14, vcc_lo, s38, v14
	v_add_co_ci_u32_e32 v15, vcc_lo, s39, v15, vcc_lo
	s_waitcnt lgkmcnt(0)
	global_store_b64 v[14:15], v[12:13], off
	s_or_b32 exec_lo, exec_lo, s6
	s_and_saveexec_b32 s6, s52
	s_cbranch_execz .LBB42_121
.LBB42_127:                             ;   in Loop: Header=BB42_15 Depth=1
	s_and_not1_b32 vcc_lo, exec_lo, s28
	s_cbranch_vccnz .LBB42_160
; %bb.128:                              ;   in Loop: Header=BB42_15 Depth=1
	v_add_nc_u32_e32 v9, s4, v21
	s_delay_alu instid0(VALU_DEP_1) | instskip(NEXT) | instid1(VALU_DEP_1)
	v_mad_u64_u32 v[12:13], null, v9, s30, v[5:6]
	v_mov_b32_e32 v9, v12
	s_cbranch_execnz .LBB42_130
.LBB42_129:                             ;   in Loop: Header=BB42_15 Depth=1
	v_add_nc_u32_e32 v9, v11, v21
.LBB42_130:                             ;   in Loop: Header=BB42_15 Depth=1
	ds_load_b64 v[12:13], v24 offset:64
	v_lshlrev_b64 v[14:15], 3, v[9:10]
	s_delay_alu instid0(VALU_DEP_1) | instskip(NEXT) | instid1(VALU_DEP_2)
	v_add_co_u32 v14, vcc_lo, s38, v14
	v_add_co_ci_u32_e32 v15, vcc_lo, s39, v15, vcc_lo
	s_waitcnt lgkmcnt(0)
	global_store_b64 v[14:15], v[12:13], off
	s_or_b32 exec_lo, exec_lo, s6
	s_and_saveexec_b32 s6, s53
	s_cbranch_execz .LBB42_122
.LBB42_131:                             ;   in Loop: Header=BB42_15 Depth=1
	s_and_not1_b32 vcc_lo, exec_lo, s28
	s_cbranch_vccnz .LBB42_161
; %bb.132:                              ;   in Loop: Header=BB42_15 Depth=1
	v_add_nc_u32_e32 v9, s4, v22
	s_delay_alu instid0(VALU_DEP_1) | instskip(NEXT) | instid1(VALU_DEP_1)
	v_mad_u64_u32 v[12:13], null, v9, s30, v[5:6]
	v_mov_b32_e32 v9, v12
	s_cbranch_execnz .LBB42_134
.LBB42_133:                             ;   in Loop: Header=BB42_15 Depth=1
	v_add_nc_u32_e32 v9, v11, v22
.LBB42_134:                             ;   in Loop: Header=BB42_15 Depth=1
	ds_load_b64 v[12:13], v24 offset:128
	v_lshlrev_b64 v[14:15], 3, v[9:10]
	s_delay_alu instid0(VALU_DEP_1) | instskip(NEXT) | instid1(VALU_DEP_2)
	v_add_co_u32 v14, vcc_lo, s38, v14
	v_add_co_ci_u32_e32 v15, vcc_lo, s39, v15, vcc_lo
	s_waitcnt lgkmcnt(0)
	global_store_b64 v[14:15], v[12:13], off
	s_or_b32 exec_lo, exec_lo, s6
	s_and_saveexec_b32 s6, s54
	s_cbranch_execz .LBB42_139
.LBB42_135:                             ;   in Loop: Header=BB42_15 Depth=1
	s_and_not1_b32 vcc_lo, exec_lo, s28
	s_cbranch_vccnz .LBB42_162
; %bb.136:                              ;   in Loop: Header=BB42_15 Depth=1
	v_add_nc_u32_e32 v9, s4, v23
	s_delay_alu instid0(VALU_DEP_1) | instskip(NEXT) | instid1(VALU_DEP_1)
	v_mad_u64_u32 v[12:13], null, v9, s30, v[5:6]
	v_mov_b32_e32 v9, v12
	s_cbranch_execnz .LBB42_138
.LBB42_137:                             ;   in Loop: Header=BB42_15 Depth=1
	v_add_nc_u32_e32 v9, v11, v23
.LBB42_138:                             ;   in Loop: Header=BB42_15 Depth=1
	ds_load_b64 v[11:12], v24 offset:192
	v_lshlrev_b64 v[13:14], 3, v[9:10]
	s_delay_alu instid0(VALU_DEP_1) | instskip(NEXT) | instid1(VALU_DEP_2)
	v_add_co_u32 v13, vcc_lo, s38, v13
	v_add_co_ci_u32_e32 v14, vcc_lo, s39, v14, vcc_lo
	s_waitcnt lgkmcnt(0)
	global_store_b64 v[13:14], v[11:12], off
.LBB42_139:                             ;   in Loop: Header=BB42_15 Depth=1
	s_or_b32 exec_lo, exec_lo, s6
	s_mov_b32 s4, 1
.LBB42_140:                             ;   in Loop: Header=BB42_15 Depth=1
	ds_load_u8 v9, v10 offset:16385
	s_waitcnt lgkmcnt(0)
	v_cmp_eq_u32_e32 vcc_lo, 0, v9
	s_cbranch_vccnz .LBB42_14
; %bb.141:                              ;   in Loop: Header=BB42_15 Depth=1
	s_add_i32 s44, s4, s14
	s_add_i32 s5, s5, 1
	s_mul_i32 s6, s44, s30
	s_ashr_i32 s45, s44, 31
	v_add_nc_u32_e32 v9, s6, v5
	s_lshl_b64 s[44:45], s[44:45], 2
	s_delay_alu instid0(SALU_CYCLE_1) | instskip(SKIP_1) | instid1(VALU_DEP_1)
	s_add_u32 s44, s36, s44
	s_addc_u32 s45, s37, s45
	v_mul_lo_u32 v11, v9, s30
	v_mov_b32_e32 v9, s5
	global_store_b32 v10, v9, s[44:45]
	s_and_saveexec_b32 s5, s51
	s_cbranch_execnz .LBB42_145
; %bb.142:                              ;   in Loop: Header=BB42_15 Depth=1
	s_or_b32 exec_lo, exec_lo, s5
	s_and_saveexec_b32 s5, s52
	s_cbranch_execnz .LBB42_149
.LBB42_143:                             ;   in Loop: Header=BB42_15 Depth=1
	s_or_b32 exec_lo, exec_lo, s5
	s_and_saveexec_b32 s5, s53
	s_cbranch_execnz .LBB42_153
.LBB42_144:                             ;   in Loop: Header=BB42_15 Depth=1
	s_or_b32 exec_lo, exec_lo, s5
	s_and_saveexec_b32 s5, s54
	s_cbranch_execz .LBB42_13
	s_branch .LBB42_157
.LBB42_145:                             ;   in Loop: Header=BB42_15 Depth=1
	s_and_not1_b32 vcc_lo, exec_lo, s28
	s_cbranch_vccnz .LBB42_163
; %bb.146:                              ;   in Loop: Header=BB42_15 Depth=1
	v_add_nc_u32_e32 v9, s6, v18
	s_delay_alu instid0(VALU_DEP_1) | instskip(NEXT) | instid1(VALU_DEP_1)
	v_mad_u64_u32 v[12:13], null, v9, s30, v[5:6]
	v_mov_b32_e32 v9, v12
	s_cbranch_execnz .LBB42_148
.LBB42_147:                             ;   in Loop: Header=BB42_15 Depth=1
	v_add_nc_u32_e32 v9, v11, v18
.LBB42_148:                             ;   in Loop: Header=BB42_15 Depth=1
	ds_load_b64 v[12:13], v24 offset:8192
	v_lshlrev_b64 v[14:15], 3, v[9:10]
	s_delay_alu instid0(VALU_DEP_1) | instskip(NEXT) | instid1(VALU_DEP_2)
	v_add_co_u32 v14, vcc_lo, s38, v14
	v_add_co_ci_u32_e32 v15, vcc_lo, s39, v15, vcc_lo
	s_waitcnt lgkmcnt(0)
	global_store_b64 v[14:15], v[12:13], off
	s_or_b32 exec_lo, exec_lo, s5
	s_and_saveexec_b32 s5, s52
	s_cbranch_execz .LBB42_143
.LBB42_149:                             ;   in Loop: Header=BB42_15 Depth=1
	s_and_not1_b32 vcc_lo, exec_lo, s28
	s_cbranch_vccnz .LBB42_164
; %bb.150:                              ;   in Loop: Header=BB42_15 Depth=1
	v_add_nc_u32_e32 v9, s6, v21
	s_delay_alu instid0(VALU_DEP_1) | instskip(NEXT) | instid1(VALU_DEP_1)
	v_mad_u64_u32 v[12:13], null, v9, s30, v[5:6]
	v_mov_b32_e32 v9, v12
	s_cbranch_execnz .LBB42_152
.LBB42_151:                             ;   in Loop: Header=BB42_15 Depth=1
	v_add_nc_u32_e32 v9, v11, v21
.LBB42_152:                             ;   in Loop: Header=BB42_15 Depth=1
	ds_load_b64 v[12:13], v25 offset:8192
	v_lshlrev_b64 v[14:15], 3, v[9:10]
	s_delay_alu instid0(VALU_DEP_1) | instskip(NEXT) | instid1(VALU_DEP_2)
	v_add_co_u32 v14, vcc_lo, s38, v14
	v_add_co_ci_u32_e32 v15, vcc_lo, s39, v15, vcc_lo
	s_waitcnt lgkmcnt(0)
	global_store_b64 v[14:15], v[12:13], off
	s_or_b32 exec_lo, exec_lo, s5
	s_and_saveexec_b32 s5, s53
	s_cbranch_execz .LBB42_144
.LBB42_153:                             ;   in Loop: Header=BB42_15 Depth=1
	s_and_not1_b32 vcc_lo, exec_lo, s28
	s_cbranch_vccnz .LBB42_165
; %bb.154:                              ;   in Loop: Header=BB42_15 Depth=1
	v_add_nc_u32_e32 v9, s6, v22
	s_delay_alu instid0(VALU_DEP_1) | instskip(NEXT) | instid1(VALU_DEP_1)
	v_mad_u64_u32 v[12:13], null, v9, s30, v[5:6]
	v_mov_b32_e32 v9, v12
	s_cbranch_execnz .LBB42_156
.LBB42_155:                             ;   in Loop: Header=BB42_15 Depth=1
	v_add_nc_u32_e32 v9, v11, v22
.LBB42_156:                             ;   in Loop: Header=BB42_15 Depth=1
	ds_load_b64 v[12:13], v26 offset:8192
	v_lshlrev_b64 v[14:15], 3, v[9:10]
	s_delay_alu instid0(VALU_DEP_1) | instskip(NEXT) | instid1(VALU_DEP_2)
	v_add_co_u32 v14, vcc_lo, s38, v14
	v_add_co_ci_u32_e32 v15, vcc_lo, s39, v15, vcc_lo
	s_waitcnt lgkmcnt(0)
	global_store_b64 v[14:15], v[12:13], off
	s_or_b32 exec_lo, exec_lo, s5
	s_and_saveexec_b32 s5, s54
	s_cbranch_execz .LBB42_13
.LBB42_157:                             ;   in Loop: Header=BB42_15 Depth=1
	s_and_not1_b32 vcc_lo, exec_lo, s28
	s_cbranch_vccnz .LBB42_166
; %bb.158:                              ;   in Loop: Header=BB42_15 Depth=1
	v_add_nc_u32_e32 v9, s6, v23
	s_delay_alu instid0(VALU_DEP_1) | instskip(NEXT) | instid1(VALU_DEP_1)
	v_mad_u64_u32 v[12:13], null, v9, s30, v[5:6]
	v_mov_b32_e32 v9, v12
	s_cbranch_execnz .LBB42_12
	s_branch .LBB42_167
.LBB42_159:                             ;   in Loop: Header=BB42_15 Depth=1
	s_branch .LBB42_125
.LBB42_160:                             ;   in Loop: Header=BB42_15 Depth=1
	s_branch .LBB42_129
.LBB42_161:                             ;   in Loop: Header=BB42_15 Depth=1
	s_branch .LBB42_133
.LBB42_162:                             ;   in Loop: Header=BB42_15 Depth=1
	s_branch .LBB42_137
.LBB42_163:                             ;   in Loop: Header=BB42_15 Depth=1
	s_branch .LBB42_147
.LBB42_164:                             ;   in Loop: Header=BB42_15 Depth=1
	s_branch .LBB42_151
.LBB42_165:                             ;   in Loop: Header=BB42_15 Depth=1
	s_branch .LBB42_155
.LBB42_166:                             ;   in Loop: Header=BB42_15 Depth=1
.LBB42_167:                             ;   in Loop: Header=BB42_15 Depth=1
	v_add_nc_u32_e32 v9, v11, v23
	s_branch .LBB42_12
.LBB42_168:
	s_endpgm
	.section	.rodata,"a",@progbits
	.p2align	6, 0x0
	.amdhsa_kernel _ZN9rocsparseL31bsrgemm_block_per_row_multipassILj256ELj2ELj32EiidEEv20rocsparse_direction_T3_S2_PKS2_S4_NS_24const_host_device_scalarIT4_EEPKT2_S4_PKS6_SA_S4_SC_S7_SA_S4_SC_SA_PS2_PS6_PS8_21rocsparse_index_base_SG_SG_SG_bbb
		.amdhsa_group_segment_fixed_size 16392
		.amdhsa_private_segment_fixed_size 0
		.amdhsa_kernarg_size 172
		.amdhsa_user_sgpr_count 15
		.amdhsa_user_sgpr_dispatch_ptr 0
		.amdhsa_user_sgpr_queue_ptr 0
		.amdhsa_user_sgpr_kernarg_segment_ptr 1
		.amdhsa_user_sgpr_dispatch_id 0
		.amdhsa_user_sgpr_private_segment_size 0
		.amdhsa_wavefront_size32 1
		.amdhsa_uses_dynamic_stack 0
		.amdhsa_enable_private_segment 0
		.amdhsa_system_sgpr_workgroup_id_x 1
		.amdhsa_system_sgpr_workgroup_id_y 0
		.amdhsa_system_sgpr_workgroup_id_z 0
		.amdhsa_system_sgpr_workgroup_info 0
		.amdhsa_system_vgpr_workitem_id 0
		.amdhsa_next_free_vgpr 45
		.amdhsa_next_free_sgpr 64
		.amdhsa_reserve_vcc 1
		.amdhsa_float_round_mode_32 0
		.amdhsa_float_round_mode_16_64 0
		.amdhsa_float_denorm_mode_32 3
		.amdhsa_float_denorm_mode_16_64 3
		.amdhsa_dx10_clamp 1
		.amdhsa_ieee_mode 1
		.amdhsa_fp16_overflow 0
		.amdhsa_workgroup_processor_mode 1
		.amdhsa_memory_ordered 1
		.amdhsa_forward_progress 0
		.amdhsa_shared_vgpr_count 0
		.amdhsa_exception_fp_ieee_invalid_op 0
		.amdhsa_exception_fp_denorm_src 0
		.amdhsa_exception_fp_ieee_div_zero 0
		.amdhsa_exception_fp_ieee_overflow 0
		.amdhsa_exception_fp_ieee_underflow 0
		.amdhsa_exception_fp_ieee_inexact 0
		.amdhsa_exception_int_div_zero 0
	.end_amdhsa_kernel
	.section	.text._ZN9rocsparseL31bsrgemm_block_per_row_multipassILj256ELj2ELj32EiidEEv20rocsparse_direction_T3_S2_PKS2_S4_NS_24const_host_device_scalarIT4_EEPKT2_S4_PKS6_SA_S4_SC_S7_SA_S4_SC_SA_PS2_PS6_PS8_21rocsparse_index_base_SG_SG_SG_bbb,"axG",@progbits,_ZN9rocsparseL31bsrgemm_block_per_row_multipassILj256ELj2ELj32EiidEEv20rocsparse_direction_T3_S2_PKS2_S4_NS_24const_host_device_scalarIT4_EEPKT2_S4_PKS6_SA_S4_SC_S7_SA_S4_SC_SA_PS2_PS6_PS8_21rocsparse_index_base_SG_SG_SG_bbb,comdat
.Lfunc_end42:
	.size	_ZN9rocsparseL31bsrgemm_block_per_row_multipassILj256ELj2ELj32EiidEEv20rocsparse_direction_T3_S2_PKS2_S4_NS_24const_host_device_scalarIT4_EEPKT2_S4_PKS6_SA_S4_SC_S7_SA_S4_SC_SA_PS2_PS6_PS8_21rocsparse_index_base_SG_SG_SG_bbb, .Lfunc_end42-_ZN9rocsparseL31bsrgemm_block_per_row_multipassILj256ELj2ELj32EiidEEv20rocsparse_direction_T3_S2_PKS2_S4_NS_24const_host_device_scalarIT4_EEPKT2_S4_PKS6_SA_S4_SC_S7_SA_S4_SC_SA_PS2_PS6_PS8_21rocsparse_index_base_SG_SG_SG_bbb
                                        ; -- End function
	.section	.AMDGPU.csdata,"",@progbits
; Kernel info:
; codeLenInByte = 4724
; NumSgprs: 66
; NumVgprs: 45
; ScratchSize: 0
; MemoryBound: 0
; FloatMode: 240
; IeeeMode: 1
; LDSByteSize: 16392 bytes/workgroup (compile time only)
; SGPRBlocks: 8
; VGPRBlocks: 5
; NumSGPRsForWavesPerEU: 66
; NumVGPRsForWavesPerEU: 45
; Occupancy: 14
; WaveLimiterHint : 1
; COMPUTE_PGM_RSRC2:SCRATCH_EN: 0
; COMPUTE_PGM_RSRC2:USER_SGPR: 15
; COMPUTE_PGM_RSRC2:TRAP_HANDLER: 0
; COMPUTE_PGM_RSRC2:TGID_X_EN: 1
; COMPUTE_PGM_RSRC2:TGID_Y_EN: 0
; COMPUTE_PGM_RSRC2:TGID_Z_EN: 0
; COMPUTE_PGM_RSRC2:TIDIG_COMP_CNT: 0
	.section	.text._ZN9rocsparseL26bsrgemm_group_reduce_part2ILj256ELj8ELj2E21rocsparse_complex_numIfEiiEEvT4_PKT3_PS3_Pi,"axG",@progbits,_ZN9rocsparseL26bsrgemm_group_reduce_part2ILj256ELj8ELj2E21rocsparse_complex_numIfEiiEEvT4_PKT3_PS3_Pi,comdat
	.globl	_ZN9rocsparseL26bsrgemm_group_reduce_part2ILj256ELj8ELj2E21rocsparse_complex_numIfEiiEEvT4_PKT3_PS3_Pi ; -- Begin function _ZN9rocsparseL26bsrgemm_group_reduce_part2ILj256ELj8ELj2E21rocsparse_complex_numIfEiiEEvT4_PKT3_PS3_Pi
	.p2align	8
	.type	_ZN9rocsparseL26bsrgemm_group_reduce_part2ILj256ELj8ELj2E21rocsparse_complex_numIfEiiEEvT4_PKT3_PS3_Pi,@function
_ZN9rocsparseL26bsrgemm_group_reduce_part2ILj256ELj8ELj2E21rocsparse_complex_numIfEiiEEvT4_PKT3_PS3_Pi: ; @_ZN9rocsparseL26bsrgemm_group_reduce_part2ILj256ELj8ELj2E21rocsparse_complex_numIfEiiEEvT4_PKT3_PS3_Pi
; %bb.0:
	s_clause 0x1
	s_load_b32 s10, s[0:1], 0x0
	s_load_b64 s[2:3], s[0:1], 0x10
	s_mov_b32 s4, 0
	v_lshl_or_b32 v1, s15, 8, v0
	s_mov_b32 s7, s4
	s_mov_b32 s5, s4
	;; [unrolled: 1-line block ×3, first 2 shown]
	v_dual_mov_b32 v8, s7 :: v_dual_mov_b32 v5, s4
	v_dual_mov_b32 v7, s6 :: v_dual_lshlrev_b32 v4, 5, v0
	v_mov_b32_e32 v6, s5
	s_mov_b32 s5, exec_lo
	ds_store_b128 v4, v[5:8]
	ds_store_b128 v4, v[5:8] offset:16
	s_waitcnt lgkmcnt(0)
	buffer_gl0_inv
	v_cmpx_gt_i32_e64 s10, v1
	s_cbranch_execz .LBB43_31
; %bb.1:
	s_clause 0x2
	s_load_b32 s11, s[0:1], 0x20
	s_load_b64 s[6:7], s[0:1], 0x8
	s_load_b64 s[8:9], s[0:1], 0x18
	v_dual_mov_b32 v5, 7 :: v_dual_mov_b32 v6, 6
	v_dual_mov_b32 v7, 5 :: v_dual_mov_b32 v8, 4
	v_dual_mov_b32 v9, 3 :: v_dual_mov_b32 v10, 2
	v_dual_mov_b32 v11, 1 :: v_dual_mov_b32 v12, 0
	s_waitcnt lgkmcnt(0)
	s_lshl_b32 s1, s11, 8
	s_branch .LBB43_3
.LBB43_2:                               ;   in Loop: Header=BB43_3 Depth=1
	s_or_b32 exec_lo, exec_lo, s0
	v_add_nc_u32_e32 v1, s1, v1
	s_delay_alu instid0(VALU_DEP_1) | instskip(SKIP_1) | instid1(SALU_CYCLE_1)
	v_cmp_le_i32_e32 vcc_lo, s10, v1
	s_or_b32 s4, vcc_lo, s4
	s_and_not1_b32 exec_lo, exec_lo, s4
	s_cbranch_execz .LBB43_31
.LBB43_3:                               ; =>This Inner Loop Header: Depth=1
	v_ashrrev_i32_e32 v2, 31, v1
	s_mov_b32 s0, exec_lo
	s_delay_alu instid0(VALU_DEP_1) | instskip(NEXT) | instid1(VALU_DEP_1)
	v_lshlrev_b64 v[2:3], 2, v[1:2]
	v_add_co_u32 v13, vcc_lo, s6, v2
	s_delay_alu instid0(VALU_DEP_2) | instskip(SKIP_3) | instid1(VALU_DEP_1)
	v_add_co_ci_u32_e32 v14, vcc_lo, s7, v3, vcc_lo
	global_load_b64 v[13:14], v[13:14], off
	s_waitcnt vmcnt(0)
	v_sub_nc_u32_e32 v13, v14, v13
	v_cmpx_lt_i32_e32 8, v13
	s_xor_b32 s11, exec_lo, s0
	s_cbranch_execz .LBB43_29
; %bb.4:                                ;   in Loop: Header=BB43_3 Depth=1
	s_mov_b32 s0, exec_lo
	v_cmpx_lt_u32_e32 16, v13
	s_xor_b32 s12, exec_lo, s0
	s_cbranch_execz .LBB43_26
; %bb.5:                                ;   in Loop: Header=BB43_3 Depth=1
	s_mov_b32 s0, exec_lo
	v_cmpx_lt_u32_e32 32, v13
	;; [unrolled: 5-line block ×5, first 2 shown]
	s_xor_b32 s17, exec_lo, s0
	s_cbranch_execz .LBB43_14
; %bb.9:                                ;   in Loop: Header=BB43_3 Depth=1
	v_add_co_u32 v2, s0, s8, v2
	s_delay_alu instid0(VALU_DEP_1)
	v_add_co_ci_u32_e64 v3, s0, s9, v3, s0
	s_mov_b32 s0, exec_lo
	v_cmpx_lt_u32_e32 0x200, v13
	s_xor_b32 s0, exec_lo, s0
	s_cbranch_execz .LBB43_11
; %bb.10:                               ;   in Loop: Header=BB43_3 Depth=1
	ds_load_b32 v13, v4 offset:28
	global_store_b32 v[2:3], v5, off
                                        ; implicit-def: $vgpr2_vgpr3
	s_waitcnt lgkmcnt(0)
	v_add_nc_u32_e32 v13, 1, v13
	ds_store_b32 v4, v13 offset:28
.LBB43_11:                              ;   in Loop: Header=BB43_3 Depth=1
	s_and_not1_saveexec_b32 s0, s0
	s_cbranch_execz .LBB43_13
; %bb.12:                               ;   in Loop: Header=BB43_3 Depth=1
	ds_load_b32 v13, v4 offset:24
	global_store_b32 v[2:3], v6, off
	s_waitcnt lgkmcnt(0)
	v_add_nc_u32_e32 v13, 1, v13
	ds_store_b32 v4, v13 offset:24
.LBB43_13:                              ;   in Loop: Header=BB43_3 Depth=1
	s_or_b32 exec_lo, exec_lo, s0
                                        ; implicit-def: $vgpr2_vgpr3
.LBB43_14:                              ;   in Loop: Header=BB43_3 Depth=1
	s_and_not1_saveexec_b32 s0, s17
	s_cbranch_execz .LBB43_16
; %bb.15:                               ;   in Loop: Header=BB43_3 Depth=1
	ds_load_b32 v13, v4 offset:20
	v_add_co_u32 v2, vcc_lo, s8, v2
	v_add_co_ci_u32_e32 v3, vcc_lo, s9, v3, vcc_lo
	global_store_b32 v[2:3], v7, off
	s_waitcnt lgkmcnt(0)
	v_add_nc_u32_e32 v13, 1, v13
	ds_store_b32 v4, v13 offset:20
.LBB43_16:                              ;   in Loop: Header=BB43_3 Depth=1
	s_or_b32 exec_lo, exec_lo, s0
                                        ; implicit-def: $vgpr2_vgpr3
.LBB43_17:                              ;   in Loop: Header=BB43_3 Depth=1
	s_and_not1_saveexec_b32 s0, s16
	s_cbranch_execz .LBB43_19
; %bb.18:                               ;   in Loop: Header=BB43_3 Depth=1
	ds_load_b32 v13, v4 offset:16
	v_add_co_u32 v2, vcc_lo, s8, v2
	v_add_co_ci_u32_e32 v3, vcc_lo, s9, v3, vcc_lo
	global_store_b32 v[2:3], v8, off
	s_waitcnt lgkmcnt(0)
	v_add_nc_u32_e32 v13, 1, v13
	ds_store_b32 v4, v13 offset:16
.LBB43_19:                              ;   in Loop: Header=BB43_3 Depth=1
	s_or_b32 exec_lo, exec_lo, s0
                                        ; implicit-def: $vgpr2_vgpr3
.LBB43_20:                              ;   in Loop: Header=BB43_3 Depth=1
	s_and_not1_saveexec_b32 s0, s14
	s_cbranch_execz .LBB43_22
; %bb.21:                               ;   in Loop: Header=BB43_3 Depth=1
	ds_load_b32 v13, v4 offset:12
	v_add_co_u32 v2, vcc_lo, s8, v2
	v_add_co_ci_u32_e32 v3, vcc_lo, s9, v3, vcc_lo
	global_store_b32 v[2:3], v9, off
	s_waitcnt lgkmcnt(0)
	v_add_nc_u32_e32 v13, 1, v13
	ds_store_b32 v4, v13 offset:12
.LBB43_22:                              ;   in Loop: Header=BB43_3 Depth=1
	s_or_b32 exec_lo, exec_lo, s0
                                        ; implicit-def: $vgpr2_vgpr3
.LBB43_23:                              ;   in Loop: Header=BB43_3 Depth=1
	s_and_not1_saveexec_b32 s0, s13
	s_cbranch_execz .LBB43_25
; %bb.24:                               ;   in Loop: Header=BB43_3 Depth=1
	ds_load_b32 v13, v4 offset:8
	v_add_co_u32 v2, vcc_lo, s8, v2
	v_add_co_ci_u32_e32 v3, vcc_lo, s9, v3, vcc_lo
	global_store_b32 v[2:3], v10, off
	s_waitcnt lgkmcnt(0)
	v_add_nc_u32_e32 v13, 1, v13
	ds_store_b32 v4, v13 offset:8
.LBB43_25:                              ;   in Loop: Header=BB43_3 Depth=1
	s_or_b32 exec_lo, exec_lo, s0
                                        ; implicit-def: $vgpr2_vgpr3
.LBB43_26:                              ;   in Loop: Header=BB43_3 Depth=1
	s_and_not1_saveexec_b32 s0, s12
	s_cbranch_execz .LBB43_28
; %bb.27:                               ;   in Loop: Header=BB43_3 Depth=1
	ds_load_b32 v13, v4 offset:4
	v_add_co_u32 v2, vcc_lo, s8, v2
	v_add_co_ci_u32_e32 v3, vcc_lo, s9, v3, vcc_lo
	global_store_b32 v[2:3], v11, off
	s_waitcnt lgkmcnt(0)
	v_add_nc_u32_e32 v13, 1, v13
	ds_store_b32 v4, v13 offset:4
.LBB43_28:                              ;   in Loop: Header=BB43_3 Depth=1
	s_or_b32 exec_lo, exec_lo, s0
                                        ; implicit-def: $vgpr2_vgpr3
.LBB43_29:                              ;   in Loop: Header=BB43_3 Depth=1
	s_and_not1_saveexec_b32 s0, s11
	s_cbranch_execz .LBB43_2
; %bb.30:                               ;   in Loop: Header=BB43_3 Depth=1
	ds_load_b32 v13, v4
	v_add_co_u32 v2, vcc_lo, s8, v2
	v_add_co_ci_u32_e32 v3, vcc_lo, s9, v3, vcc_lo
	global_store_b32 v[2:3], v12, off
	s_waitcnt lgkmcnt(0)
	v_add_nc_u32_e32 v13, 1, v13
	ds_store_b32 v4, v13
	s_branch .LBB43_2
.LBB43_31:
	s_or_b32 exec_lo, exec_lo, s5
	s_delay_alu instid0(SALU_CYCLE_1)
	s_mov_b32 s0, exec_lo
	s_waitcnt lgkmcnt(0)
	s_waitcnt_vscnt null, 0x0
	s_barrier
	buffer_gl0_inv
	s_barrier
	buffer_gl0_inv
	;; [unrolled: 2-line block ×3, first 2 shown]
	v_cmpx_gt_u32_e32 0x80, v0
	s_cbranch_execz .LBB43_33
; %bb.32:
	ds_load_b128 v[5:8], v4 offset:4096
	ds_load_b128 v[9:12], v4
	ds_load_b128 v[13:16], v4 offset:16
	ds_load_b128 v[17:20], v4 offset:4112
	s_waitcnt lgkmcnt(2)
	v_add_nc_u32_e32 v5, v9, v5
	v_add_nc_u32_e32 v6, v10, v6
	v_add_nc_u32_e32 v7, v11, v7
	v_add_nc_u32_e32 v8, v12, v8
	s_waitcnt lgkmcnt(0)
	v_add_nc_u32_e32 v9, v13, v17
	v_add_nc_u32_e32 v10, v14, v18
	v_add_nc_u32_e32 v11, v15, v19
	v_add_nc_u32_e32 v12, v16, v20
	ds_store_b128 v4, v[5:8]
	ds_store_b128 v4, v[9:12] offset:16
.LBB43_33:
	s_or_b32 exec_lo, exec_lo, s0
	s_delay_alu instid0(SALU_CYCLE_1)
	s_mov_b32 s0, exec_lo
	s_waitcnt lgkmcnt(0)
	s_barrier
	buffer_gl0_inv
	v_cmpx_gt_u32_e32 64, v0
	s_cbranch_execz .LBB43_35
; %bb.34:
	ds_load_b128 v[5:8], v4 offset:2048
	ds_load_b128 v[9:12], v4
	ds_load_b128 v[13:16], v4 offset:16
	ds_load_b128 v[17:20], v4 offset:2064
	s_waitcnt lgkmcnt(2)
	v_add_nc_u32_e32 v5, v9, v5
	v_add_nc_u32_e32 v6, v10, v6
	v_add_nc_u32_e32 v7, v11, v7
	v_add_nc_u32_e32 v8, v12, v8
	s_waitcnt lgkmcnt(0)
	v_add_nc_u32_e32 v9, v13, v17
	v_add_nc_u32_e32 v10, v14, v18
	v_add_nc_u32_e32 v11, v15, v19
	v_add_nc_u32_e32 v12, v16, v20
	ds_store_b128 v4, v[5:8]
	ds_store_b128 v4, v[9:12] offset:16
.LBB43_35:
	s_or_b32 exec_lo, exec_lo, s0
	s_delay_alu instid0(SALU_CYCLE_1)
	s_mov_b32 s0, exec_lo
	s_waitcnt lgkmcnt(0)
	s_barrier
	buffer_gl0_inv
	;; [unrolled: 26-line block ×3, first 2 shown]
	v_cmpx_gt_u32_e32 16, v0
	s_cbranch_execz .LBB43_39
; %bb.38:
	ds_load_b128 v[5:8], v4 offset:512
	ds_load_b128 v[9:12], v4
	ds_load_b128 v[13:16], v4 offset:16
	ds_load_b128 v[17:20], v4 offset:528
	s_waitcnt lgkmcnt(2)
	v_add_nc_u32_e32 v5, v9, v5
	v_add_nc_u32_e32 v6, v10, v6
	;; [unrolled: 1-line block ×4, first 2 shown]
	s_waitcnt lgkmcnt(0)
	v_add_nc_u32_e32 v9, v13, v17
	v_add_nc_u32_e32 v10, v14, v18
	;; [unrolled: 1-line block ×4, first 2 shown]
	ds_store_b128 v4, v[5:8]
	ds_store_b128 v4, v[9:12] offset:16
.LBB43_39:
	s_or_b32 exec_lo, exec_lo, s0
	v_cmp_gt_u32_e32 vcc_lo, 8, v0
	s_waitcnt lgkmcnt(0)
	s_barrier
	buffer_gl0_inv
	s_and_saveexec_b32 s0, vcc_lo
	s_cbranch_execz .LBB43_41
; %bb.40:
	ds_load_b128 v[5:8], v4 offset:256
	ds_load_b128 v[9:12], v4
	ds_load_b128 v[13:16], v4 offset:16
	ds_load_b128 v[17:20], v4 offset:272
	s_waitcnt lgkmcnt(2)
	v_add_nc_u32_e32 v5, v9, v5
	v_add_nc_u32_e32 v6, v10, v6
	;; [unrolled: 1-line block ×4, first 2 shown]
	s_waitcnt lgkmcnt(0)
	v_add_nc_u32_e32 v9, v13, v17
	v_add_nc_u32_e32 v10, v14, v18
	;; [unrolled: 1-line block ×4, first 2 shown]
	ds_store_b128 v4, v[5:8]
	ds_store_b128 v4, v[9:12] offset:16
.LBB43_41:
	s_or_b32 exec_lo, exec_lo, s0
	s_delay_alu instid0(SALU_CYCLE_1)
	s_mov_b32 s1, exec_lo
	s_waitcnt lgkmcnt(0)
	s_barrier
	buffer_gl0_inv
	v_cmpx_gt_u32_e32 4, v0
	s_cbranch_execz .LBB43_43
; %bb.42:
	ds_load_b128 v[5:8], v4 offset:128
	ds_load_b128 v[9:12], v4
	ds_load_b128 v[13:16], v4 offset:16
	ds_load_b128 v[17:20], v4 offset:144
	s_waitcnt lgkmcnt(2)
	v_add_nc_u32_e32 v5, v9, v5
	v_add_nc_u32_e32 v6, v10, v6
	v_add_nc_u32_e32 v7, v11, v7
	v_add_nc_u32_e32 v8, v12, v8
	s_waitcnt lgkmcnt(0)
	v_add_nc_u32_e32 v9, v13, v17
	v_add_nc_u32_e32 v10, v14, v18
	;; [unrolled: 1-line block ×4, first 2 shown]
	ds_store_b128 v4, v[5:8]
	ds_store_b128 v4, v[9:12] offset:16
.LBB43_43:
	s_or_b32 exec_lo, exec_lo, s1
	s_delay_alu instid0(SALU_CYCLE_1)
	s_mov_b32 s1, exec_lo
	s_waitcnt lgkmcnt(0)
	s_barrier
	buffer_gl0_inv
	v_cmpx_gt_u32_e32 2, v0
	s_cbranch_execz .LBB43_45
; %bb.44:
	ds_load_b128 v[5:8], v4 offset:64
	ds_load_b128 v[9:12], v4
	ds_load_b128 v[13:16], v4 offset:16
	ds_load_b128 v[17:20], v4 offset:80
	s_waitcnt lgkmcnt(2)
	v_add_nc_u32_e32 v5, v9, v5
	v_add_nc_u32_e32 v6, v10, v6
	;; [unrolled: 1-line block ×4, first 2 shown]
	s_waitcnt lgkmcnt(0)
	v_add_nc_u32_e32 v9, v13, v17
	v_add_nc_u32_e32 v10, v14, v18
	;; [unrolled: 1-line block ×4, first 2 shown]
	ds_store_b128 v4, v[5:8]
	ds_store_b128 v4, v[9:12] offset:16
.LBB43_45:
	s_or_b32 exec_lo, exec_lo, s1
	s_delay_alu instid0(SALU_CYCLE_1)
	s_mov_b32 s1, exec_lo
	s_waitcnt lgkmcnt(0)
	s_barrier
	buffer_gl0_inv
	v_cmpx_eq_u32_e32 0, v0
	s_cbranch_execz .LBB43_47
; %bb.46:
	v_mov_b32_e32 v17, 0
	ds_load_b128 v[1:4], v17 offset:32
	ds_load_b128 v[5:8], v17
	ds_load_b128 v[9:12], v17 offset:16
	ds_load_b128 v[13:16], v17 offset:48
	s_waitcnt lgkmcnt(2)
	v_add_nc_u32_e32 v2, v6, v2
	v_add_nc_u32_e32 v1, v5, v1
	;; [unrolled: 1-line block ×4, first 2 shown]
	s_waitcnt lgkmcnt(0)
	v_add_nc_u32_e32 v5, v9, v13
	v_add_nc_u32_e32 v6, v10, v14
	;; [unrolled: 1-line block ×4, first 2 shown]
	ds_store_b128 v17, v[1:4]
	ds_store_b128 v17, v[5:8] offset:16
.LBB43_47:
	s_or_b32 exec_lo, exec_lo, s1
	s_waitcnt lgkmcnt(0)
	s_barrier
	buffer_gl0_inv
	s_and_saveexec_b32 s0, vcc_lo
	s_cbranch_execz .LBB43_49
; %bb.48:
	v_lshlrev_b32_e32 v1, 2, v0
	v_lshl_or_b32 v0, s15, 3, v0
	ds_load_b32 v2, v1
	v_mov_b32_e32 v1, 0
	s_delay_alu instid0(VALU_DEP_1) | instskip(NEXT) | instid1(VALU_DEP_1)
	v_lshlrev_b64 v[0:1], 2, v[0:1]
	v_add_co_u32 v0, vcc_lo, s2, v0
	s_delay_alu instid0(VALU_DEP_2)
	v_add_co_ci_u32_e32 v1, vcc_lo, s3, v1, vcc_lo
	s_waitcnt lgkmcnt(0)
	global_store_b32 v[0:1], v2, off
.LBB43_49:
	s_nop 0
	s_sendmsg sendmsg(MSG_DEALLOC_VGPRS)
	s_endpgm
	.section	.rodata,"a",@progbits
	.p2align	6, 0x0
	.amdhsa_kernel _ZN9rocsparseL26bsrgemm_group_reduce_part2ILj256ELj8ELj2E21rocsparse_complex_numIfEiiEEvT4_PKT3_PS3_Pi
		.amdhsa_group_segment_fixed_size 8192
		.amdhsa_private_segment_fixed_size 0
		.amdhsa_kernarg_size 288
		.amdhsa_user_sgpr_count 15
		.amdhsa_user_sgpr_dispatch_ptr 0
		.amdhsa_user_sgpr_queue_ptr 0
		.amdhsa_user_sgpr_kernarg_segment_ptr 1
		.amdhsa_user_sgpr_dispatch_id 0
		.amdhsa_user_sgpr_private_segment_size 0
		.amdhsa_wavefront_size32 1
		.amdhsa_uses_dynamic_stack 0
		.amdhsa_enable_private_segment 0
		.amdhsa_system_sgpr_workgroup_id_x 1
		.amdhsa_system_sgpr_workgroup_id_y 0
		.amdhsa_system_sgpr_workgroup_id_z 0
		.amdhsa_system_sgpr_workgroup_info 0
		.amdhsa_system_vgpr_workitem_id 0
		.amdhsa_next_free_vgpr 21
		.amdhsa_next_free_sgpr 18
		.amdhsa_reserve_vcc 1
		.amdhsa_float_round_mode_32 0
		.amdhsa_float_round_mode_16_64 0
		.amdhsa_float_denorm_mode_32 3
		.amdhsa_float_denorm_mode_16_64 3
		.amdhsa_dx10_clamp 1
		.amdhsa_ieee_mode 1
		.amdhsa_fp16_overflow 0
		.amdhsa_workgroup_processor_mode 1
		.amdhsa_memory_ordered 1
		.amdhsa_forward_progress 0
		.amdhsa_shared_vgpr_count 0
		.amdhsa_exception_fp_ieee_invalid_op 0
		.amdhsa_exception_fp_denorm_src 0
		.amdhsa_exception_fp_ieee_div_zero 0
		.amdhsa_exception_fp_ieee_overflow 0
		.amdhsa_exception_fp_ieee_underflow 0
		.amdhsa_exception_fp_ieee_inexact 0
		.amdhsa_exception_int_div_zero 0
	.end_amdhsa_kernel
	.section	.text._ZN9rocsparseL26bsrgemm_group_reduce_part2ILj256ELj8ELj2E21rocsparse_complex_numIfEiiEEvT4_PKT3_PS3_Pi,"axG",@progbits,_ZN9rocsparseL26bsrgemm_group_reduce_part2ILj256ELj8ELj2E21rocsparse_complex_numIfEiiEEvT4_PKT3_PS3_Pi,comdat
.Lfunc_end43:
	.size	_ZN9rocsparseL26bsrgemm_group_reduce_part2ILj256ELj8ELj2E21rocsparse_complex_numIfEiiEEvT4_PKT3_PS3_Pi, .Lfunc_end43-_ZN9rocsparseL26bsrgemm_group_reduce_part2ILj256ELj8ELj2E21rocsparse_complex_numIfEiiEEvT4_PKT3_PS3_Pi
                                        ; -- End function
	.section	.AMDGPU.csdata,"",@progbits
; Kernel info:
; codeLenInByte = 1940
; NumSgprs: 20
; NumVgprs: 21
; ScratchSize: 0
; MemoryBound: 0
; FloatMode: 240
; IeeeMode: 1
; LDSByteSize: 8192 bytes/workgroup (compile time only)
; SGPRBlocks: 2
; VGPRBlocks: 2
; NumSGPRsForWavesPerEU: 20
; NumVGPRsForWavesPerEU: 21
; Occupancy: 16
; WaveLimiterHint : 0
; COMPUTE_PGM_RSRC2:SCRATCH_EN: 0
; COMPUTE_PGM_RSRC2:USER_SGPR: 15
; COMPUTE_PGM_RSRC2:TRAP_HANDLER: 0
; COMPUTE_PGM_RSRC2:TGID_X_EN: 1
; COMPUTE_PGM_RSRC2:TGID_Y_EN: 0
; COMPUTE_PGM_RSRC2:TGID_Z_EN: 0
; COMPUTE_PGM_RSRC2:TIDIG_COMP_CNT: 0
	.section	.text._ZN9rocsparseL26bsrgemm_group_reduce_part2ILj256ELj8ELj8E21rocsparse_complex_numIfEiiEEvT4_PKT3_PS3_Pi,"axG",@progbits,_ZN9rocsparseL26bsrgemm_group_reduce_part2ILj256ELj8ELj8E21rocsparse_complex_numIfEiiEEvT4_PKT3_PS3_Pi,comdat
	.globl	_ZN9rocsparseL26bsrgemm_group_reduce_part2ILj256ELj8ELj8E21rocsparse_complex_numIfEiiEEvT4_PKT3_PS3_Pi ; -- Begin function _ZN9rocsparseL26bsrgemm_group_reduce_part2ILj256ELj8ELj8E21rocsparse_complex_numIfEiiEEvT4_PKT3_PS3_Pi
	.p2align	8
	.type	_ZN9rocsparseL26bsrgemm_group_reduce_part2ILj256ELj8ELj8E21rocsparse_complex_numIfEiiEEvT4_PKT3_PS3_Pi,@function
_ZN9rocsparseL26bsrgemm_group_reduce_part2ILj256ELj8ELj8E21rocsparse_complex_numIfEiiEEvT4_PKT3_PS3_Pi: ; @_ZN9rocsparseL26bsrgemm_group_reduce_part2ILj256ELj8ELj8E21rocsparse_complex_numIfEiiEEvT4_PKT3_PS3_Pi
; %bb.0:
	s_clause 0x1
	s_load_b32 s10, s[0:1], 0x0
	s_load_b64 s[2:3], s[0:1], 0x10
	s_mov_b32 s4, 0
	v_lshl_or_b32 v1, s15, 8, v0
	s_mov_b32 s7, s4
	s_mov_b32 s5, s4
	;; [unrolled: 1-line block ×3, first 2 shown]
	v_dual_mov_b32 v8, s7 :: v_dual_mov_b32 v5, s4
	v_dual_mov_b32 v7, s6 :: v_dual_lshlrev_b32 v4, 5, v0
	v_mov_b32_e32 v6, s5
	s_mov_b32 s5, exec_lo
	ds_store_b128 v4, v[5:8]
	ds_store_b128 v4, v[5:8] offset:16
	s_waitcnt lgkmcnt(0)
	buffer_gl0_inv
	v_cmpx_gt_i32_e64 s10, v1
	s_cbranch_execz .LBB44_31
; %bb.1:
	s_clause 0x2
	s_load_b32 s11, s[0:1], 0x20
	s_load_b64 s[6:7], s[0:1], 0x8
	s_load_b64 s[8:9], s[0:1], 0x18
	v_dual_mov_b32 v5, 7 :: v_dual_mov_b32 v6, 6
	v_dual_mov_b32 v7, 5 :: v_dual_mov_b32 v8, 4
	;; [unrolled: 1-line block ×4, first 2 shown]
	s_waitcnt lgkmcnt(0)
	s_lshl_b32 s1, s11, 8
	s_branch .LBB44_3
.LBB44_2:                               ;   in Loop: Header=BB44_3 Depth=1
	s_or_b32 exec_lo, exec_lo, s0
	v_add_nc_u32_e32 v1, s1, v1
	s_delay_alu instid0(VALU_DEP_1) | instskip(SKIP_1) | instid1(SALU_CYCLE_1)
	v_cmp_le_i32_e32 vcc_lo, s10, v1
	s_or_b32 s4, vcc_lo, s4
	s_and_not1_b32 exec_lo, exec_lo, s4
	s_cbranch_execz .LBB44_31
.LBB44_3:                               ; =>This Inner Loop Header: Depth=1
	v_ashrrev_i32_e32 v2, 31, v1
	s_mov_b32 s0, exec_lo
	s_delay_alu instid0(VALU_DEP_1) | instskip(NEXT) | instid1(VALU_DEP_1)
	v_lshlrev_b64 v[2:3], 2, v[1:2]
	v_add_co_u32 v13, vcc_lo, s6, v2
	s_delay_alu instid0(VALU_DEP_2) | instskip(SKIP_3) | instid1(VALU_DEP_1)
	v_add_co_ci_u32_e32 v14, vcc_lo, s7, v3, vcc_lo
	global_load_b64 v[13:14], v[13:14], off
	s_waitcnt vmcnt(0)
	v_sub_nc_u32_e32 v13, v14, v13
	v_cmpx_lt_i32_e32 8, v13
	s_xor_b32 s11, exec_lo, s0
	s_cbranch_execz .LBB44_29
; %bb.4:                                ;   in Loop: Header=BB44_3 Depth=1
	s_mov_b32 s0, exec_lo
	v_cmpx_lt_u32_e32 16, v13
	s_xor_b32 s12, exec_lo, s0
	s_cbranch_execz .LBB44_26
; %bb.5:                                ;   in Loop: Header=BB44_3 Depth=1
	s_mov_b32 s0, exec_lo
	v_cmpx_lt_u32_e32 32, v13
	;; [unrolled: 5-line block ×5, first 2 shown]
	s_xor_b32 s17, exec_lo, s0
	s_cbranch_execz .LBB44_14
; %bb.9:                                ;   in Loop: Header=BB44_3 Depth=1
	v_add_co_u32 v2, s0, s8, v2
	s_delay_alu instid0(VALU_DEP_1)
	v_add_co_ci_u32_e64 v3, s0, s9, v3, s0
	s_mov_b32 s0, exec_lo
	v_cmpx_lt_u32_e32 0x200, v13
	s_xor_b32 s0, exec_lo, s0
	s_cbranch_execz .LBB44_11
; %bb.10:                               ;   in Loop: Header=BB44_3 Depth=1
	ds_load_b32 v13, v4 offset:28
	global_store_b32 v[2:3], v5, off
                                        ; implicit-def: $vgpr2_vgpr3
	s_waitcnt lgkmcnt(0)
	v_add_nc_u32_e32 v13, 1, v13
	ds_store_b32 v4, v13 offset:28
.LBB44_11:                              ;   in Loop: Header=BB44_3 Depth=1
	s_and_not1_saveexec_b32 s0, s0
	s_cbranch_execz .LBB44_13
; %bb.12:                               ;   in Loop: Header=BB44_3 Depth=1
	ds_load_b32 v13, v4 offset:24
	global_store_b32 v[2:3], v6, off
	s_waitcnt lgkmcnt(0)
	v_add_nc_u32_e32 v13, 1, v13
	ds_store_b32 v4, v13 offset:24
.LBB44_13:                              ;   in Loop: Header=BB44_3 Depth=1
	s_or_b32 exec_lo, exec_lo, s0
                                        ; implicit-def: $vgpr2_vgpr3
.LBB44_14:                              ;   in Loop: Header=BB44_3 Depth=1
	s_and_not1_saveexec_b32 s0, s17
	s_cbranch_execz .LBB44_16
; %bb.15:                               ;   in Loop: Header=BB44_3 Depth=1
	ds_load_b32 v13, v4 offset:20
	v_add_co_u32 v2, vcc_lo, s8, v2
	v_add_co_ci_u32_e32 v3, vcc_lo, s9, v3, vcc_lo
	global_store_b32 v[2:3], v7, off
	s_waitcnt lgkmcnt(0)
	v_add_nc_u32_e32 v13, 1, v13
	ds_store_b32 v4, v13 offset:20
.LBB44_16:                              ;   in Loop: Header=BB44_3 Depth=1
	s_or_b32 exec_lo, exec_lo, s0
                                        ; implicit-def: $vgpr2_vgpr3
.LBB44_17:                              ;   in Loop: Header=BB44_3 Depth=1
	s_and_not1_saveexec_b32 s0, s16
	s_cbranch_execz .LBB44_19
; %bb.18:                               ;   in Loop: Header=BB44_3 Depth=1
	ds_load_b32 v13, v4 offset:16
	v_add_co_u32 v2, vcc_lo, s8, v2
	v_add_co_ci_u32_e32 v3, vcc_lo, s9, v3, vcc_lo
	global_store_b32 v[2:3], v8, off
	s_waitcnt lgkmcnt(0)
	v_add_nc_u32_e32 v13, 1, v13
	ds_store_b32 v4, v13 offset:16
.LBB44_19:                              ;   in Loop: Header=BB44_3 Depth=1
	s_or_b32 exec_lo, exec_lo, s0
                                        ; implicit-def: $vgpr2_vgpr3
.LBB44_20:                              ;   in Loop: Header=BB44_3 Depth=1
	s_and_not1_saveexec_b32 s0, s14
	s_cbranch_execz .LBB44_22
; %bb.21:                               ;   in Loop: Header=BB44_3 Depth=1
	ds_load_b32 v13, v4 offset:12
	v_add_co_u32 v2, vcc_lo, s8, v2
	v_add_co_ci_u32_e32 v3, vcc_lo, s9, v3, vcc_lo
	global_store_b32 v[2:3], v9, off
	s_waitcnt lgkmcnt(0)
	v_add_nc_u32_e32 v13, 1, v13
	ds_store_b32 v4, v13 offset:12
.LBB44_22:                              ;   in Loop: Header=BB44_3 Depth=1
	s_or_b32 exec_lo, exec_lo, s0
                                        ; implicit-def: $vgpr2_vgpr3
.LBB44_23:                              ;   in Loop: Header=BB44_3 Depth=1
	s_and_not1_saveexec_b32 s0, s13
	s_cbranch_execz .LBB44_25
; %bb.24:                               ;   in Loop: Header=BB44_3 Depth=1
	ds_load_b32 v13, v4 offset:8
	v_add_co_u32 v2, vcc_lo, s8, v2
	v_add_co_ci_u32_e32 v3, vcc_lo, s9, v3, vcc_lo
	global_store_b32 v[2:3], v10, off
	s_waitcnt lgkmcnt(0)
	v_add_nc_u32_e32 v13, 1, v13
	ds_store_b32 v4, v13 offset:8
.LBB44_25:                              ;   in Loop: Header=BB44_3 Depth=1
	s_or_b32 exec_lo, exec_lo, s0
                                        ; implicit-def: $vgpr2_vgpr3
.LBB44_26:                              ;   in Loop: Header=BB44_3 Depth=1
	s_and_not1_saveexec_b32 s0, s12
	s_cbranch_execz .LBB44_28
; %bb.27:                               ;   in Loop: Header=BB44_3 Depth=1
	ds_load_b32 v13, v4 offset:4
	v_add_co_u32 v2, vcc_lo, s8, v2
	v_add_co_ci_u32_e32 v3, vcc_lo, s9, v3, vcc_lo
	global_store_b32 v[2:3], v11, off
	s_waitcnt lgkmcnt(0)
	v_add_nc_u32_e32 v13, 1, v13
	ds_store_b32 v4, v13 offset:4
.LBB44_28:                              ;   in Loop: Header=BB44_3 Depth=1
	s_or_b32 exec_lo, exec_lo, s0
                                        ; implicit-def: $vgpr2_vgpr3
.LBB44_29:                              ;   in Loop: Header=BB44_3 Depth=1
	s_and_not1_saveexec_b32 s0, s11
	s_cbranch_execz .LBB44_2
; %bb.30:                               ;   in Loop: Header=BB44_3 Depth=1
	ds_load_b32 v13, v4
	v_add_co_u32 v2, vcc_lo, s8, v2
	v_add_co_ci_u32_e32 v3, vcc_lo, s9, v3, vcc_lo
	global_store_b32 v[2:3], v12, off
	s_waitcnt lgkmcnt(0)
	v_add_nc_u32_e32 v13, 1, v13
	ds_store_b32 v4, v13
	s_branch .LBB44_2
.LBB44_31:
	s_or_b32 exec_lo, exec_lo, s5
	s_delay_alu instid0(SALU_CYCLE_1)
	s_mov_b32 s0, exec_lo
	s_waitcnt lgkmcnt(0)
	s_waitcnt_vscnt null, 0x0
	s_barrier
	buffer_gl0_inv
	s_barrier
	buffer_gl0_inv
	;; [unrolled: 2-line block ×3, first 2 shown]
	v_cmpx_gt_u32_e32 0x80, v0
	s_cbranch_execz .LBB44_33
; %bb.32:
	ds_load_b128 v[5:8], v4 offset:4096
	ds_load_b128 v[9:12], v4
	ds_load_b128 v[13:16], v4 offset:16
	ds_load_b128 v[17:20], v4 offset:4112
	s_waitcnt lgkmcnt(2)
	v_add_nc_u32_e32 v5, v9, v5
	v_add_nc_u32_e32 v6, v10, v6
	v_add_nc_u32_e32 v7, v11, v7
	v_add_nc_u32_e32 v8, v12, v8
	s_waitcnt lgkmcnt(0)
	v_add_nc_u32_e32 v9, v13, v17
	v_add_nc_u32_e32 v10, v14, v18
	v_add_nc_u32_e32 v11, v15, v19
	v_add_nc_u32_e32 v12, v16, v20
	ds_store_b128 v4, v[5:8]
	ds_store_b128 v4, v[9:12] offset:16
.LBB44_33:
	s_or_b32 exec_lo, exec_lo, s0
	s_delay_alu instid0(SALU_CYCLE_1)
	s_mov_b32 s0, exec_lo
	s_waitcnt lgkmcnt(0)
	s_barrier
	buffer_gl0_inv
	v_cmpx_gt_u32_e32 64, v0
	s_cbranch_execz .LBB44_35
; %bb.34:
	ds_load_b128 v[5:8], v4 offset:2048
	ds_load_b128 v[9:12], v4
	ds_load_b128 v[13:16], v4 offset:16
	ds_load_b128 v[17:20], v4 offset:2064
	s_waitcnt lgkmcnt(2)
	v_add_nc_u32_e32 v5, v9, v5
	v_add_nc_u32_e32 v6, v10, v6
	v_add_nc_u32_e32 v7, v11, v7
	v_add_nc_u32_e32 v8, v12, v8
	s_waitcnt lgkmcnt(0)
	v_add_nc_u32_e32 v9, v13, v17
	v_add_nc_u32_e32 v10, v14, v18
	v_add_nc_u32_e32 v11, v15, v19
	v_add_nc_u32_e32 v12, v16, v20
	ds_store_b128 v4, v[5:8]
	ds_store_b128 v4, v[9:12] offset:16
.LBB44_35:
	s_or_b32 exec_lo, exec_lo, s0
	s_delay_alu instid0(SALU_CYCLE_1)
	s_mov_b32 s0, exec_lo
	s_waitcnt lgkmcnt(0)
	s_barrier
	buffer_gl0_inv
	;; [unrolled: 26-line block ×3, first 2 shown]
	v_cmpx_gt_u32_e32 16, v0
	s_cbranch_execz .LBB44_39
; %bb.38:
	ds_load_b128 v[5:8], v4 offset:512
	ds_load_b128 v[9:12], v4
	ds_load_b128 v[13:16], v4 offset:16
	ds_load_b128 v[17:20], v4 offset:528
	s_waitcnt lgkmcnt(2)
	v_add_nc_u32_e32 v5, v9, v5
	v_add_nc_u32_e32 v6, v10, v6
	;; [unrolled: 1-line block ×4, first 2 shown]
	s_waitcnt lgkmcnt(0)
	v_add_nc_u32_e32 v9, v13, v17
	v_add_nc_u32_e32 v10, v14, v18
	v_add_nc_u32_e32 v11, v15, v19
	v_add_nc_u32_e32 v12, v16, v20
	ds_store_b128 v4, v[5:8]
	ds_store_b128 v4, v[9:12] offset:16
.LBB44_39:
	s_or_b32 exec_lo, exec_lo, s0
	v_cmp_gt_u32_e32 vcc_lo, 8, v0
	s_waitcnt lgkmcnt(0)
	s_barrier
	buffer_gl0_inv
	s_and_saveexec_b32 s0, vcc_lo
	s_cbranch_execz .LBB44_41
; %bb.40:
	ds_load_b128 v[5:8], v4 offset:256
	ds_load_b128 v[9:12], v4
	ds_load_b128 v[13:16], v4 offset:16
	ds_load_b128 v[17:20], v4 offset:272
	s_waitcnt lgkmcnt(2)
	v_add_nc_u32_e32 v5, v9, v5
	v_add_nc_u32_e32 v6, v10, v6
	;; [unrolled: 1-line block ×4, first 2 shown]
	s_waitcnt lgkmcnt(0)
	v_add_nc_u32_e32 v9, v13, v17
	v_add_nc_u32_e32 v10, v14, v18
	;; [unrolled: 1-line block ×4, first 2 shown]
	ds_store_b128 v4, v[5:8]
	ds_store_b128 v4, v[9:12] offset:16
.LBB44_41:
	s_or_b32 exec_lo, exec_lo, s0
	s_delay_alu instid0(SALU_CYCLE_1)
	s_mov_b32 s1, exec_lo
	s_waitcnt lgkmcnt(0)
	s_barrier
	buffer_gl0_inv
	v_cmpx_gt_u32_e32 4, v0
	s_cbranch_execz .LBB44_43
; %bb.42:
	ds_load_b128 v[5:8], v4 offset:128
	ds_load_b128 v[9:12], v4
	ds_load_b128 v[13:16], v4 offset:16
	ds_load_b128 v[17:20], v4 offset:144
	s_waitcnt lgkmcnt(2)
	v_add_nc_u32_e32 v5, v9, v5
	v_add_nc_u32_e32 v6, v10, v6
	;; [unrolled: 1-line block ×4, first 2 shown]
	s_waitcnt lgkmcnt(0)
	v_add_nc_u32_e32 v9, v13, v17
	v_add_nc_u32_e32 v10, v14, v18
	;; [unrolled: 1-line block ×4, first 2 shown]
	ds_store_b128 v4, v[5:8]
	ds_store_b128 v4, v[9:12] offset:16
.LBB44_43:
	s_or_b32 exec_lo, exec_lo, s1
	s_delay_alu instid0(SALU_CYCLE_1)
	s_mov_b32 s1, exec_lo
	s_waitcnt lgkmcnt(0)
	s_barrier
	buffer_gl0_inv
	v_cmpx_gt_u32_e32 2, v0
	s_cbranch_execz .LBB44_45
; %bb.44:
	ds_load_b128 v[5:8], v4 offset:64
	ds_load_b128 v[9:12], v4
	ds_load_b128 v[13:16], v4 offset:16
	ds_load_b128 v[17:20], v4 offset:80
	s_waitcnt lgkmcnt(2)
	v_add_nc_u32_e32 v5, v9, v5
	v_add_nc_u32_e32 v6, v10, v6
	;; [unrolled: 1-line block ×4, first 2 shown]
	s_waitcnt lgkmcnt(0)
	v_add_nc_u32_e32 v9, v13, v17
	v_add_nc_u32_e32 v10, v14, v18
	;; [unrolled: 1-line block ×4, first 2 shown]
	ds_store_b128 v4, v[5:8]
	ds_store_b128 v4, v[9:12] offset:16
.LBB44_45:
	s_or_b32 exec_lo, exec_lo, s1
	s_delay_alu instid0(SALU_CYCLE_1)
	s_mov_b32 s1, exec_lo
	s_waitcnt lgkmcnt(0)
	s_barrier
	buffer_gl0_inv
	v_cmpx_eq_u32_e32 0, v0
	s_cbranch_execz .LBB44_47
; %bb.46:
	v_mov_b32_e32 v17, 0
	ds_load_b128 v[1:4], v17 offset:32
	ds_load_b128 v[5:8], v17
	ds_load_b128 v[9:12], v17 offset:16
	ds_load_b128 v[13:16], v17 offset:48
	s_waitcnt lgkmcnt(2)
	v_add_nc_u32_e32 v2, v6, v2
	v_add_nc_u32_e32 v1, v5, v1
	v_add_nc_u32_e32 v3, v7, v3
	v_add_nc_u32_e32 v4, v8, v4
	s_waitcnt lgkmcnt(0)
	v_add_nc_u32_e32 v5, v9, v13
	v_add_nc_u32_e32 v6, v10, v14
	;; [unrolled: 1-line block ×4, first 2 shown]
	ds_store_b128 v17, v[1:4]
	ds_store_b128 v17, v[5:8] offset:16
.LBB44_47:
	s_or_b32 exec_lo, exec_lo, s1
	s_waitcnt lgkmcnt(0)
	s_barrier
	buffer_gl0_inv
	s_and_saveexec_b32 s0, vcc_lo
	s_cbranch_execz .LBB44_49
; %bb.48:
	v_lshlrev_b32_e32 v1, 2, v0
	v_lshl_or_b32 v0, s15, 3, v0
	ds_load_b32 v2, v1
	v_mov_b32_e32 v1, 0
	s_delay_alu instid0(VALU_DEP_1) | instskip(NEXT) | instid1(VALU_DEP_1)
	v_lshlrev_b64 v[0:1], 2, v[0:1]
	v_add_co_u32 v0, vcc_lo, s2, v0
	s_delay_alu instid0(VALU_DEP_2)
	v_add_co_ci_u32_e32 v1, vcc_lo, s3, v1, vcc_lo
	s_waitcnt lgkmcnt(0)
	global_store_b32 v[0:1], v2, off
.LBB44_49:
	s_nop 0
	s_sendmsg sendmsg(MSG_DEALLOC_VGPRS)
	s_endpgm
	.section	.rodata,"a",@progbits
	.p2align	6, 0x0
	.amdhsa_kernel _ZN9rocsparseL26bsrgemm_group_reduce_part2ILj256ELj8ELj8E21rocsparse_complex_numIfEiiEEvT4_PKT3_PS3_Pi
		.amdhsa_group_segment_fixed_size 8192
		.amdhsa_private_segment_fixed_size 0
		.amdhsa_kernarg_size 288
		.amdhsa_user_sgpr_count 15
		.amdhsa_user_sgpr_dispatch_ptr 0
		.amdhsa_user_sgpr_queue_ptr 0
		.amdhsa_user_sgpr_kernarg_segment_ptr 1
		.amdhsa_user_sgpr_dispatch_id 0
		.amdhsa_user_sgpr_private_segment_size 0
		.amdhsa_wavefront_size32 1
		.amdhsa_uses_dynamic_stack 0
		.amdhsa_enable_private_segment 0
		.amdhsa_system_sgpr_workgroup_id_x 1
		.amdhsa_system_sgpr_workgroup_id_y 0
		.amdhsa_system_sgpr_workgroup_id_z 0
		.amdhsa_system_sgpr_workgroup_info 0
		.amdhsa_system_vgpr_workitem_id 0
		.amdhsa_next_free_vgpr 21
		.amdhsa_next_free_sgpr 18
		.amdhsa_reserve_vcc 1
		.amdhsa_float_round_mode_32 0
		.amdhsa_float_round_mode_16_64 0
		.amdhsa_float_denorm_mode_32 3
		.amdhsa_float_denorm_mode_16_64 3
		.amdhsa_dx10_clamp 1
		.amdhsa_ieee_mode 1
		.amdhsa_fp16_overflow 0
		.amdhsa_workgroup_processor_mode 1
		.amdhsa_memory_ordered 1
		.amdhsa_forward_progress 0
		.amdhsa_shared_vgpr_count 0
		.amdhsa_exception_fp_ieee_invalid_op 0
		.amdhsa_exception_fp_denorm_src 0
		.amdhsa_exception_fp_ieee_div_zero 0
		.amdhsa_exception_fp_ieee_overflow 0
		.amdhsa_exception_fp_ieee_underflow 0
		.amdhsa_exception_fp_ieee_inexact 0
		.amdhsa_exception_int_div_zero 0
	.end_amdhsa_kernel
	.section	.text._ZN9rocsparseL26bsrgemm_group_reduce_part2ILj256ELj8ELj8E21rocsparse_complex_numIfEiiEEvT4_PKT3_PS3_Pi,"axG",@progbits,_ZN9rocsparseL26bsrgemm_group_reduce_part2ILj256ELj8ELj8E21rocsparse_complex_numIfEiiEEvT4_PKT3_PS3_Pi,comdat
.Lfunc_end44:
	.size	_ZN9rocsparseL26bsrgemm_group_reduce_part2ILj256ELj8ELj8E21rocsparse_complex_numIfEiiEEvT4_PKT3_PS3_Pi, .Lfunc_end44-_ZN9rocsparseL26bsrgemm_group_reduce_part2ILj256ELj8ELj8E21rocsparse_complex_numIfEiiEEvT4_PKT3_PS3_Pi
                                        ; -- End function
	.section	.AMDGPU.csdata,"",@progbits
; Kernel info:
; codeLenInByte = 1940
; NumSgprs: 20
; NumVgprs: 21
; ScratchSize: 0
; MemoryBound: 0
; FloatMode: 240
; IeeeMode: 1
; LDSByteSize: 8192 bytes/workgroup (compile time only)
; SGPRBlocks: 2
; VGPRBlocks: 2
; NumSGPRsForWavesPerEU: 20
; NumVGPRsForWavesPerEU: 21
; Occupancy: 16
; WaveLimiterHint : 0
; COMPUTE_PGM_RSRC2:SCRATCH_EN: 0
; COMPUTE_PGM_RSRC2:USER_SGPR: 15
; COMPUTE_PGM_RSRC2:TRAP_HANDLER: 0
; COMPUTE_PGM_RSRC2:TGID_X_EN: 1
; COMPUTE_PGM_RSRC2:TGID_Y_EN: 0
; COMPUTE_PGM_RSRC2:TGID_Z_EN: 0
; COMPUTE_PGM_RSRC2:TIDIG_COMP_CNT: 0
	.section	.text._ZN9rocsparseL27bsrgemm_fill_wf_per_row_2x2ILj256ELj16ELj8ELj137Eii21rocsparse_complex_numIfEEEv20rocsparse_direction_T4_S4_PKS4_S6_NS_24const_host_device_scalarIT5_EEPKT3_S6_PKS8_SC_S6_SE_S9_SC_S6_SE_SC_PS4_PS8_21rocsparse_index_base_SH_SH_SH_bbb,"axG",@progbits,_ZN9rocsparseL27bsrgemm_fill_wf_per_row_2x2ILj256ELj16ELj8ELj137Eii21rocsparse_complex_numIfEEEv20rocsparse_direction_T4_S4_PKS4_S6_NS_24const_host_device_scalarIT5_EEPKT3_S6_PKS8_SC_S6_SE_S9_SC_S6_SE_SC_PS4_PS8_21rocsparse_index_base_SH_SH_SH_bbb,comdat
	.globl	_ZN9rocsparseL27bsrgemm_fill_wf_per_row_2x2ILj256ELj16ELj8ELj137Eii21rocsparse_complex_numIfEEEv20rocsparse_direction_T4_S4_PKS4_S6_NS_24const_host_device_scalarIT5_EEPKT3_S6_PKS8_SC_S6_SE_S9_SC_S6_SE_SC_PS4_PS8_21rocsparse_index_base_SH_SH_SH_bbb ; -- Begin function _ZN9rocsparseL27bsrgemm_fill_wf_per_row_2x2ILj256ELj16ELj8ELj137Eii21rocsparse_complex_numIfEEEv20rocsparse_direction_T4_S4_PKS4_S6_NS_24const_host_device_scalarIT5_EEPKT3_S6_PKS8_SC_S6_SE_S9_SC_S6_SE_SC_PS4_PS8_21rocsparse_index_base_SH_SH_SH_bbb
	.p2align	8
	.type	_ZN9rocsparseL27bsrgemm_fill_wf_per_row_2x2ILj256ELj16ELj8ELj137Eii21rocsparse_complex_numIfEEEv20rocsparse_direction_T4_S4_PKS4_S6_NS_24const_host_device_scalarIT5_EEPKT3_S6_PKS8_SC_S6_SE_S9_SC_S6_SE_SC_PS4_PS8_21rocsparse_index_base_SH_SH_SH_bbb,@function
_ZN9rocsparseL27bsrgemm_fill_wf_per_row_2x2ILj256ELj16ELj8ELj137Eii21rocsparse_complex_numIfEEEv20rocsparse_direction_T4_S4_PKS4_S6_NS_24const_host_device_scalarIT5_EEPKT3_S6_PKS8_SC_S6_SE_S9_SC_S6_SE_SC_PS4_PS8_21rocsparse_index_base_SH_SH_SH_bbb: ; @_ZN9rocsparseL27bsrgemm_fill_wf_per_row_2x2ILj256ELj16ELj8ELj137Eii21rocsparse_complex_numIfEEEv20rocsparse_direction_T4_S4_PKS4_S6_NS_24const_host_device_scalarIT5_EEPKT3_S6_PKS8_SC_S6_SE_S9_SC_S6_SE_SC_PS4_PS8_21rocsparse_index_base_SH_SH_SH_bbb
; %bb.0:
	s_clause 0x6
	s_load_b32 s14, s[0:1], 0xa0
	s_load_b256 s[4:11], s[0:1], 0x68
	s_load_b256 s[16:23], s[0:1], 0x48
	s_load_b128 s[44:47], s[0:1], 0x10
	s_load_b256 s[24:31], s[0:1], 0x28
	s_load_b64 s[2:3], s[0:1], 0x88
	s_load_b128 s[36:39], s[0:1], 0x90
	s_mov_b32 s13, 0
	s_mov_b32 s33, 0
	s_waitcnt lgkmcnt(0)
	s_bitcmp1_b32 s14, 0
	s_cselect_b32 s35, -1, 0
	s_bitcmp1_b32 s14, 16
	s_cselect_b32 s12, -1, 0
	s_delay_alu instid0(SALU_CYCLE_1) | instskip(SKIP_2) | instid1(VALU_DEP_1)
	s_xor_b32 s34, s12, -1
	s_bitcmp0_b32 s14, 0
	v_cndmask_b32_e64 v1, 0, 1, s34
	v_cmp_ne_u32_e32 vcc_lo, 1, v1
	s_cbranch_scc1 .LBB45_5
; %bb.1:
	s_load_b64 s[12:13], s[0:1], 0x20
	s_and_b32 vcc_lo, exec_lo, vcc_lo
	s_waitcnt lgkmcnt(0)
	s_mov_b32 s33, s12
	s_cbranch_vccnz .LBB45_3
; %bb.2:
	s_load_b32 s33, s[12:13], 0x0
.LBB45_3:
	s_and_not1_b32 vcc_lo, exec_lo, s34
	s_cbranch_vccnz .LBB45_5
; %bb.4:
	s_load_b32 s13, s[12:13], 0x4
.LBB45_5:
	s_bitcmp1_b32 s14, 8
	s_cselect_b32 s34, -1, 0
	s_bfe_u32 s12, s14, 0x10008
	s_mov_b32 s14, 0
	s_cmp_eq_u32 s12, 0
	s_mov_b32 s12, 0
	s_cbranch_scc1 .LBB45_11
; %bb.6:
	v_cmp_ne_u32_e32 vcc_lo, 1, v1
	s_mov_b32 s12, s20
	s_cbranch_vccnz .LBB45_8
; %bb.7:
	s_load_b32 s12, s[20:21], 0x0
.LBB45_8:
	v_cmp_ne_u32_e32 vcc_lo, 1, v1
	s_cbranch_vccnz .LBB45_10
; %bb.9:
	s_load_b32 s21, s[20:21], 0x4
.LBB45_10:
	s_waitcnt lgkmcnt(0)
	s_mov_b32 s14, s21
.LBB45_11:
	s_load_b128 s[40:43], s[0:1], 0x0
	v_lshrrev_b32_e32 v2, 4, v0
	v_and_b32_e32 v12, 15, v0
	s_delay_alu instid0(VALU_DEP_2) | instskip(NEXT) | instid1(VALU_DEP_2)
	v_lshl_or_b32 v13, v2, 5, 0x1000
	v_cmp_gt_u32_e64 s0, 8, v12
	s_delay_alu instid0(VALU_DEP_1)
	s_and_saveexec_b32 s1, s0
	s_cbranch_execz .LBB45_13
; %bb.12:
	s_delay_alu instid0(VALU_DEP_2)
	v_lshl_add_u32 v0, v12, 2, v13
	s_waitcnt lgkmcnt(0)
	v_mov_b32_e32 v1, s42
	ds_store_b32 v0, v1
.LBB45_13:
	s_or_b32 exec_lo, exec_lo, s1
	v_dual_mov_b32 v0, 0 :: v_dual_lshlrev_b32 v1, 3, v12
	v_or_b32_e32 v3, -16, v12
	s_mov_b32 s1, 0
	s_delay_alu instid0(VALU_DEP_2) | instskip(NEXT) | instid1(VALU_DEP_3)
	v_lshl_or_b32 v4, v2, 8, v1
	v_mov_b32_e32 v1, v0
.LBB45_14:                              ; =>This Inner Loop Header: Depth=1
	s_delay_alu instid0(VALU_DEP_3) | instskip(NEXT) | instid1(VALU_DEP_1)
	v_add_co_u32 v3, s20, v3, 16
	s_xor_b32 s20, s20, -1
	ds_store_b64 v4, v[0:1]
	v_add_nc_u32_e32 v4, 0x80, v4
	s_and_b32 s20, exec_lo, s20
	s_delay_alu instid0(SALU_CYCLE_1) | instskip(NEXT) | instid1(SALU_CYCLE_1)
	s_or_b32 s1, s20, s1
	s_and_not1_b32 exec_lo, exec_lo, s1
	s_cbranch_execnz .LBB45_14
; %bb.15:
	s_or_b32 exec_lo, exec_lo, s1
	v_lshl_or_b32 v0, s15, 4, v2
	s_waitcnt lgkmcnt(0)
	s_barrier
	buffer_gl0_inv
	s_mov_b32 s1, exec_lo
	v_cmpx_gt_i32_e64 s41, v0
	s_cbranch_execz .LBB45_21
; %bb.16:
	s_cmp_eq_u64 s[46:47], 0
	s_cbranch_scc1 .LBB45_18
; %bb.17:
	s_load_b32 s1, s[44:45], 0x0
	s_waitcnt lgkmcnt(0)
	v_add_nc_u32_e32 v0, s1, v0
	s_delay_alu instid0(VALU_DEP_1) | instskip(NEXT) | instid1(VALU_DEP_1)
	v_ashrrev_i32_e32 v1, 31, v0
	v_lshlrev_b64 v[0:1], 2, v[0:1]
	s_delay_alu instid0(VALU_DEP_1) | instskip(NEXT) | instid1(VALU_DEP_2)
	v_add_co_u32 v0, vcc_lo, s46, v0
	v_add_co_ci_u32_e32 v1, vcc_lo, s47, v1, vcc_lo
	global_load_b32 v0, v[0:1], off
.LBB45_18:
	v_lshlrev_b32_e32 v14, 8, v2
	s_waitcnt vmcnt(0)
	v_ashrrev_i32_e32 v1, 31, v0
	s_and_not1_b32 vcc_lo, exec_lo, s35
	s_cbranch_vccz .LBB45_22
; %bb.19:
	s_and_not1_b32 vcc_lo, exec_lo, s34
	buffer_gl0_inv
	s_cbranch_vccz .LBB45_77
.LBB45_20:
	buffer_gl0_inv
	s_and_b32 exec_lo, exec_lo, s0
	s_cbranch_execnz .LBB45_129
.LBB45_21:
	s_endpgm
.LBB45_22:
	s_delay_alu instid0(VALU_DEP_1) | instskip(SKIP_2) | instid1(VALU_DEP_2)
	v_lshlrev_b64 v[2:3], 2, v[0:1]
	v_subrev_nc_u32_e32 v4, s36, v12
	s_mov_b32 s1, exec_lo
	v_add_co_u32 v2, vcc_lo, s24, v2
	s_delay_alu instid0(VALU_DEP_3) | instskip(SKIP_4) | instid1(VALU_DEP_1)
	v_add_co_ci_u32_e32 v3, vcc_lo, s25, v3, vcc_lo
	global_load_b64 v[2:3], v[2:3], off
	s_waitcnt vmcnt(0)
	v_subrev_nc_u32_e32 v15, s36, v3
	v_add_nc_u32_e32 v2, v2, v4
	v_cmpx_lt_i32_e64 v2, v15
	s_cbranch_execz .LBB45_76
; %bb.23:
	v_add_nc_u32_e32 v16, 8, v14
	v_add_nc_u32_e32 v17, 16, v14
	;; [unrolled: 1-line block ×3, first 2 shown]
	s_cmp_eq_u32 s40, 0
	s_mov_b32 s15, 0
	s_cselect_b32 s20, 2, 1
	s_cselect_b32 s21, 1, 2
	s_branch .LBB45_25
.LBB45_24:                              ;   in Loop: Header=BB45_25 Depth=1
	s_or_b32 exec_lo, exec_lo, s24
	v_add_nc_u32_e32 v2, 16, v2
	s_delay_alu instid0(VALU_DEP_1) | instskip(SKIP_1) | instid1(SALU_CYCLE_1)
	v_cmp_ge_i32_e32 vcc_lo, v2, v15
	s_or_b32 s15, vcc_lo, s15
	s_and_not1_b32 exec_lo, exec_lo, s15
	s_cbranch_execz .LBB45_76
.LBB45_25:                              ; =>This Loop Header: Depth=1
                                        ;     Child Loop BB45_28 Depth 2
                                        ;       Child Loop BB45_30 Depth 3
                                        ;       Child Loop BB45_42 Depth 3
	;; [unrolled: 1-line block ×4, first 2 shown]
	v_ashrrev_i32_e32 v3, 31, v2
	s_mov_b32 s24, exec_lo
	s_delay_alu instid0(VALU_DEP_1) | instskip(NEXT) | instid1(VALU_DEP_1)
	v_lshlrev_b64 v[3:4], 2, v[2:3]
	v_add_co_u32 v3, vcc_lo, s26, v3
	s_delay_alu instid0(VALU_DEP_2) | instskip(SKIP_3) | instid1(VALU_DEP_1)
	v_add_co_ci_u32_e32 v4, vcc_lo, s27, v4, vcc_lo
	global_load_b32 v3, v[3:4], off
	s_waitcnt vmcnt(0)
	v_subrev_nc_u32_e32 v3, s36, v3
	v_ashrrev_i32_e32 v4, 31, v3
	s_delay_alu instid0(VALU_DEP_1) | instskip(NEXT) | instid1(VALU_DEP_1)
	v_lshlrev_b64 v[3:4], 2, v[3:4]
	v_add_co_u32 v3, vcc_lo, s30, v3
	s_delay_alu instid0(VALU_DEP_2)
	v_add_co_ci_u32_e32 v4, vcc_lo, s31, v4, vcc_lo
	global_load_b64 v[3:4], v[3:4], off
	s_waitcnt vmcnt(0)
	v_cmpx_lt_i32_e64 v3, v4
	s_cbranch_execz .LBB45_24
; %bb.26:                               ;   in Loop: Header=BB45_25 Depth=1
	v_lshlrev_b32_e32 v5, 2, v2
	v_subrev_nc_u32_e32 v21, s37, v4
	v_subrev_nc_u32_e32 v3, s37, v3
	s_mov_b32 s25, 0
	s_delay_alu instid0(VALU_DEP_3) | instskip(SKIP_2) | instid1(VALU_DEP_3)
	v_or_b32_e32 v7, s20, v5
	v_ashrrev_i32_e32 v6, 31, v5
	v_or_b32_e32 v9, s21, v5
	v_ashrrev_i32_e32 v8, 31, v7
	s_delay_alu instid0(VALU_DEP_3) | instskip(NEXT) | instid1(VALU_DEP_3)
	v_lshlrev_b64 v[5:6], 3, v[5:6]
	v_ashrrev_i32_e32 v10, 31, v9
	s_delay_alu instid0(VALU_DEP_3) | instskip(NEXT) | instid1(VALU_DEP_3)
	v_lshlrev_b64 v[7:8], 3, v[7:8]
	v_add_co_u32 v5, vcc_lo, s28, v5
	s_delay_alu instid0(VALU_DEP_3) | instskip(SKIP_1) | instid1(VALU_DEP_4)
	v_lshlrev_b64 v[9:10], 3, v[9:10]
	v_add_co_ci_u32_e32 v6, vcc_lo, s29, v6, vcc_lo
	v_add_co_u32 v7, vcc_lo, s28, v7
	v_add_co_ci_u32_e32 v8, vcc_lo, s29, v8, vcc_lo
	s_delay_alu instid0(VALU_DEP_4)
	v_add_co_u32 v9, vcc_lo, s28, v9
	global_load_b64 v[22:23], v[5:6], off
	v_add_co_ci_u32_e32 v10, vcc_lo, s29, v10, vcc_lo
	s_clause 0x2
	global_load_b64 v[7:8], v[7:8], off
	global_load_b64 v[9:10], v[9:10], off
	global_load_b64 v[5:6], v[5:6], off offset:24
	s_waitcnt vmcnt(3)
	v_mul_f32_e32 v20, s33, v23
	v_mul_f32_e64 v19, v23, -s13
	s_waitcnt vmcnt(2)
	v_mul_f32_e32 v23, s33, v8
	s_waitcnt vmcnt(1)
	v_mul_f32_e64 v27, v10, -s13
	v_fmac_f32_e32 v20, s13, v22
	v_fmac_f32_e32 v19, s33, v22
	v_mul_f32_e64 v22, v8, -s13
	s_waitcnt vmcnt(0)
	v_dual_mul_f32 v24, s33, v6 :: v_dual_fmac_f32 v23, s13, v7
	v_mul_f32_e64 v25, v6, -s13
	v_mul_f32_e32 v26, s33, v10
	v_fmac_f32_e32 v22, s33, v7
	s_delay_alu instid0(VALU_DEP_4)
	v_fmac_f32_e32 v24, s13, v5
	v_fmac_f32_e32 v27, s33, v9
	;; [unrolled: 1-line block ×4, first 2 shown]
	s_branch .LBB45_28
.LBB45_27:                              ;   in Loop: Header=BB45_28 Depth=2
	s_or_b32 exec_lo, exec_lo, s35
	v_add_nc_u32_e32 v3, 1, v3
	s_delay_alu instid0(VALU_DEP_1) | instskip(SKIP_1) | instid1(SALU_CYCLE_1)
	v_cmp_ge_i32_e32 vcc_lo, v3, v21
	s_or_b32 s25, vcc_lo, s25
	s_and_not1_b32 exec_lo, exec_lo, s25
	s_cbranch_execz .LBB45_24
.LBB45_28:                              ;   Parent Loop BB45_25 Depth=1
                                        ; =>  This Loop Header: Depth=2
                                        ;       Child Loop BB45_30 Depth 3
                                        ;       Child Loop BB45_42 Depth 3
	;; [unrolled: 1-line block ×4, first 2 shown]
	v_lshlrev_b32_e32 v5, 2, v3
	v_ashrrev_i32_e32 v4, 31, v3
	s_mov_b32 s35, 0
	s_delay_alu instid0(VALU_DEP_2) | instskip(NEXT) | instid1(VALU_DEP_2)
	v_or_b32_e32 v6, s20, v5
	v_lshlrev_b64 v[30:31], 2, v[3:4]
	v_or_b32_e32 v28, s21, v5
	s_delay_alu instid0(VALU_DEP_3) | instskip(NEXT) | instid1(VALU_DEP_2)
	v_ashrrev_i32_e32 v7, 31, v6
	v_ashrrev_i32_e32 v29, 31, v28
	s_delay_alu instid0(VALU_DEP_2) | instskip(SKIP_1) | instid1(VALU_DEP_1)
	v_lshlrev_b64 v[7:8], 3, v[6:7]
	v_ashrrev_i32_e32 v6, 31, v5
	v_lshlrev_b64 v[4:5], 3, v[5:6]
	s_delay_alu instid0(VALU_DEP_3) | instskip(NEXT) | instid1(VALU_DEP_4)
	v_add_co_u32 v7, vcc_lo, s18, v7
	v_add_co_ci_u32_e32 v8, vcc_lo, s19, v8, vcc_lo
	v_add_co_u32 v6, vcc_lo, s16, v30
	global_load_b64 v[10:11], v[7:8], off
	v_add_co_ci_u32_e32 v7, vcc_lo, s17, v31, vcc_lo
	v_add_co_u32 v30, vcc_lo, s18, v4
	v_add_co_ci_u32_e32 v31, vcc_lo, s19, v5, vcc_lo
	global_load_b32 v32, v[6:7], off
	v_lshlrev_b64 v[4:5], 3, v[28:29]
	global_load_b64 v[8:9], v[30:31], off
	v_add_co_u32 v4, vcc_lo, s18, v4
	v_add_co_ci_u32_e32 v5, vcc_lo, s19, v5, vcc_lo
	s_clause 0x1
	global_load_b64 v[4:5], v[4:5], off
	global_load_b64 v[6:7], v[30:31], off offset:24
	s_waitcnt vmcnt(4)
	v_mul_f32_e64 v31, v11, -v26
	s_waitcnt vmcnt(3)
	v_subrev_nc_u32_e32 v28, s37, v32
	s_delay_alu instid0(VALU_DEP_1) | instskip(NEXT) | instid1(VALU_DEP_1)
	v_dual_mul_f32 v30, v27, v11 :: v_dual_and_b32 v29, 7, v28
	v_fmac_f32_e32 v30, v26, v10
	s_delay_alu instid0(VALU_DEP_2) | instskip(SKIP_1) | instid1(VALU_DEP_2)
	v_dual_fmac_f32 v31, v27, v10 :: v_dual_mov_b32 v32, v29
	s_waitcnt vmcnt(2)
	v_fmac_f32_e32 v30, v20, v8
	s_delay_alu instid0(VALU_DEP_2) | instskip(NEXT) | instid1(VALU_DEP_2)
	v_fmac_f32_e32 v31, v19, v8
	v_fmac_f32_e32 v30, v19, v9
	s_delay_alu instid0(VALU_DEP_2)
	v_fma_f32 v31, -v20, v9, v31
	s_branch .LBB45_30
.LBB45_29:                              ;   in Loop: Header=BB45_30 Depth=3
	s_or_b32 exec_lo, exec_lo, s41
	s_xor_b32 s41, s43, -1
	s_delay_alu instid0(SALU_CYCLE_1) | instskip(NEXT) | instid1(SALU_CYCLE_1)
	s_and_b32 s41, exec_lo, s41
	s_or_b32 s35, s41, s35
	s_delay_alu instid0(SALU_CYCLE_1)
	s_and_not1_b32 exec_lo, exec_lo, s35
	s_cbranch_execz .LBB45_40
.LBB45_30:                              ;   Parent Loop BB45_25 Depth=1
                                        ;     Parent Loop BB45_28 Depth=2
                                        ; =>    This Inner Loop Header: Depth=3
	v_lshl_add_u32 v33, v32, 2, v13
	s_mov_b32 s41, exec_lo
                                        ; implicit-def: $sgpr43
	ds_load_b32 v34, v33
	s_waitcnt lgkmcnt(0)
	v_cmpx_ne_u32_e64 v34, v28
	s_xor_b32 s41, exec_lo, s41
	s_cbranch_execz .LBB45_38
; %bb.31:                               ;   in Loop: Header=BB45_30 Depth=3
	s_mov_b32 s44, exec_lo
                                        ; implicit-def: $sgpr43
	v_cmpx_ne_u32_e64 s42, v34
	s_xor_b32 s44, exec_lo, s44
; %bb.32:                               ;   in Loop: Header=BB45_30 Depth=3
	v_add_nc_u32_e32 v32, 1, v32
	s_mov_b32 s43, -1
                                        ; implicit-def: $vgpr33
	s_delay_alu instid0(VALU_DEP_1)
	v_and_b32_e32 v32, 7, v32
; %bb.33:                               ;   in Loop: Header=BB45_30 Depth=3
	s_and_not1_saveexec_b32 s44, s44
	s_cbranch_execz .LBB45_37
; %bb.34:                               ;   in Loop: Header=BB45_30 Depth=3
	v_mov_b32_e32 v34, s42
	s_mov_b32 s45, -1
	s_mov_b32 s46, exec_lo
	ds_cmpstore_rtn_b32 v33, v33, v28, v34
	s_waitcnt lgkmcnt(0)
	v_cmpx_eq_u32_e64 s42, v33
	s_cbranch_execz .LBB45_36
; %bb.35:                               ;   in Loop: Header=BB45_30 Depth=3
	v_lshl_add_u32 v33, v32, 5, v14
	s_xor_b32 s45, exec_lo, -1
	ds_add_f32 v33, v31
	ds_add_f32 v33, v30 offset:4
.LBB45_36:                              ;   in Loop: Header=BB45_30 Depth=3
	s_or_b32 exec_lo, exec_lo, s46
	s_delay_alu instid0(SALU_CYCLE_1) | instskip(SKIP_1) | instid1(SALU_CYCLE_1)
	s_and_not1_b32 s43, s43, exec_lo
	s_and_b32 s45, s45, exec_lo
	s_or_b32 s43, s43, s45
.LBB45_37:                              ;   in Loop: Header=BB45_30 Depth=3
	s_or_b32 exec_lo, exec_lo, s44
	s_delay_alu instid0(SALU_CYCLE_1)
	s_and_b32 s43, s43, exec_lo
.LBB45_38:                              ;   in Loop: Header=BB45_30 Depth=3
	s_and_not1_saveexec_b32 s41, s41
	s_cbranch_execz .LBB45_29
; %bb.39:                               ;   in Loop: Header=BB45_30 Depth=3
	v_lshl_add_u32 v33, v32, 5, v14
	s_and_not1_b32 s43, s43, exec_lo
	ds_add_f32 v33, v31
	ds_add_f32 v33, v30 offset:4
	s_branch .LBB45_29
.LBB45_40:                              ;   in Loop: Header=BB45_28 Depth=2
	s_or_b32 exec_lo, exec_lo, s35
	s_waitcnt vmcnt(0)
	v_mul_f32_e64 v31, v7, -v26
	v_mul_f32_e32 v30, v27, v7
	v_mov_b32_e32 v32, v29
	s_mov_b32 s35, 0
	s_delay_alu instid0(VALU_DEP_2) | instskip(NEXT) | instid1(VALU_DEP_1)
	v_fmac_f32_e32 v30, v26, v6
	v_dual_fmac_f32 v31, v27, v6 :: v_dual_fmac_f32 v30, v20, v4
	s_delay_alu instid0(VALU_DEP_1) | instskip(NEXT) | instid1(VALU_DEP_2)
	v_fmac_f32_e32 v31, v19, v4
	v_fmac_f32_e32 v30, v19, v5
	s_delay_alu instid0(VALU_DEP_2)
	v_fma_f32 v31, -v20, v5, v31
	s_branch .LBB45_42
.LBB45_41:                              ;   in Loop: Header=BB45_42 Depth=3
	s_or_b32 exec_lo, exec_lo, s41
	s_xor_b32 s41, s43, -1
	s_delay_alu instid0(SALU_CYCLE_1) | instskip(NEXT) | instid1(SALU_CYCLE_1)
	s_and_b32 s41, exec_lo, s41
	s_or_b32 s35, s41, s35
	s_delay_alu instid0(SALU_CYCLE_1)
	s_and_not1_b32 exec_lo, exec_lo, s35
	s_cbranch_execz .LBB45_52
.LBB45_42:                              ;   Parent Loop BB45_25 Depth=1
                                        ;     Parent Loop BB45_28 Depth=2
                                        ; =>    This Inner Loop Header: Depth=3
	v_lshl_add_u32 v33, v32, 2, v13
	s_mov_b32 s41, exec_lo
                                        ; implicit-def: $sgpr43
	ds_load_b32 v34, v33
	s_waitcnt lgkmcnt(0)
	v_cmpx_ne_u32_e64 v34, v28
	s_xor_b32 s41, exec_lo, s41
	s_cbranch_execz .LBB45_50
; %bb.43:                               ;   in Loop: Header=BB45_42 Depth=3
	s_mov_b32 s44, exec_lo
                                        ; implicit-def: $sgpr43
	v_cmpx_ne_u32_e64 s42, v34
	s_xor_b32 s44, exec_lo, s44
; %bb.44:                               ;   in Loop: Header=BB45_42 Depth=3
	v_add_nc_u32_e32 v32, 1, v32
	s_mov_b32 s43, -1
                                        ; implicit-def: $vgpr33
	s_delay_alu instid0(VALU_DEP_1)
	v_and_b32_e32 v32, 7, v32
; %bb.45:                               ;   in Loop: Header=BB45_42 Depth=3
	s_and_not1_saveexec_b32 s44, s44
	s_cbranch_execz .LBB45_49
; %bb.46:                               ;   in Loop: Header=BB45_42 Depth=3
	v_mov_b32_e32 v34, s42
	s_mov_b32 s45, -1
	s_mov_b32 s46, exec_lo
	ds_cmpstore_rtn_b32 v33, v33, v28, v34
	s_waitcnt lgkmcnt(0)
	v_cmpx_eq_u32_e64 s42, v33
	s_cbranch_execz .LBB45_48
; %bb.47:                               ;   in Loop: Header=BB45_42 Depth=3
	v_lshl_add_u32 v33, v32, 5, v16
	s_xor_b32 s45, exec_lo, -1
	ds_add_f32 v33, v31
	ds_add_f32 v33, v30 offset:4
.LBB45_48:                              ;   in Loop: Header=BB45_42 Depth=3
	s_or_b32 exec_lo, exec_lo, s46
	s_delay_alu instid0(SALU_CYCLE_1) | instskip(SKIP_1) | instid1(SALU_CYCLE_1)
	s_and_not1_b32 s43, s43, exec_lo
	s_and_b32 s45, s45, exec_lo
	s_or_b32 s43, s43, s45
.LBB45_49:                              ;   in Loop: Header=BB45_42 Depth=3
	s_or_b32 exec_lo, exec_lo, s44
	s_delay_alu instid0(SALU_CYCLE_1)
	s_and_b32 s43, s43, exec_lo
.LBB45_50:                              ;   in Loop: Header=BB45_42 Depth=3
	s_and_not1_saveexec_b32 s41, s41
	s_cbranch_execz .LBB45_41
; %bb.51:                               ;   in Loop: Header=BB45_42 Depth=3
	v_lshl_add_u32 v33, v32, 5, v16
	s_and_not1_b32 s43, s43, exec_lo
	ds_add_f32 v33, v31
	ds_add_f32 v33, v30 offset:4
	s_branch .LBB45_41
.LBB45_52:                              ;   in Loop: Header=BB45_28 Depth=2
	s_or_b32 exec_lo, exec_lo, s35
	v_mul_f32_e64 v30, v11, -v24
	s_mov_b32 s35, 0
	s_delay_alu instid0(VALU_DEP_1) | instskip(NEXT) | instid1(VALU_DEP_1)
	v_fmac_f32_e32 v30, v25, v10
	v_dual_mul_f32 v11, v25, v11 :: v_dual_fmac_f32 v30, v22, v8
	s_delay_alu instid0(VALU_DEP_1) | instskip(NEXT) | instid1(VALU_DEP_1)
	v_fmac_f32_e32 v11, v24, v10
	v_fmac_f32_e32 v11, v23, v8
	s_delay_alu instid0(VALU_DEP_3) | instskip(NEXT) | instid1(VALU_DEP_2)
	v_fma_f32 v8, -v23, v9, v30
	v_fmac_f32_e32 v11, v22, v9
	v_mov_b32_e32 v9, v29
	s_branch .LBB45_54
.LBB45_53:                              ;   in Loop: Header=BB45_54 Depth=3
	s_or_b32 exec_lo, exec_lo, s41
	s_xor_b32 s41, s43, -1
	s_delay_alu instid0(SALU_CYCLE_1) | instskip(NEXT) | instid1(SALU_CYCLE_1)
	s_and_b32 s41, exec_lo, s41
	s_or_b32 s35, s41, s35
	s_delay_alu instid0(SALU_CYCLE_1)
	s_and_not1_b32 exec_lo, exec_lo, s35
	s_cbranch_execz .LBB45_64
.LBB45_54:                              ;   Parent Loop BB45_25 Depth=1
                                        ;     Parent Loop BB45_28 Depth=2
                                        ; =>    This Inner Loop Header: Depth=3
	s_delay_alu instid0(VALU_DEP_1)
	v_lshl_add_u32 v10, v9, 2, v13
	s_mov_b32 s41, exec_lo
                                        ; implicit-def: $sgpr43
	ds_load_b32 v30, v10
	s_waitcnt lgkmcnt(0)
	v_cmpx_ne_u32_e64 v30, v28
	s_xor_b32 s41, exec_lo, s41
	s_cbranch_execz .LBB45_62
; %bb.55:                               ;   in Loop: Header=BB45_54 Depth=3
	s_mov_b32 s44, exec_lo
                                        ; implicit-def: $sgpr43
	v_cmpx_ne_u32_e64 s42, v30
	s_xor_b32 s44, exec_lo, s44
; %bb.56:                               ;   in Loop: Header=BB45_54 Depth=3
	v_add_nc_u32_e32 v9, 1, v9
	s_mov_b32 s43, -1
                                        ; implicit-def: $vgpr10
	s_delay_alu instid0(VALU_DEP_1)
	v_and_b32_e32 v9, 7, v9
; %bb.57:                               ;   in Loop: Header=BB45_54 Depth=3
	s_and_not1_saveexec_b32 s44, s44
	s_cbranch_execz .LBB45_61
; %bb.58:                               ;   in Loop: Header=BB45_54 Depth=3
	v_mov_b32_e32 v30, s42
	s_mov_b32 s45, -1
	s_mov_b32 s46, exec_lo
	ds_cmpstore_rtn_b32 v10, v10, v28, v30
	s_waitcnt lgkmcnt(0)
	v_cmpx_eq_u32_e64 s42, v10
	s_cbranch_execz .LBB45_60
; %bb.59:                               ;   in Loop: Header=BB45_54 Depth=3
	v_lshl_add_u32 v10, v9, 5, v17
	s_xor_b32 s45, exec_lo, -1
	ds_add_f32 v10, v8
	ds_add_f32 v10, v11 offset:4
.LBB45_60:                              ;   in Loop: Header=BB45_54 Depth=3
	s_or_b32 exec_lo, exec_lo, s46
	s_delay_alu instid0(SALU_CYCLE_1) | instskip(SKIP_1) | instid1(SALU_CYCLE_1)
	s_and_not1_b32 s43, s43, exec_lo
	s_and_b32 s45, s45, exec_lo
	s_or_b32 s43, s43, s45
.LBB45_61:                              ;   in Loop: Header=BB45_54 Depth=3
	s_or_b32 exec_lo, exec_lo, s44
	s_delay_alu instid0(SALU_CYCLE_1)
	s_and_b32 s43, s43, exec_lo
.LBB45_62:                              ;   in Loop: Header=BB45_54 Depth=3
	s_and_not1_saveexec_b32 s41, s41
	s_cbranch_execz .LBB45_53
; %bb.63:                               ;   in Loop: Header=BB45_54 Depth=3
	v_lshl_add_u32 v10, v9, 5, v17
	s_and_not1_b32 s43, s43, exec_lo
	ds_add_f32 v10, v8
	ds_add_f32 v10, v11 offset:4
	s_branch .LBB45_53
.LBB45_64:                              ;   in Loop: Header=BB45_28 Depth=2
	s_or_b32 exec_lo, exec_lo, s35
	v_mul_f32_e64 v8, v7, -v24
	s_mov_b32 s35, 0
	s_delay_alu instid0(VALU_DEP_1) | instskip(NEXT) | instid1(VALU_DEP_1)
	v_fmac_f32_e32 v8, v25, v6
	v_dual_mul_f32 v7, v25, v7 :: v_dual_fmac_f32 v8, v22, v4
	s_delay_alu instid0(VALU_DEP_1) | instskip(NEXT) | instid1(VALU_DEP_1)
	v_fmac_f32_e32 v7, v24, v6
	v_fmac_f32_e32 v7, v23, v4
	s_delay_alu instid0(VALU_DEP_3) | instskip(NEXT) | instid1(VALU_DEP_2)
	v_fma_f32 v4, -v23, v5, v8
	v_fmac_f32_e32 v7, v22, v5
	s_branch .LBB45_66
.LBB45_65:                              ;   in Loop: Header=BB45_66 Depth=3
	s_or_b32 exec_lo, exec_lo, s41
	s_xor_b32 s41, s43, -1
	s_delay_alu instid0(SALU_CYCLE_1) | instskip(NEXT) | instid1(SALU_CYCLE_1)
	s_and_b32 s41, exec_lo, s41
	s_or_b32 s35, s41, s35
	s_delay_alu instid0(SALU_CYCLE_1)
	s_and_not1_b32 exec_lo, exec_lo, s35
	s_cbranch_execz .LBB45_27
.LBB45_66:                              ;   Parent Loop BB45_25 Depth=1
                                        ;     Parent Loop BB45_28 Depth=2
                                        ; =>    This Inner Loop Header: Depth=3
	v_lshl_add_u32 v5, v29, 2, v13
	s_mov_b32 s41, exec_lo
                                        ; implicit-def: $sgpr43
	ds_load_b32 v6, v5
	s_waitcnt lgkmcnt(0)
	v_cmpx_ne_u32_e64 v6, v28
	s_xor_b32 s41, exec_lo, s41
	s_cbranch_execz .LBB45_74
; %bb.67:                               ;   in Loop: Header=BB45_66 Depth=3
	s_mov_b32 s44, exec_lo
                                        ; implicit-def: $sgpr43
	v_cmpx_ne_u32_e64 s42, v6
	s_xor_b32 s44, exec_lo, s44
; %bb.68:                               ;   in Loop: Header=BB45_66 Depth=3
	v_add_nc_u32_e32 v5, 1, v29
	s_mov_b32 s43, -1
	s_delay_alu instid0(VALU_DEP_1)
	v_and_b32_e32 v29, 7, v5
                                        ; implicit-def: $vgpr5
; %bb.69:                               ;   in Loop: Header=BB45_66 Depth=3
	s_and_not1_saveexec_b32 s44, s44
	s_cbranch_execz .LBB45_73
; %bb.70:                               ;   in Loop: Header=BB45_66 Depth=3
	v_mov_b32_e32 v6, s42
	s_mov_b32 s45, -1
	s_mov_b32 s46, exec_lo
	ds_cmpstore_rtn_b32 v5, v5, v28, v6
	s_waitcnt lgkmcnt(0)
	v_cmpx_eq_u32_e64 s42, v5
	s_cbranch_execz .LBB45_72
; %bb.71:                               ;   in Loop: Header=BB45_66 Depth=3
	v_lshl_add_u32 v5, v29, 5, v18
	s_xor_b32 s45, exec_lo, -1
	ds_add_f32 v5, v4
	ds_add_f32 v5, v7 offset:4
.LBB45_72:                              ;   in Loop: Header=BB45_66 Depth=3
	s_or_b32 exec_lo, exec_lo, s46
	s_delay_alu instid0(SALU_CYCLE_1) | instskip(SKIP_1) | instid1(SALU_CYCLE_1)
	s_and_not1_b32 s43, s43, exec_lo
	s_and_b32 s45, s45, exec_lo
	s_or_b32 s43, s43, s45
.LBB45_73:                              ;   in Loop: Header=BB45_66 Depth=3
	s_or_b32 exec_lo, exec_lo, s44
	s_delay_alu instid0(SALU_CYCLE_1)
	s_and_b32 s43, s43, exec_lo
.LBB45_74:                              ;   in Loop: Header=BB45_66 Depth=3
	s_and_not1_saveexec_b32 s41, s41
	s_cbranch_execz .LBB45_65
; %bb.75:                               ;   in Loop: Header=BB45_66 Depth=3
	v_lshl_add_u32 v5, v29, 5, v18
	s_and_not1_b32 s43, s43, exec_lo
	ds_add_f32 v5, v4
	ds_add_f32 v5, v7 offset:4
	s_branch .LBB45_65
.LBB45_76:
	s_or_b32 exec_lo, exec_lo, s1
	s_delay_alu instid0(SALU_CYCLE_1)
	s_and_not1_b32 vcc_lo, exec_lo, s34
	s_waitcnt lgkmcnt(0)
	buffer_gl0_inv
	s_cbranch_vccnz .LBB45_20
.LBB45_77:
	v_lshlrev_b64 v[2:3], 2, v[0:1]
	v_subrev_nc_u32_e32 v4, s39, v12
	s_mov_b32 s1, exec_lo
	s_delay_alu instid0(VALU_DEP_2) | instskip(NEXT) | instid1(VALU_DEP_3)
	v_add_co_u32 v2, vcc_lo, s22, v2
	v_add_co_ci_u32_e32 v3, vcc_lo, s23, v3, vcc_lo
	global_load_b64 v[2:3], v[2:3], off
	s_waitcnt vmcnt(0)
	v_subrev_nc_u32_e32 v9, s39, v3
	v_add_nc_u32_e32 v2, v2, v4
	s_delay_alu instid0(VALU_DEP_1)
	v_cmpx_lt_i32_e64 v2, v9
	s_cbranch_execz .LBB45_128
; %bb.78:
	v_add_nc_u32_e32 v10, 8, v14
	v_add_nc_u32_e32 v11, 16, v14
	;; [unrolled: 1-line block ×3, first 2 shown]
	s_cmp_eq_u32 s40, 0
	s_mov_b32 s13, 0
	s_cselect_b32 s15, 1, 2
	s_cselect_b32 s16, 2, 1
	s_branch .LBB45_80
.LBB45_79:                              ;   in Loop: Header=BB45_80 Depth=1
	s_or_b32 exec_lo, exec_lo, s17
	v_add_nc_u32_e32 v2, 16, v2
	s_delay_alu instid0(VALU_DEP_1) | instskip(SKIP_1) | instid1(SALU_CYCLE_1)
	v_cmp_ge_i32_e32 vcc_lo, v2, v9
	s_or_b32 s13, vcc_lo, s13
	s_and_not1_b32 exec_lo, exec_lo, s13
	s_cbranch_execz .LBB45_128
.LBB45_80:                              ; =>This Loop Header: Depth=1
                                        ;     Child Loop BB45_82 Depth 2
                                        ;     Child Loop BB45_94 Depth 2
	;; [unrolled: 1-line block ×4, first 2 shown]
	v_lshlrev_b32_e32 v4, 2, v2
	v_ashrrev_i32_e32 v3, 31, v2
	s_mov_b32 s17, 0
	s_delay_alu instid0(VALU_DEP_2) | instskip(NEXT) | instid1(VALU_DEP_2)
	v_ashrrev_i32_e32 v5, 31, v4
	v_lshlrev_b64 v[18:19], 2, v[2:3]
	v_or_b32_e32 v6, s15, v4
	v_or_b32_e32 v16, s16, v4
	s_delay_alu instid0(VALU_DEP_4) | instskip(NEXT) | instid1(VALU_DEP_4)
	v_lshlrev_b64 v[3:4], 3, v[4:5]
	v_add_co_u32 v18, vcc_lo, s4, v18
	s_delay_alu instid0(VALU_DEP_4)
	v_ashrrev_i32_e32 v7, 31, v6
	v_add_co_ci_u32_e32 v19, vcc_lo, s5, v19, vcc_lo
	v_ashrrev_i32_e32 v17, 31, v16
	v_add_co_u32 v3, vcc_lo, s6, v3
	v_add_co_ci_u32_e32 v4, vcc_lo, s7, v4, vcc_lo
	v_lshlrev_b64 v[5:6], 3, v[6:7]
	global_load_b32 v18, v[18:19], off
	v_lshlrev_b64 v[7:8], 3, v[16:17]
	global_load_b64 v[20:21], v[3:4], off
	v_add_co_u32 v5, vcc_lo, s6, v5
	v_add_co_ci_u32_e32 v6, vcc_lo, s7, v6, vcc_lo
	v_add_co_u32 v16, vcc_lo, s6, v7
	v_add_co_ci_u32_e32 v17, vcc_lo, s7, v8, vcc_lo
	s_clause 0x2
	global_load_b64 v[3:4], v[3:4], off offset:24
	global_load_b64 v[7:8], v[5:6], off
	global_load_b64 v[5:6], v[16:17], off
	s_waitcnt vmcnt(4)
	v_subrev_nc_u32_e32 v16, s39, v18
	s_waitcnt vmcnt(3)
	v_mul_f32_e32 v19, s12, v21
	v_mul_f32_e64 v18, v21, -s14
	s_delay_alu instid0(VALU_DEP_3) | instskip(NEXT) | instid1(VALU_DEP_3)
	v_and_b32_e32 v17, 7, v16
	v_fmac_f32_e32 v19, s14, v20
	s_delay_alu instid0(VALU_DEP_3) | instskip(NEXT) | instid1(VALU_DEP_3)
	v_fmac_f32_e32 v18, s12, v20
	v_mov_b32_e32 v20, v17
	s_branch .LBB45_82
.LBB45_81:                              ;   in Loop: Header=BB45_82 Depth=2
	s_or_b32 exec_lo, exec_lo, s18
	s_xor_b32 s18, s19, -1
	s_delay_alu instid0(SALU_CYCLE_1) | instskip(NEXT) | instid1(SALU_CYCLE_1)
	s_and_b32 s18, exec_lo, s18
	s_or_b32 s17, s18, s17
	s_delay_alu instid0(SALU_CYCLE_1)
	s_and_not1_b32 exec_lo, exec_lo, s17
	s_cbranch_execz .LBB45_92
.LBB45_82:                              ;   Parent Loop BB45_80 Depth=1
                                        ; =>  This Inner Loop Header: Depth=2
	s_delay_alu instid0(VALU_DEP_1)
	v_lshl_add_u32 v21, v20, 2, v13
	s_mov_b32 s18, exec_lo
                                        ; implicit-def: $sgpr19
	ds_load_b32 v22, v21
	s_waitcnt lgkmcnt(0)
	v_cmpx_ne_u32_e64 v22, v16
	s_xor_b32 s18, exec_lo, s18
	s_cbranch_execz .LBB45_90
; %bb.83:                               ;   in Loop: Header=BB45_82 Depth=2
	s_mov_b32 s20, exec_lo
                                        ; implicit-def: $sgpr19
	v_cmpx_ne_u32_e64 s42, v22
	s_xor_b32 s20, exec_lo, s20
; %bb.84:                               ;   in Loop: Header=BB45_82 Depth=2
	v_add_nc_u32_e32 v20, 1, v20
	s_mov_b32 s19, -1
                                        ; implicit-def: $vgpr21
	s_delay_alu instid0(VALU_DEP_1)
	v_and_b32_e32 v20, 7, v20
; %bb.85:                               ;   in Loop: Header=BB45_82 Depth=2
	s_and_not1_saveexec_b32 s20, s20
	s_cbranch_execz .LBB45_89
; %bb.86:                               ;   in Loop: Header=BB45_82 Depth=2
	v_mov_b32_e32 v22, s42
	s_mov_b32 s21, -1
	s_mov_b32 s22, exec_lo
	ds_cmpstore_rtn_b32 v21, v21, v16, v22
	s_waitcnt lgkmcnt(0)
	v_cmpx_eq_u32_e64 s42, v21
	s_cbranch_execz .LBB45_88
; %bb.87:                               ;   in Loop: Header=BB45_82 Depth=2
	v_lshl_add_u32 v21, v20, 5, v14
	s_xor_b32 s21, exec_lo, -1
	ds_add_f32 v21, v18
	ds_add_f32 v21, v19 offset:4
.LBB45_88:                              ;   in Loop: Header=BB45_82 Depth=2
	s_or_b32 exec_lo, exec_lo, s22
	s_delay_alu instid0(SALU_CYCLE_1) | instskip(SKIP_1) | instid1(SALU_CYCLE_1)
	s_and_not1_b32 s19, s19, exec_lo
	s_and_b32 s21, s21, exec_lo
	s_or_b32 s19, s19, s21
.LBB45_89:                              ;   in Loop: Header=BB45_82 Depth=2
	s_or_b32 exec_lo, exec_lo, s20
	s_delay_alu instid0(SALU_CYCLE_1)
	s_and_b32 s19, s19, exec_lo
.LBB45_90:                              ;   in Loop: Header=BB45_82 Depth=2
	s_and_not1_saveexec_b32 s18, s18
	s_cbranch_execz .LBB45_81
; %bb.91:                               ;   in Loop: Header=BB45_82 Depth=2
	v_lshl_add_u32 v21, v20, 5, v14
	s_and_not1_b32 s19, s19, exec_lo
	ds_add_f32 v21, v18
	ds_add_f32 v21, v19 offset:4
	s_branch .LBB45_81
.LBB45_92:                              ;   in Loop: Header=BB45_80 Depth=1
	s_or_b32 exec_lo, exec_lo, s17
	s_waitcnt vmcnt(1)
	v_mul_f32_e64 v18, v8, -s14
	v_mul_f32_e32 v8, s12, v8
	s_mov_b32 s17, 0
	s_delay_alu instid0(VALU_DEP_2) | instskip(NEXT) | instid1(VALU_DEP_2)
	v_fmac_f32_e32 v18, s12, v7
	v_dual_fmac_f32 v8, s14, v7 :: v_dual_mov_b32 v7, v17
	s_branch .LBB45_94
.LBB45_93:                              ;   in Loop: Header=BB45_94 Depth=2
	s_or_b32 exec_lo, exec_lo, s18
	s_xor_b32 s18, s19, -1
	s_delay_alu instid0(SALU_CYCLE_1) | instskip(NEXT) | instid1(SALU_CYCLE_1)
	s_and_b32 s18, exec_lo, s18
	s_or_b32 s17, s18, s17
	s_delay_alu instid0(SALU_CYCLE_1)
	s_and_not1_b32 exec_lo, exec_lo, s17
	s_cbranch_execz .LBB45_104
.LBB45_94:                              ;   Parent Loop BB45_80 Depth=1
                                        ; =>  This Inner Loop Header: Depth=2
	s_delay_alu instid0(VALU_DEP_1)
	v_lshl_add_u32 v19, v7, 2, v13
	s_mov_b32 s18, exec_lo
                                        ; implicit-def: $sgpr19
	ds_load_b32 v20, v19
	s_waitcnt lgkmcnt(0)
	v_cmpx_ne_u32_e64 v20, v16
	s_xor_b32 s18, exec_lo, s18
	s_cbranch_execz .LBB45_102
; %bb.95:                               ;   in Loop: Header=BB45_94 Depth=2
	s_mov_b32 s20, exec_lo
                                        ; implicit-def: $sgpr19
	v_cmpx_ne_u32_e64 s42, v20
	s_xor_b32 s20, exec_lo, s20
; %bb.96:                               ;   in Loop: Header=BB45_94 Depth=2
	v_add_nc_u32_e32 v7, 1, v7
	s_mov_b32 s19, -1
                                        ; implicit-def: $vgpr19
	s_delay_alu instid0(VALU_DEP_1)
	v_and_b32_e32 v7, 7, v7
; %bb.97:                               ;   in Loop: Header=BB45_94 Depth=2
	s_and_not1_saveexec_b32 s20, s20
	s_cbranch_execz .LBB45_101
; %bb.98:                               ;   in Loop: Header=BB45_94 Depth=2
	v_mov_b32_e32 v20, s42
	s_mov_b32 s21, -1
	s_mov_b32 s22, exec_lo
	ds_cmpstore_rtn_b32 v19, v19, v16, v20
	s_waitcnt lgkmcnt(0)
	v_cmpx_eq_u32_e64 s42, v19
	s_cbranch_execz .LBB45_100
; %bb.99:                               ;   in Loop: Header=BB45_94 Depth=2
	v_lshl_add_u32 v19, v7, 5, v10
	s_xor_b32 s21, exec_lo, -1
	ds_add_f32 v19, v18
	ds_add_f32 v19, v8 offset:4
.LBB45_100:                             ;   in Loop: Header=BB45_94 Depth=2
	s_or_b32 exec_lo, exec_lo, s22
	s_delay_alu instid0(SALU_CYCLE_1) | instskip(SKIP_1) | instid1(SALU_CYCLE_1)
	s_and_not1_b32 s19, s19, exec_lo
	s_and_b32 s21, s21, exec_lo
	s_or_b32 s19, s19, s21
.LBB45_101:                             ;   in Loop: Header=BB45_94 Depth=2
	s_or_b32 exec_lo, exec_lo, s20
	s_delay_alu instid0(SALU_CYCLE_1)
	s_and_b32 s19, s19, exec_lo
.LBB45_102:                             ;   in Loop: Header=BB45_94 Depth=2
	s_and_not1_saveexec_b32 s18, s18
	s_cbranch_execz .LBB45_93
; %bb.103:                              ;   in Loop: Header=BB45_94 Depth=2
	v_lshl_add_u32 v19, v7, 5, v10
	s_and_not1_b32 s19, s19, exec_lo
	ds_add_f32 v19, v18
	ds_add_f32 v19, v8 offset:4
	s_branch .LBB45_93
.LBB45_104:                             ;   in Loop: Header=BB45_80 Depth=1
	s_or_b32 exec_lo, exec_lo, s17
	s_waitcnt vmcnt(0)
	v_mul_f32_e64 v7, v6, -s14
	v_mul_f32_e32 v6, s12, v6
	s_mov_b32 s17, 0
	s_delay_alu instid0(VALU_DEP_2) | instskip(NEXT) | instid1(VALU_DEP_2)
	v_fmac_f32_e32 v7, s12, v5
	v_dual_fmac_f32 v6, s14, v5 :: v_dual_mov_b32 v5, v17
	s_branch .LBB45_106
.LBB45_105:                             ;   in Loop: Header=BB45_106 Depth=2
	s_or_b32 exec_lo, exec_lo, s18
	s_xor_b32 s18, s19, -1
	s_delay_alu instid0(SALU_CYCLE_1) | instskip(NEXT) | instid1(SALU_CYCLE_1)
	s_and_b32 s18, exec_lo, s18
	s_or_b32 s17, s18, s17
	s_delay_alu instid0(SALU_CYCLE_1)
	s_and_not1_b32 exec_lo, exec_lo, s17
	s_cbranch_execz .LBB45_116
.LBB45_106:                             ;   Parent Loop BB45_80 Depth=1
                                        ; =>  This Inner Loop Header: Depth=2
	s_delay_alu instid0(VALU_DEP_1)
	v_lshl_add_u32 v8, v5, 2, v13
	s_mov_b32 s18, exec_lo
                                        ; implicit-def: $sgpr19
	ds_load_b32 v18, v8
	s_waitcnt lgkmcnt(0)
	v_cmpx_ne_u32_e64 v18, v16
	s_xor_b32 s18, exec_lo, s18
	s_cbranch_execz .LBB45_114
; %bb.107:                              ;   in Loop: Header=BB45_106 Depth=2
	s_mov_b32 s20, exec_lo
                                        ; implicit-def: $sgpr19
	v_cmpx_ne_u32_e64 s42, v18
	s_xor_b32 s20, exec_lo, s20
; %bb.108:                              ;   in Loop: Header=BB45_106 Depth=2
	v_add_nc_u32_e32 v5, 1, v5
	s_mov_b32 s19, -1
                                        ; implicit-def: $vgpr8
	s_delay_alu instid0(VALU_DEP_1)
	v_and_b32_e32 v5, 7, v5
; %bb.109:                              ;   in Loop: Header=BB45_106 Depth=2
	s_and_not1_saveexec_b32 s20, s20
	s_cbranch_execz .LBB45_113
; %bb.110:                              ;   in Loop: Header=BB45_106 Depth=2
	v_mov_b32_e32 v18, s42
	s_mov_b32 s21, -1
	s_mov_b32 s22, exec_lo
	ds_cmpstore_rtn_b32 v8, v8, v16, v18
	s_waitcnt lgkmcnt(0)
	v_cmpx_eq_u32_e64 s42, v8
	s_cbranch_execz .LBB45_112
; %bb.111:                              ;   in Loop: Header=BB45_106 Depth=2
	v_lshl_add_u32 v8, v5, 5, v11
	s_xor_b32 s21, exec_lo, -1
	ds_add_f32 v8, v7
	ds_add_f32 v8, v6 offset:4
.LBB45_112:                             ;   in Loop: Header=BB45_106 Depth=2
	s_or_b32 exec_lo, exec_lo, s22
	s_delay_alu instid0(SALU_CYCLE_1) | instskip(SKIP_1) | instid1(SALU_CYCLE_1)
	s_and_not1_b32 s19, s19, exec_lo
	s_and_b32 s21, s21, exec_lo
	s_or_b32 s19, s19, s21
.LBB45_113:                             ;   in Loop: Header=BB45_106 Depth=2
	s_or_b32 exec_lo, exec_lo, s20
	s_delay_alu instid0(SALU_CYCLE_1)
	s_and_b32 s19, s19, exec_lo
.LBB45_114:                             ;   in Loop: Header=BB45_106 Depth=2
	s_and_not1_saveexec_b32 s18, s18
	s_cbranch_execz .LBB45_105
; %bb.115:                              ;   in Loop: Header=BB45_106 Depth=2
	v_lshl_add_u32 v8, v5, 5, v11
	s_and_not1_b32 s19, s19, exec_lo
	ds_add_f32 v8, v7
	ds_add_f32 v8, v6 offset:4
	s_branch .LBB45_105
.LBB45_116:                             ;   in Loop: Header=BB45_80 Depth=1
	s_or_b32 exec_lo, exec_lo, s17
	v_mul_f32_e64 v5, v4, -s14
	v_mul_f32_e32 v4, s12, v4
	s_mov_b32 s17, 0
	s_delay_alu instid0(VALU_DEP_2) | instskip(NEXT) | instid1(VALU_DEP_2)
	v_fmac_f32_e32 v5, s12, v3
	v_fmac_f32_e32 v4, s14, v3
	s_branch .LBB45_118
.LBB45_117:                             ;   in Loop: Header=BB45_118 Depth=2
	s_or_b32 exec_lo, exec_lo, s18
	s_xor_b32 s18, s19, -1
	s_delay_alu instid0(SALU_CYCLE_1) | instskip(NEXT) | instid1(SALU_CYCLE_1)
	s_and_b32 s18, exec_lo, s18
	s_or_b32 s17, s18, s17
	s_delay_alu instid0(SALU_CYCLE_1)
	s_and_not1_b32 exec_lo, exec_lo, s17
	s_cbranch_execz .LBB45_79
.LBB45_118:                             ;   Parent Loop BB45_80 Depth=1
                                        ; =>  This Inner Loop Header: Depth=2
	v_lshl_add_u32 v3, v17, 2, v13
	s_mov_b32 s18, exec_lo
                                        ; implicit-def: $sgpr19
	ds_load_b32 v6, v3
	s_waitcnt lgkmcnt(0)
	v_cmpx_ne_u32_e64 v6, v16
	s_xor_b32 s18, exec_lo, s18
	s_cbranch_execz .LBB45_126
; %bb.119:                              ;   in Loop: Header=BB45_118 Depth=2
	s_mov_b32 s20, exec_lo
                                        ; implicit-def: $sgpr19
	v_cmpx_ne_u32_e64 s42, v6
	s_xor_b32 s20, exec_lo, s20
; %bb.120:                              ;   in Loop: Header=BB45_118 Depth=2
	v_add_nc_u32_e32 v3, 1, v17
	s_mov_b32 s19, -1
	s_delay_alu instid0(VALU_DEP_1)
	v_and_b32_e32 v17, 7, v3
                                        ; implicit-def: $vgpr3
; %bb.121:                              ;   in Loop: Header=BB45_118 Depth=2
	s_and_not1_saveexec_b32 s20, s20
	s_cbranch_execz .LBB45_125
; %bb.122:                              ;   in Loop: Header=BB45_118 Depth=2
	v_mov_b32_e32 v6, s42
	s_mov_b32 s21, -1
	s_mov_b32 s22, exec_lo
	ds_cmpstore_rtn_b32 v3, v3, v16, v6
	s_waitcnt lgkmcnt(0)
	v_cmpx_eq_u32_e64 s42, v3
	s_cbranch_execz .LBB45_124
; %bb.123:                              ;   in Loop: Header=BB45_118 Depth=2
	v_lshl_add_u32 v3, v17, 5, v15
	s_xor_b32 s21, exec_lo, -1
	ds_add_f32 v3, v5
	ds_add_f32 v3, v4 offset:4
.LBB45_124:                             ;   in Loop: Header=BB45_118 Depth=2
	s_or_b32 exec_lo, exec_lo, s22
	s_delay_alu instid0(SALU_CYCLE_1) | instskip(SKIP_1) | instid1(SALU_CYCLE_1)
	s_and_not1_b32 s19, s19, exec_lo
	s_and_b32 s21, s21, exec_lo
	s_or_b32 s19, s19, s21
.LBB45_125:                             ;   in Loop: Header=BB45_118 Depth=2
	s_or_b32 exec_lo, exec_lo, s20
	s_delay_alu instid0(SALU_CYCLE_1)
	s_and_b32 s19, s19, exec_lo
.LBB45_126:                             ;   in Loop: Header=BB45_118 Depth=2
	s_and_not1_saveexec_b32 s18, s18
	s_cbranch_execz .LBB45_117
; %bb.127:                              ;   in Loop: Header=BB45_118 Depth=2
	v_lshl_add_u32 v3, v17, 5, v15
	s_and_not1_b32 s19, s19, exec_lo
	ds_add_f32 v3, v5
	ds_add_f32 v3, v4 offset:4
	s_branch .LBB45_117
.LBB45_128:
	s_or_b32 exec_lo, exec_lo, s1
	s_waitcnt lgkmcnt(0)
	buffer_gl0_inv
	s_and_b32 exec_lo, exec_lo, s0
	s_cbranch_execz .LBB45_21
.LBB45_129:
	v_lshl_add_u32 v2, v12, 2, v13
	ds_load_b32 v2, v2
	s_waitcnt lgkmcnt(0)
	v_cmp_gt_i32_e32 vcc_lo, s42, v2
	s_and_b32 exec_lo, exec_lo, vcc_lo
	s_cbranch_execz .LBB45_21
; %bb.130:
	v_lshlrev_b64 v[0:1], 2, v[0:1]
	s_cmp_eq_u32 s40, 0
	s_cselect_b32 s1, 2, 1
	s_cselect_b32 s0, 1, 2
	s_delay_alu instid0(VALU_DEP_1) | instskip(NEXT) | instid1(VALU_DEP_2)
	v_add_co_u32 v0, vcc_lo, s8, v0
	v_add_co_ci_u32_e32 v1, vcc_lo, s9, v1, vcc_lo
	global_load_b32 v0, v[0:1], off
	ds_load_b128 v[3:6], v13
	ds_load_b128 v[7:10], v13 offset:16
	v_lshl_add_u32 v1, v12, 5, v14
	ds_load_2addr_b64 v[15:18], v1 offset1:3
	v_lshlrev_b32_e32 v11, 2, v12
	s_waitcnt lgkmcnt(2)
	v_cmp_gt_i32_e32 vcc_lo, v2, v3
	v_cndmask_b32_e64 v1, 0, 1, vcc_lo
	v_cmp_gt_i32_e32 vcc_lo, v2, v5
	v_cndmask_b32_e64 v3, 0, 1, vcc_lo
	v_cmp_gt_i32_e32 vcc_lo, v2, v4
	v_or_b32_e32 v4, s1, v11
	s_waitcnt vmcnt(0)
	v_subrev_nc_u32_e32 v0, s38, v0
	s_delay_alu instid0(VALU_DEP_1)
	v_add_co_ci_u32_e32 v0, vcc_lo, v0, v1, vcc_lo
	s_waitcnt lgkmcnt(1)
	v_cmp_gt_i32_e32 vcc_lo, v2, v7
	v_cndmask_b32_e64 v1, 0, 1, vcc_lo
	v_cmp_gt_i32_e32 vcc_lo, v2, v6
	v_add_co_ci_u32_e32 v0, vcc_lo, v0, v3, vcc_lo
	v_cmp_gt_i32_e32 vcc_lo, v2, v9
	v_cndmask_b32_e64 v3, 0, 1, vcc_lo
	v_cmp_gt_i32_e32 vcc_lo, v2, v8
	v_lshl_add_u32 v8, v4, 3, v14
	s_waitcnt lgkmcnt(0)
	v_mov_b32_e32 v4, v16
	v_add_co_ci_u32_e32 v0, vcc_lo, v0, v1, vcc_lo
	v_cmp_gt_i32_e32 vcc_lo, v2, v10
	v_or_b32_e32 v1, s0, v11
	v_add_nc_u32_e32 v2, s38, v2
	s_delay_alu instid0(VALU_DEP_4) | instskip(NEXT) | instid1(VALU_DEP_3)
	v_add_co_ci_u32_e32 v0, vcc_lo, v0, v3, vcc_lo
	v_lshl_add_u32 v5, v1, 3, v14
	v_mov_b32_e32 v3, v15
	ds_load_b64 v[5:6], v5
	ds_load_b64 v[15:16], v8
	v_lshlrev_b32_e32 v7, 2, v0
	v_ashrrev_i32_e32 v1, 31, v0
	s_delay_alu instid0(VALU_DEP_2) | instskip(NEXT) | instid1(VALU_DEP_2)
	v_ashrrev_i32_e32 v8, 31, v7
	v_lshlrev_b64 v[0:1], 2, v[0:1]
	s_delay_alu instid0(VALU_DEP_2) | instskip(NEXT) | instid1(VALU_DEP_2)
	v_lshlrev_b64 v[7:8], 3, v[7:8]
	v_add_co_u32 v0, vcc_lo, s10, v0
	s_delay_alu instid0(VALU_DEP_3) | instskip(NEXT) | instid1(VALU_DEP_3)
	v_add_co_ci_u32_e32 v1, vcc_lo, s11, v1, vcc_lo
	v_add_co_u32 v7, vcc_lo, s2, v7
	s_delay_alu instid0(VALU_DEP_4)
	v_add_co_ci_u32_e32 v8, vcc_lo, s3, v8, vcc_lo
	global_store_b32 v[0:1], v2, off
	s_waitcnt lgkmcnt(1)
	global_store_b128 v[7:8], v[3:6], off
	s_waitcnt lgkmcnt(0)
	global_store_b128 v[7:8], v[15:18], off offset:16
	s_nop 0
	s_sendmsg sendmsg(MSG_DEALLOC_VGPRS)
	s_endpgm
	.section	.rodata,"a",@progbits
	.p2align	6, 0x0
	.amdhsa_kernel _ZN9rocsparseL27bsrgemm_fill_wf_per_row_2x2ILj256ELj16ELj8ELj137Eii21rocsparse_complex_numIfEEEv20rocsparse_direction_T4_S4_PKS4_S6_NS_24const_host_device_scalarIT5_EEPKT3_S6_PKS8_SC_S6_SE_S9_SC_S6_SE_SC_PS4_PS8_21rocsparse_index_base_SH_SH_SH_bbb
		.amdhsa_group_segment_fixed_size 4608
		.amdhsa_private_segment_fixed_size 0
		.amdhsa_kernarg_size 164
		.amdhsa_user_sgpr_count 15
		.amdhsa_user_sgpr_dispatch_ptr 0
		.amdhsa_user_sgpr_queue_ptr 0
		.amdhsa_user_sgpr_kernarg_segment_ptr 1
		.amdhsa_user_sgpr_dispatch_id 0
		.amdhsa_user_sgpr_private_segment_size 0
		.amdhsa_wavefront_size32 1
		.amdhsa_uses_dynamic_stack 0
		.amdhsa_enable_private_segment 0
		.amdhsa_system_sgpr_workgroup_id_x 1
		.amdhsa_system_sgpr_workgroup_id_y 0
		.amdhsa_system_sgpr_workgroup_id_z 0
		.amdhsa_system_sgpr_workgroup_info 0
		.amdhsa_system_vgpr_workitem_id 0
		.amdhsa_next_free_vgpr 35
		.amdhsa_next_free_sgpr 48
		.amdhsa_reserve_vcc 1
		.amdhsa_float_round_mode_32 0
		.amdhsa_float_round_mode_16_64 0
		.amdhsa_float_denorm_mode_32 3
		.amdhsa_float_denorm_mode_16_64 3
		.amdhsa_dx10_clamp 1
		.amdhsa_ieee_mode 1
		.amdhsa_fp16_overflow 0
		.amdhsa_workgroup_processor_mode 1
		.amdhsa_memory_ordered 1
		.amdhsa_forward_progress 0
		.amdhsa_shared_vgpr_count 0
		.amdhsa_exception_fp_ieee_invalid_op 0
		.amdhsa_exception_fp_denorm_src 0
		.amdhsa_exception_fp_ieee_div_zero 0
		.amdhsa_exception_fp_ieee_overflow 0
		.amdhsa_exception_fp_ieee_underflow 0
		.amdhsa_exception_fp_ieee_inexact 0
		.amdhsa_exception_int_div_zero 0
	.end_amdhsa_kernel
	.section	.text._ZN9rocsparseL27bsrgemm_fill_wf_per_row_2x2ILj256ELj16ELj8ELj137Eii21rocsparse_complex_numIfEEEv20rocsparse_direction_T4_S4_PKS4_S6_NS_24const_host_device_scalarIT5_EEPKT3_S6_PKS8_SC_S6_SE_S9_SC_S6_SE_SC_PS4_PS8_21rocsparse_index_base_SH_SH_SH_bbb,"axG",@progbits,_ZN9rocsparseL27bsrgemm_fill_wf_per_row_2x2ILj256ELj16ELj8ELj137Eii21rocsparse_complex_numIfEEEv20rocsparse_direction_T4_S4_PKS4_S6_NS_24const_host_device_scalarIT5_EEPKT3_S6_PKS8_SC_S6_SE_S9_SC_S6_SE_SC_PS4_PS8_21rocsparse_index_base_SH_SH_SH_bbb,comdat
.Lfunc_end45:
	.size	_ZN9rocsparseL27bsrgemm_fill_wf_per_row_2x2ILj256ELj16ELj8ELj137Eii21rocsparse_complex_numIfEEEv20rocsparse_direction_T4_S4_PKS4_S6_NS_24const_host_device_scalarIT5_EEPKT3_S6_PKS8_SC_S6_SE_S9_SC_S6_SE_SC_PS4_PS8_21rocsparse_index_base_SH_SH_SH_bbb, .Lfunc_end45-_ZN9rocsparseL27bsrgemm_fill_wf_per_row_2x2ILj256ELj16ELj8ELj137Eii21rocsparse_complex_numIfEEEv20rocsparse_direction_T4_S4_PKS4_S6_NS_24const_host_device_scalarIT5_EEPKT3_S6_PKS8_SC_S6_SE_S9_SC_S6_SE_SC_PS4_PS8_21rocsparse_index_base_SH_SH_SH_bbb
                                        ; -- End function
	.section	.AMDGPU.csdata,"",@progbits
; Kernel info:
; codeLenInByte = 4460
; NumSgprs: 50
; NumVgprs: 35
; ScratchSize: 0
; MemoryBound: 0
; FloatMode: 240
; IeeeMode: 1
; LDSByteSize: 4608 bytes/workgroup (compile time only)
; SGPRBlocks: 6
; VGPRBlocks: 4
; NumSGPRsForWavesPerEU: 50
; NumVGPRsForWavesPerEU: 35
; Occupancy: 16
; WaveLimiterHint : 1
; COMPUTE_PGM_RSRC2:SCRATCH_EN: 0
; COMPUTE_PGM_RSRC2:USER_SGPR: 15
; COMPUTE_PGM_RSRC2:TRAP_HANDLER: 0
; COMPUTE_PGM_RSRC2:TGID_X_EN: 1
; COMPUTE_PGM_RSRC2:TGID_Y_EN: 0
; COMPUTE_PGM_RSRC2:TGID_Z_EN: 0
; COMPUTE_PGM_RSRC2:TIDIG_COMP_CNT: 0
	.section	.text._ZN9rocsparseL27bsrgemm_fill_wf_per_row_2x2ILj256ELj16ELj16ELj137Eii21rocsparse_complex_numIfEEEv20rocsparse_direction_T4_S4_PKS4_S6_NS_24const_host_device_scalarIT5_EEPKT3_S6_PKS8_SC_S6_SE_S9_SC_S6_SE_SC_PS4_PS8_21rocsparse_index_base_SH_SH_SH_bbb,"axG",@progbits,_ZN9rocsparseL27bsrgemm_fill_wf_per_row_2x2ILj256ELj16ELj16ELj137Eii21rocsparse_complex_numIfEEEv20rocsparse_direction_T4_S4_PKS4_S6_NS_24const_host_device_scalarIT5_EEPKT3_S6_PKS8_SC_S6_SE_S9_SC_S6_SE_SC_PS4_PS8_21rocsparse_index_base_SH_SH_SH_bbb,comdat
	.globl	_ZN9rocsparseL27bsrgemm_fill_wf_per_row_2x2ILj256ELj16ELj16ELj137Eii21rocsparse_complex_numIfEEEv20rocsparse_direction_T4_S4_PKS4_S6_NS_24const_host_device_scalarIT5_EEPKT3_S6_PKS8_SC_S6_SE_S9_SC_S6_SE_SC_PS4_PS8_21rocsparse_index_base_SH_SH_SH_bbb ; -- Begin function _ZN9rocsparseL27bsrgemm_fill_wf_per_row_2x2ILj256ELj16ELj16ELj137Eii21rocsparse_complex_numIfEEEv20rocsparse_direction_T4_S4_PKS4_S6_NS_24const_host_device_scalarIT5_EEPKT3_S6_PKS8_SC_S6_SE_S9_SC_S6_SE_SC_PS4_PS8_21rocsparse_index_base_SH_SH_SH_bbb
	.p2align	8
	.type	_ZN9rocsparseL27bsrgemm_fill_wf_per_row_2x2ILj256ELj16ELj16ELj137Eii21rocsparse_complex_numIfEEEv20rocsparse_direction_T4_S4_PKS4_S6_NS_24const_host_device_scalarIT5_EEPKT3_S6_PKS8_SC_S6_SE_S9_SC_S6_SE_SC_PS4_PS8_21rocsparse_index_base_SH_SH_SH_bbb,@function
_ZN9rocsparseL27bsrgemm_fill_wf_per_row_2x2ILj256ELj16ELj16ELj137Eii21rocsparse_complex_numIfEEEv20rocsparse_direction_T4_S4_PKS4_S6_NS_24const_host_device_scalarIT5_EEPKT3_S6_PKS8_SC_S6_SE_S9_SC_S6_SE_SC_PS4_PS8_21rocsparse_index_base_SH_SH_SH_bbb: ; @_ZN9rocsparseL27bsrgemm_fill_wf_per_row_2x2ILj256ELj16ELj16ELj137Eii21rocsparse_complex_numIfEEEv20rocsparse_direction_T4_S4_PKS4_S6_NS_24const_host_device_scalarIT5_EEPKT3_S6_PKS8_SC_S6_SE_S9_SC_S6_SE_SC_PS4_PS8_21rocsparse_index_base_SH_SH_SH_bbb
; %bb.0:
	s_clause 0x6
	s_load_b32 s2, s[0:1], 0xa0
	s_load_b256 s[4:11], s[0:1], 0x68
	s_load_b256 s[16:23], s[0:1], 0x48
	s_load_b128 s[40:43], s[0:1], 0x10
	s_load_b256 s[24:31], s[0:1], 0x28
	s_load_b64 s[12:13], s[0:1], 0x88
	s_load_b128 s[36:39], s[0:1], 0x90
	s_mov_b32 s35, 0
	s_mov_b32 s44, 0
	s_waitcnt lgkmcnt(0)
	s_bitcmp1_b32 s2, 0
	s_cselect_b32 s45, -1, 0
	s_bitcmp1_b32 s2, 16
	s_cselect_b32 s3, -1, 0
	s_delay_alu instid0(SALU_CYCLE_1) | instskip(SKIP_2) | instid1(VALU_DEP_1)
	s_xor_b32 s3, s3, -1
	s_bitcmp0_b32 s2, 0
	v_cndmask_b32_e64 v1, 0, 1, s3
	v_cmp_ne_u32_e32 vcc_lo, 1, v1
	s_cbranch_scc1 .LBB46_5
; %bb.1:
	s_load_b64 s[34:35], s[0:1], 0x20
	s_and_b32 vcc_lo, exec_lo, vcc_lo
	s_waitcnt lgkmcnt(0)
	s_mov_b32 s44, s34
	s_cbranch_vccnz .LBB46_3
; %bb.2:
	s_load_b32 s44, s[34:35], 0x0
.LBB46_3:
	s_and_not1_b32 vcc_lo, exec_lo, s3
	s_cbranch_vccnz .LBB46_5
; %bb.4:
	s_load_b32 s35, s[34:35], 0x4
.LBB46_5:
	s_bitcmp1_b32 s2, 8
	s_mov_b32 s33, 0
	s_cselect_b32 s34, -1, 0
	s_bfe_u32 s2, s2, 0x10008
	s_mov_b32 s14, 0
	s_cmp_eq_u32 s2, 0
	s_cbranch_scc1 .LBB46_11
; %bb.6:
	v_cmp_ne_u32_e32 vcc_lo, 1, v1
	s_mov_b32 s14, s20
	s_cbranch_vccnz .LBB46_8
; %bb.7:
	s_load_b32 s14, s[20:21], 0x0
.LBB46_8:
	v_cmp_ne_u32_e32 vcc_lo, 1, v1
	s_cbranch_vccnz .LBB46_10
; %bb.9:
	s_load_b32 s21, s[20:21], 0x4
.LBB46_10:
	s_waitcnt lgkmcnt(0)
	s_mov_b32 s33, s21
.LBB46_11:
	s_load_b128 s[0:3], s[0:1], 0x0
	v_and_b32_e32 v1, 0xf0, v0
	v_and_b32_e32 v12, 15, v0
	v_lshrrev_b32_e32 v2, 4, v0
	v_mov_b32_e32 v0, 0
	s_waitcnt lgkmcnt(0)
	s_mov_b32 s3, 0
	v_lshl_or_b32 v13, v1, 2, 0x2000
	v_mov_b32_e32 v5, s2
	v_lshlrev_b32_e32 v1, 3, v12
	v_or_b32_e32 v3, -16, v12
	s_delay_alu instid0(VALU_DEP_4) | instskip(NEXT) | instid1(VALU_DEP_3)
	v_lshl_or_b32 v15, v12, 2, v13
	v_lshl_or_b32 v4, v2, 9, v1
	v_mov_b32_e32 v1, v0
	ds_store_b32 v15, v5
.LBB46_12:                              ; =>This Inner Loop Header: Depth=1
	v_add_nc_u32_e32 v3, 16, v3
	ds_store_b64 v4, v[0:1]
	v_add_nc_u32_e32 v4, 0x80, v4
	v_cmp_lt_u32_e32 vcc_lo, 47, v3
	s_or_b32 s3, vcc_lo, s3
	s_delay_alu instid0(SALU_CYCLE_1)
	s_and_not1_b32 exec_lo, exec_lo, s3
	s_cbranch_execnz .LBB46_12
; %bb.13:
	s_or_b32 exec_lo, exec_lo, s3
	v_lshl_or_b32 v0, s15, 4, v2
	s_waitcnt lgkmcnt(0)
	s_barrier
	buffer_gl0_inv
	v_cmp_gt_i32_e32 vcc_lo, s1, v0
	s_and_saveexec_b32 s1, vcc_lo
	s_cbranch_execz .LBB46_127
; %bb.14:
	s_cmp_eq_u64 s[42:43], 0
	s_cbranch_scc1 .LBB46_16
; %bb.15:
	s_load_b32 s1, s[40:41], 0x0
	s_waitcnt lgkmcnt(0)
	v_add_nc_u32_e32 v0, s1, v0
	s_delay_alu instid0(VALU_DEP_1) | instskip(NEXT) | instid1(VALU_DEP_1)
	v_ashrrev_i32_e32 v1, 31, v0
	v_lshlrev_b64 v[0:1], 2, v[0:1]
	s_delay_alu instid0(VALU_DEP_1) | instskip(NEXT) | instid1(VALU_DEP_2)
	v_add_co_u32 v0, vcc_lo, s42, v0
	v_add_co_ci_u32_e32 v1, vcc_lo, s43, v1, vcc_lo
	global_load_b32 v0, v[0:1], off
.LBB46_16:
	s_waitcnt vmcnt(0)
	v_ashrrev_i32_e32 v1, 31, v0
	v_lshlrev_b32_e32 v14, 9, v2
	s_and_not1_b32 vcc_lo, exec_lo, s45
	s_delay_alu instid0(VALU_DEP_2)
	v_lshlrev_b64 v[0:1], 2, v[0:1]
	s_cbranch_vccnz .LBB46_72
; %bb.17:
	s_delay_alu instid0(VALU_DEP_1) | instskip(NEXT) | instid1(VALU_DEP_2)
	v_add_co_u32 v2, vcc_lo, s24, v0
	v_add_co_ci_u32_e32 v3, vcc_lo, s25, v1, vcc_lo
	v_subrev_nc_u32_e32 v4, s36, v12
	s_mov_b32 s1, exec_lo
	global_load_b64 v[2:3], v[2:3], off
	s_waitcnt vmcnt(0)
	v_subrev_nc_u32_e32 v16, s36, v3
	v_add_nc_u32_e32 v2, v2, v4
	s_delay_alu instid0(VALU_DEP_1)
	v_cmpx_lt_i32_e64 v2, v16
	s_cbranch_execz .LBB46_71
; %bb.18:
	v_add_nc_u32_e32 v17, 8, v14
	v_add_nc_u32_e32 v18, 16, v14
	;; [unrolled: 1-line block ×3, first 2 shown]
	s_cmp_eq_u32 s0, 0
	s_mov_b32 s3, 0
	s_cselect_b32 s15, 2, 1
	s_cselect_b32 s20, 1, 2
	s_branch .LBB46_20
.LBB46_19:                              ;   in Loop: Header=BB46_20 Depth=1
	s_or_b32 exec_lo, exec_lo, s21
	v_add_nc_u32_e32 v2, 16, v2
	s_delay_alu instid0(VALU_DEP_1) | instskip(SKIP_1) | instid1(SALU_CYCLE_1)
	v_cmp_ge_i32_e32 vcc_lo, v2, v16
	s_or_b32 s3, vcc_lo, s3
	s_and_not1_b32 exec_lo, exec_lo, s3
	s_cbranch_execz .LBB46_71
.LBB46_20:                              ; =>This Loop Header: Depth=1
                                        ;     Child Loop BB46_23 Depth 2
                                        ;       Child Loop BB46_25 Depth 3
                                        ;       Child Loop BB46_37 Depth 3
	;; [unrolled: 1-line block ×4, first 2 shown]
	v_ashrrev_i32_e32 v3, 31, v2
	s_mov_b32 s21, exec_lo
	s_delay_alu instid0(VALU_DEP_1) | instskip(NEXT) | instid1(VALU_DEP_1)
	v_lshlrev_b64 v[3:4], 2, v[2:3]
	v_add_co_u32 v3, vcc_lo, s26, v3
	s_delay_alu instid0(VALU_DEP_2) | instskip(SKIP_3) | instid1(VALU_DEP_1)
	v_add_co_ci_u32_e32 v4, vcc_lo, s27, v4, vcc_lo
	global_load_b32 v3, v[3:4], off
	s_waitcnt vmcnt(0)
	v_subrev_nc_u32_e32 v3, s36, v3
	v_ashrrev_i32_e32 v4, 31, v3
	s_delay_alu instid0(VALU_DEP_1) | instskip(NEXT) | instid1(VALU_DEP_1)
	v_lshlrev_b64 v[3:4], 2, v[3:4]
	v_add_co_u32 v3, vcc_lo, s30, v3
	s_delay_alu instid0(VALU_DEP_2)
	v_add_co_ci_u32_e32 v4, vcc_lo, s31, v4, vcc_lo
	global_load_b64 v[3:4], v[3:4], off
	s_waitcnt vmcnt(0)
	v_cmpx_lt_i32_e64 v3, v4
	s_cbranch_execz .LBB46_19
; %bb.21:                               ;   in Loop: Header=BB46_20 Depth=1
	v_lshlrev_b32_e32 v5, 2, v2
	v_subrev_nc_u32_e32 v22, s37, v4
	v_subrev_nc_u32_e32 v3, s37, v3
	s_mov_b32 s24, 0
	s_delay_alu instid0(VALU_DEP_3) | instskip(SKIP_2) | instid1(VALU_DEP_3)
	v_or_b32_e32 v7, s15, v5
	v_ashrrev_i32_e32 v6, 31, v5
	v_or_b32_e32 v9, s20, v5
	v_ashrrev_i32_e32 v8, 31, v7
	s_delay_alu instid0(VALU_DEP_3) | instskip(NEXT) | instid1(VALU_DEP_3)
	v_lshlrev_b64 v[5:6], 3, v[5:6]
	v_ashrrev_i32_e32 v10, 31, v9
	s_delay_alu instid0(VALU_DEP_3) | instskip(NEXT) | instid1(VALU_DEP_3)
	v_lshlrev_b64 v[7:8], 3, v[7:8]
	v_add_co_u32 v5, vcc_lo, s28, v5
	s_delay_alu instid0(VALU_DEP_3) | instskip(SKIP_1) | instid1(VALU_DEP_4)
	v_lshlrev_b64 v[9:10], 3, v[9:10]
	v_add_co_ci_u32_e32 v6, vcc_lo, s29, v6, vcc_lo
	v_add_co_u32 v7, vcc_lo, s28, v7
	v_add_co_ci_u32_e32 v8, vcc_lo, s29, v8, vcc_lo
	s_delay_alu instid0(VALU_DEP_4)
	v_add_co_u32 v9, vcc_lo, s28, v9
	v_add_co_ci_u32_e32 v10, vcc_lo, s29, v10, vcc_lo
	s_clause 0x3
	global_load_b64 v[23:24], v[5:6], off
	global_load_b64 v[7:8], v[7:8], off
	global_load_b64 v[9:10], v[9:10], off
	global_load_b64 v[5:6], v[5:6], off offset:24
	s_waitcnt vmcnt(3)
	v_mul_f32_e64 v20, v24, -s35
	v_mul_f32_e32 v21, s44, v24
	s_waitcnt vmcnt(0)
	v_dual_mul_f32 v24, s44, v8 :: v_dual_mul_f32 v25, s44, v6
	v_mul_f32_e64 v26, v6, -s35
	v_fmac_f32_e32 v20, s44, v23
	v_mul_f32_e64 v28, v10, -s35
	s_delay_alu instid0(VALU_DEP_4) | instskip(NEXT) | instid1(VALU_DEP_4)
	v_dual_mul_f32 v27, s44, v10 :: v_dual_fmac_f32 v24, s35, v7
	v_dual_fmac_f32 v21, s35, v23 :: v_dual_fmac_f32 v26, s44, v5
	v_mul_f32_e64 v23, v8, -s35
	v_fmac_f32_e32 v25, s35, v5
	v_fmac_f32_e32 v28, s44, v9
	;; [unrolled: 1-line block ×3, first 2 shown]
	s_delay_alu instid0(VALU_DEP_4)
	v_fmac_f32_e32 v23, s44, v7
	s_branch .LBB46_23
.LBB46_22:                              ;   in Loop: Header=BB46_23 Depth=2
	s_or_b32 exec_lo, exec_lo, s25
	v_add_nc_u32_e32 v3, 1, v3
	s_delay_alu instid0(VALU_DEP_1) | instskip(SKIP_1) | instid1(SALU_CYCLE_1)
	v_cmp_ge_i32_e32 vcc_lo, v3, v22
	s_or_b32 s24, vcc_lo, s24
	s_and_not1_b32 exec_lo, exec_lo, s24
	s_cbranch_execz .LBB46_19
.LBB46_23:                              ;   Parent Loop BB46_20 Depth=1
                                        ; =>  This Loop Header: Depth=2
                                        ;       Child Loop BB46_25 Depth 3
                                        ;       Child Loop BB46_37 Depth 3
                                        ;       Child Loop BB46_49 Depth 3
                                        ;       Child Loop BB46_61 Depth 3
	v_lshlrev_b32_e32 v5, 2, v3
	v_ashrrev_i32_e32 v4, 31, v3
	s_mov_b32 s25, 0
	s_delay_alu instid0(VALU_DEP_2) | instskip(NEXT) | instid1(VALU_DEP_2)
	v_or_b32_e32 v6, s15, v5
	v_lshlrev_b64 v[9:10], 2, v[3:4]
	v_or_b32_e32 v29, s20, v5
	s_delay_alu instid0(VALU_DEP_3) | instskip(NEXT) | instid1(VALU_DEP_2)
	v_ashrrev_i32_e32 v7, 31, v6
	v_ashrrev_i32_e32 v30, 31, v29
	s_delay_alu instid0(VALU_DEP_2) | instskip(SKIP_1) | instid1(VALU_DEP_1)
	v_lshlrev_b64 v[7:8], 3, v[6:7]
	v_ashrrev_i32_e32 v6, 31, v5
	v_lshlrev_b64 v[4:5], 3, v[5:6]
	s_delay_alu instid0(VALU_DEP_3) | instskip(NEXT) | instid1(VALU_DEP_4)
	v_add_co_u32 v7, vcc_lo, s18, v7
	v_add_co_ci_u32_e32 v8, vcc_lo, s19, v8, vcc_lo
	v_add_co_u32 v31, vcc_lo, s16, v9
	v_add_co_ci_u32_e32 v32, vcc_lo, s17, v10, vcc_lo
	global_load_b64 v[10:11], v[7:8], off
	global_load_b32 v32, v[31:32], off
	v_add_co_u32 v6, vcc_lo, s18, v4
	v_add_co_ci_u32_e32 v7, vcc_lo, s19, v5, vcc_lo
	v_lshlrev_b64 v[4:5], 3, v[29:30]
	global_load_b64 v[8:9], v[6:7], off
	v_add_co_u32 v4, vcc_lo, s18, v4
	v_add_co_ci_u32_e32 v5, vcc_lo, s19, v5, vcc_lo
	s_clause 0x1
	global_load_b64 v[4:5], v[4:5], off
	global_load_b64 v[6:7], v[6:7], off offset:24
	s_waitcnt vmcnt(4)
	v_mul_f32_e64 v33, v11, -v27
	s_waitcnt vmcnt(3)
	v_subrev_nc_u32_e32 v29, s37, v32
	s_delay_alu instid0(VALU_DEP_2) | instskip(NEXT) | instid1(VALU_DEP_2)
	v_fmac_f32_e32 v33, v28, v10
	v_lshl_add_u32 v30, v29, 3, v29
	v_mul_f32_e32 v31, v28, v11
	s_waitcnt vmcnt(2)
	s_delay_alu instid0(VALU_DEP_2) | instskip(NEXT) | instid1(VALU_DEP_2)
	v_dual_fmac_f32 v33, v20, v8 :: v_dual_and_b32 v30, 15, v30
	v_fmac_f32_e32 v31, v27, v10
	s_delay_alu instid0(VALU_DEP_2) | instskip(NEXT) | instid1(VALU_DEP_3)
	v_fma_f32 v32, -v21, v9, v33
	v_mov_b32_e32 v33, v30
	s_delay_alu instid0(VALU_DEP_3) | instskip(NEXT) | instid1(VALU_DEP_1)
	v_fmac_f32_e32 v31, v21, v8
	v_fmac_f32_e32 v31, v20, v9
	s_branch .LBB46_25
.LBB46_24:                              ;   in Loop: Header=BB46_25 Depth=3
	s_or_b32 exec_lo, exec_lo, s40
	s_xor_b32 s40, s41, -1
	s_delay_alu instid0(SALU_CYCLE_1) | instskip(NEXT) | instid1(SALU_CYCLE_1)
	s_and_b32 s40, exec_lo, s40
	s_or_b32 s25, s40, s25
	s_delay_alu instid0(SALU_CYCLE_1)
	s_and_not1_b32 exec_lo, exec_lo, s25
	s_cbranch_execz .LBB46_35
.LBB46_25:                              ;   Parent Loop BB46_20 Depth=1
                                        ;     Parent Loop BB46_23 Depth=2
                                        ; =>    This Inner Loop Header: Depth=3
	s_delay_alu instid0(VALU_DEP_3)
	v_lshl_add_u32 v34, v33, 2, v13
	s_mov_b32 s40, exec_lo
                                        ; implicit-def: $sgpr41
	ds_load_b32 v35, v34
	s_waitcnt lgkmcnt(0)
	v_cmpx_ne_u32_e64 v35, v29
	s_xor_b32 s40, exec_lo, s40
	s_cbranch_execz .LBB46_33
; %bb.26:                               ;   in Loop: Header=BB46_25 Depth=3
	s_mov_b32 s42, exec_lo
                                        ; implicit-def: $sgpr41
	v_cmpx_ne_u32_e64 s2, v35
	s_xor_b32 s42, exec_lo, s42
; %bb.27:                               ;   in Loop: Header=BB46_25 Depth=3
	v_add_nc_u32_e32 v33, 1, v33
	s_mov_b32 s41, -1
                                        ; implicit-def: $vgpr34
	s_delay_alu instid0(VALU_DEP_1)
	v_and_b32_e32 v33, 15, v33
; %bb.28:                               ;   in Loop: Header=BB46_25 Depth=3
	s_and_not1_saveexec_b32 s42, s42
	s_cbranch_execz .LBB46_32
; %bb.29:                               ;   in Loop: Header=BB46_25 Depth=3
	v_mov_b32_e32 v35, s2
	s_mov_b32 s43, -1
	s_mov_b32 s45, exec_lo
	ds_cmpstore_rtn_b32 v34, v34, v29, v35
	s_waitcnt lgkmcnt(0)
	v_cmpx_eq_u32_e64 s2, v34
	s_cbranch_execz .LBB46_31
; %bb.30:                               ;   in Loop: Header=BB46_25 Depth=3
	v_lshl_add_u32 v34, v33, 5, v14
	s_xor_b32 s43, exec_lo, -1
	ds_add_f32 v34, v32
	ds_add_f32 v34, v31 offset:4
.LBB46_31:                              ;   in Loop: Header=BB46_25 Depth=3
	s_or_b32 exec_lo, exec_lo, s45
	s_delay_alu instid0(SALU_CYCLE_1) | instskip(SKIP_1) | instid1(SALU_CYCLE_1)
	s_and_not1_b32 s41, s41, exec_lo
	s_and_b32 s43, s43, exec_lo
	s_or_b32 s41, s41, s43
.LBB46_32:                              ;   in Loop: Header=BB46_25 Depth=3
	s_or_b32 exec_lo, exec_lo, s42
	s_delay_alu instid0(SALU_CYCLE_1)
	s_and_b32 s41, s41, exec_lo
.LBB46_33:                              ;   in Loop: Header=BB46_25 Depth=3
	s_and_not1_saveexec_b32 s40, s40
	s_cbranch_execz .LBB46_24
; %bb.34:                               ;   in Loop: Header=BB46_25 Depth=3
	v_lshl_add_u32 v34, v33, 5, v14
	s_and_not1_b32 s41, s41, exec_lo
	ds_add_f32 v34, v32
	ds_add_f32 v34, v31 offset:4
	s_branch .LBB46_24
.LBB46_35:                              ;   in Loop: Header=BB46_23 Depth=2
	s_or_b32 exec_lo, exec_lo, s25
	s_waitcnt vmcnt(0)
	v_mul_f32_e64 v32, v7, -v27
	v_mul_f32_e32 v31, v28, v7
	v_mov_b32_e32 v33, v30
	s_mov_b32 s25, 0
	s_delay_alu instid0(VALU_DEP_2) | instskip(NEXT) | instid1(VALU_DEP_1)
	v_fmac_f32_e32 v31, v27, v6
	v_dual_fmac_f32 v32, v28, v6 :: v_dual_fmac_f32 v31, v21, v4
	s_delay_alu instid0(VALU_DEP_1) | instskip(NEXT) | instid1(VALU_DEP_2)
	v_fmac_f32_e32 v32, v20, v4
	v_fmac_f32_e32 v31, v20, v5
	s_delay_alu instid0(VALU_DEP_2)
	v_fma_f32 v32, -v21, v5, v32
	s_branch .LBB46_37
.LBB46_36:                              ;   in Loop: Header=BB46_37 Depth=3
	s_or_b32 exec_lo, exec_lo, s40
	s_xor_b32 s40, s41, -1
	s_delay_alu instid0(SALU_CYCLE_1) | instskip(NEXT) | instid1(SALU_CYCLE_1)
	s_and_b32 s40, exec_lo, s40
	s_or_b32 s25, s40, s25
	s_delay_alu instid0(SALU_CYCLE_1)
	s_and_not1_b32 exec_lo, exec_lo, s25
	s_cbranch_execz .LBB46_47
.LBB46_37:                              ;   Parent Loop BB46_20 Depth=1
                                        ;     Parent Loop BB46_23 Depth=2
                                        ; =>    This Inner Loop Header: Depth=3
	v_lshl_add_u32 v34, v33, 2, v13
	s_mov_b32 s40, exec_lo
                                        ; implicit-def: $sgpr41
	ds_load_b32 v35, v34
	s_waitcnt lgkmcnt(0)
	v_cmpx_ne_u32_e64 v35, v29
	s_xor_b32 s40, exec_lo, s40
	s_cbranch_execz .LBB46_45
; %bb.38:                               ;   in Loop: Header=BB46_37 Depth=3
	s_mov_b32 s42, exec_lo
                                        ; implicit-def: $sgpr41
	v_cmpx_ne_u32_e64 s2, v35
	s_xor_b32 s42, exec_lo, s42
; %bb.39:                               ;   in Loop: Header=BB46_37 Depth=3
	v_add_nc_u32_e32 v33, 1, v33
	s_mov_b32 s41, -1
                                        ; implicit-def: $vgpr34
	s_delay_alu instid0(VALU_DEP_1)
	v_and_b32_e32 v33, 15, v33
; %bb.40:                               ;   in Loop: Header=BB46_37 Depth=3
	s_and_not1_saveexec_b32 s42, s42
	s_cbranch_execz .LBB46_44
; %bb.41:                               ;   in Loop: Header=BB46_37 Depth=3
	v_mov_b32_e32 v35, s2
	s_mov_b32 s43, -1
	s_mov_b32 s45, exec_lo
	ds_cmpstore_rtn_b32 v34, v34, v29, v35
	s_waitcnt lgkmcnt(0)
	v_cmpx_eq_u32_e64 s2, v34
	s_cbranch_execz .LBB46_43
; %bb.42:                               ;   in Loop: Header=BB46_37 Depth=3
	v_lshl_add_u32 v34, v33, 5, v17
	s_xor_b32 s43, exec_lo, -1
	ds_add_f32 v34, v32
	ds_add_f32 v34, v31 offset:4
.LBB46_43:                              ;   in Loop: Header=BB46_37 Depth=3
	s_or_b32 exec_lo, exec_lo, s45
	s_delay_alu instid0(SALU_CYCLE_1) | instskip(SKIP_1) | instid1(SALU_CYCLE_1)
	s_and_not1_b32 s41, s41, exec_lo
	s_and_b32 s43, s43, exec_lo
	s_or_b32 s41, s41, s43
.LBB46_44:                              ;   in Loop: Header=BB46_37 Depth=3
	s_or_b32 exec_lo, exec_lo, s42
	s_delay_alu instid0(SALU_CYCLE_1)
	s_and_b32 s41, s41, exec_lo
.LBB46_45:                              ;   in Loop: Header=BB46_37 Depth=3
	s_and_not1_saveexec_b32 s40, s40
	s_cbranch_execz .LBB46_36
; %bb.46:                               ;   in Loop: Header=BB46_37 Depth=3
	v_lshl_add_u32 v34, v33, 5, v17
	s_and_not1_b32 s41, s41, exec_lo
	ds_add_f32 v34, v32
	ds_add_f32 v34, v31 offset:4
	s_branch .LBB46_36
.LBB46_47:                              ;   in Loop: Header=BB46_23 Depth=2
	s_or_b32 exec_lo, exec_lo, s25
	v_mul_f32_e64 v31, v11, -v25
	v_mul_f32_e32 v11, v26, v11
	s_mov_b32 s25, 0
	s_delay_alu instid0(VALU_DEP_2) | instskip(NEXT) | instid1(VALU_DEP_2)
	v_fmac_f32_e32 v31, v26, v10
	v_fmac_f32_e32 v11, v25, v10
	s_delay_alu instid0(VALU_DEP_2) | instskip(NEXT) | instid1(VALU_DEP_2)
	v_fmac_f32_e32 v31, v23, v8
	v_fmac_f32_e32 v11, v24, v8
	s_delay_alu instid0(VALU_DEP_2) | instskip(NEXT) | instid1(VALU_DEP_2)
	v_fma_f32 v8, -v24, v9, v31
	v_fmac_f32_e32 v11, v23, v9
	v_mov_b32_e32 v9, v30
	s_branch .LBB46_49
.LBB46_48:                              ;   in Loop: Header=BB46_49 Depth=3
	s_or_b32 exec_lo, exec_lo, s40
	s_xor_b32 s40, s41, -1
	s_delay_alu instid0(SALU_CYCLE_1) | instskip(NEXT) | instid1(SALU_CYCLE_1)
	s_and_b32 s40, exec_lo, s40
	s_or_b32 s25, s40, s25
	s_delay_alu instid0(SALU_CYCLE_1)
	s_and_not1_b32 exec_lo, exec_lo, s25
	s_cbranch_execz .LBB46_59
.LBB46_49:                              ;   Parent Loop BB46_20 Depth=1
                                        ;     Parent Loop BB46_23 Depth=2
                                        ; =>    This Inner Loop Header: Depth=3
	s_delay_alu instid0(VALU_DEP_1)
	v_lshl_add_u32 v10, v9, 2, v13
	s_mov_b32 s40, exec_lo
                                        ; implicit-def: $sgpr41
	ds_load_b32 v31, v10
	s_waitcnt lgkmcnt(0)
	v_cmpx_ne_u32_e64 v31, v29
	s_xor_b32 s40, exec_lo, s40
	s_cbranch_execz .LBB46_57
; %bb.50:                               ;   in Loop: Header=BB46_49 Depth=3
	s_mov_b32 s42, exec_lo
                                        ; implicit-def: $sgpr41
	v_cmpx_ne_u32_e64 s2, v31
	s_xor_b32 s42, exec_lo, s42
; %bb.51:                               ;   in Loop: Header=BB46_49 Depth=3
	v_add_nc_u32_e32 v9, 1, v9
	s_mov_b32 s41, -1
                                        ; implicit-def: $vgpr10
	s_delay_alu instid0(VALU_DEP_1)
	v_and_b32_e32 v9, 15, v9
; %bb.52:                               ;   in Loop: Header=BB46_49 Depth=3
	s_and_not1_saveexec_b32 s42, s42
	s_cbranch_execz .LBB46_56
; %bb.53:                               ;   in Loop: Header=BB46_49 Depth=3
	v_mov_b32_e32 v31, s2
	s_mov_b32 s43, -1
	s_mov_b32 s45, exec_lo
	ds_cmpstore_rtn_b32 v10, v10, v29, v31
	s_waitcnt lgkmcnt(0)
	v_cmpx_eq_u32_e64 s2, v10
	s_cbranch_execz .LBB46_55
; %bb.54:                               ;   in Loop: Header=BB46_49 Depth=3
	v_lshl_add_u32 v10, v9, 5, v18
	s_xor_b32 s43, exec_lo, -1
	ds_add_f32 v10, v8
	ds_add_f32 v10, v11 offset:4
.LBB46_55:                              ;   in Loop: Header=BB46_49 Depth=3
	s_or_b32 exec_lo, exec_lo, s45
	s_delay_alu instid0(SALU_CYCLE_1) | instskip(SKIP_1) | instid1(SALU_CYCLE_1)
	s_and_not1_b32 s41, s41, exec_lo
	s_and_b32 s43, s43, exec_lo
	s_or_b32 s41, s41, s43
.LBB46_56:                              ;   in Loop: Header=BB46_49 Depth=3
	s_or_b32 exec_lo, exec_lo, s42
	s_delay_alu instid0(SALU_CYCLE_1)
	s_and_b32 s41, s41, exec_lo
.LBB46_57:                              ;   in Loop: Header=BB46_49 Depth=3
	s_and_not1_saveexec_b32 s40, s40
	s_cbranch_execz .LBB46_48
; %bb.58:                               ;   in Loop: Header=BB46_49 Depth=3
	v_lshl_add_u32 v10, v9, 5, v18
	s_and_not1_b32 s41, s41, exec_lo
	ds_add_f32 v10, v8
	ds_add_f32 v10, v11 offset:4
	s_branch .LBB46_48
.LBB46_59:                              ;   in Loop: Header=BB46_23 Depth=2
	s_or_b32 exec_lo, exec_lo, s25
	v_mul_f32_e64 v8, v7, -v25
	s_mov_b32 s25, 0
	s_delay_alu instid0(VALU_DEP_1) | instskip(NEXT) | instid1(VALU_DEP_1)
	v_fmac_f32_e32 v8, v26, v6
	v_dual_mul_f32 v7, v26, v7 :: v_dual_fmac_f32 v8, v23, v4
	s_delay_alu instid0(VALU_DEP_1) | instskip(NEXT) | instid1(VALU_DEP_1)
	v_fmac_f32_e32 v7, v25, v6
	v_fmac_f32_e32 v7, v24, v4
	s_delay_alu instid0(VALU_DEP_3) | instskip(NEXT) | instid1(VALU_DEP_2)
	v_fma_f32 v4, -v24, v5, v8
	v_fmac_f32_e32 v7, v23, v5
	s_branch .LBB46_61
.LBB46_60:                              ;   in Loop: Header=BB46_61 Depth=3
	s_or_b32 exec_lo, exec_lo, s40
	s_xor_b32 s40, s41, -1
	s_delay_alu instid0(SALU_CYCLE_1) | instskip(NEXT) | instid1(SALU_CYCLE_1)
	s_and_b32 s40, exec_lo, s40
	s_or_b32 s25, s40, s25
	s_delay_alu instid0(SALU_CYCLE_1)
	s_and_not1_b32 exec_lo, exec_lo, s25
	s_cbranch_execz .LBB46_22
.LBB46_61:                              ;   Parent Loop BB46_20 Depth=1
                                        ;     Parent Loop BB46_23 Depth=2
                                        ; =>    This Inner Loop Header: Depth=3
	v_lshl_add_u32 v5, v30, 2, v13
	s_mov_b32 s40, exec_lo
                                        ; implicit-def: $sgpr41
	ds_load_b32 v6, v5
	s_waitcnt lgkmcnt(0)
	v_cmpx_ne_u32_e64 v6, v29
	s_xor_b32 s40, exec_lo, s40
	s_cbranch_execz .LBB46_69
; %bb.62:                               ;   in Loop: Header=BB46_61 Depth=3
	s_mov_b32 s42, exec_lo
                                        ; implicit-def: $sgpr41
	v_cmpx_ne_u32_e64 s2, v6
	s_xor_b32 s42, exec_lo, s42
; %bb.63:                               ;   in Loop: Header=BB46_61 Depth=3
	v_add_nc_u32_e32 v5, 1, v30
	s_mov_b32 s41, -1
	s_delay_alu instid0(VALU_DEP_1)
	v_and_b32_e32 v30, 15, v5
                                        ; implicit-def: $vgpr5
; %bb.64:                               ;   in Loop: Header=BB46_61 Depth=3
	s_and_not1_saveexec_b32 s42, s42
	s_cbranch_execz .LBB46_68
; %bb.65:                               ;   in Loop: Header=BB46_61 Depth=3
	v_mov_b32_e32 v6, s2
	s_mov_b32 s43, -1
	s_mov_b32 s45, exec_lo
	ds_cmpstore_rtn_b32 v5, v5, v29, v6
	s_waitcnt lgkmcnt(0)
	v_cmpx_eq_u32_e64 s2, v5
	s_cbranch_execz .LBB46_67
; %bb.66:                               ;   in Loop: Header=BB46_61 Depth=3
	v_lshl_add_u32 v5, v30, 5, v19
	s_xor_b32 s43, exec_lo, -1
	ds_add_f32 v5, v4
	ds_add_f32 v5, v7 offset:4
.LBB46_67:                              ;   in Loop: Header=BB46_61 Depth=3
	s_or_b32 exec_lo, exec_lo, s45
	s_delay_alu instid0(SALU_CYCLE_1) | instskip(SKIP_1) | instid1(SALU_CYCLE_1)
	s_and_not1_b32 s41, s41, exec_lo
	s_and_b32 s43, s43, exec_lo
	s_or_b32 s41, s41, s43
.LBB46_68:                              ;   in Loop: Header=BB46_61 Depth=3
	s_or_b32 exec_lo, exec_lo, s42
	s_delay_alu instid0(SALU_CYCLE_1)
	s_and_b32 s41, s41, exec_lo
.LBB46_69:                              ;   in Loop: Header=BB46_61 Depth=3
	s_and_not1_saveexec_b32 s40, s40
	s_cbranch_execz .LBB46_60
; %bb.70:                               ;   in Loop: Header=BB46_61 Depth=3
	v_lshl_add_u32 v5, v30, 5, v19
	s_and_not1_b32 s41, s41, exec_lo
	ds_add_f32 v5, v4
	ds_add_f32 v5, v7 offset:4
	s_branch .LBB46_60
.LBB46_71:
	s_or_b32 exec_lo, exec_lo, s1
.LBB46_72:
	s_delay_alu instid0(SALU_CYCLE_1)
	s_and_not1_b32 vcc_lo, exec_lo, s34
	s_waitcnt lgkmcnt(0)
	buffer_gl0_inv
	s_cbranch_vccnz .LBB46_125
; %bb.73:
	v_add_co_u32 v2, vcc_lo, s22, v0
	v_add_co_ci_u32_e32 v3, vcc_lo, s23, v1, vcc_lo
	v_subrev_nc_u32_e32 v4, s39, v12
	s_mov_b32 s1, exec_lo
	global_load_b64 v[2:3], v[2:3], off
	s_waitcnt vmcnt(0)
	v_subrev_nc_u32_e32 v9, s39, v3
	v_add_nc_u32_e32 v2, v2, v4
	s_delay_alu instid0(VALU_DEP_1)
	v_cmpx_lt_i32_e64 v2, v9
	s_cbranch_execz .LBB46_124
; %bb.74:
	v_add_nc_u32_e32 v10, 8, v14
	v_add_nc_u32_e32 v11, 16, v14
	;; [unrolled: 1-line block ×3, first 2 shown]
	s_cmp_eq_u32 s0, 0
	s_mov_b32 s3, 0
	s_cselect_b32 s15, 1, 2
	s_cselect_b32 s16, 2, 1
	s_branch .LBB46_76
.LBB46_75:                              ;   in Loop: Header=BB46_76 Depth=1
	s_or_b32 exec_lo, exec_lo, s17
	v_add_nc_u32_e32 v2, 16, v2
	s_delay_alu instid0(VALU_DEP_1) | instskip(SKIP_1) | instid1(SALU_CYCLE_1)
	v_cmp_ge_i32_e32 vcc_lo, v2, v9
	s_or_b32 s3, vcc_lo, s3
	s_and_not1_b32 exec_lo, exec_lo, s3
	s_cbranch_execz .LBB46_124
.LBB46_76:                              ; =>This Loop Header: Depth=1
                                        ;     Child Loop BB46_78 Depth 2
                                        ;     Child Loop BB46_90 Depth 2
	;; [unrolled: 1-line block ×4, first 2 shown]
	v_ashrrev_i32_e32 v3, 31, v2
	v_lshlrev_b32_e32 v4, 2, v2
	s_mov_b32 s17, 0
	s_delay_alu instid0(VALU_DEP_2) | instskip(NEXT) | instid1(VALU_DEP_2)
	v_lshlrev_b64 v[6:7], 2, v[2:3]
	v_ashrrev_i32_e32 v5, 31, v4
	v_or_b32_e32 v3, s15, v4
	s_delay_alu instid0(VALU_DEP_2) | instskip(NEXT) | instid1(VALU_DEP_4)
	v_lshlrev_b64 v[17:18], 3, v[4:5]
	v_add_co_u32 v6, vcc_lo, s4, v6
	v_add_co_ci_u32_e32 v7, vcc_lo, s5, v7, vcc_lo
	v_or_b32_e32 v5, s16, v4
	v_ashrrev_i32_e32 v4, 31, v3
	global_load_b32 v19, v[6:7], off
	v_add_co_u32 v7, vcc_lo, s6, v17
	v_ashrrev_i32_e32 v6, 31, v5
	v_add_co_ci_u32_e32 v8, vcc_lo, s7, v18, vcc_lo
	v_lshlrev_b64 v[3:4], 3, v[3:4]
	s_delay_alu instid0(VALU_DEP_3)
	v_lshlrev_b64 v[5:6], 3, v[5:6]
	global_load_b64 v[21:22], v[7:8], off
	v_add_co_u32 v17, vcc_lo, s6, v3
	v_add_co_ci_u32_e32 v18, vcc_lo, s7, v4, vcc_lo
	v_add_co_u32 v5, vcc_lo, s6, v5
	v_add_co_ci_u32_e32 v6, vcc_lo, s7, v6, vcc_lo
	s_clause 0x2
	global_load_b64 v[3:4], v[7:8], off offset:24
	global_load_b64 v[7:8], v[17:18], off
	global_load_b64 v[5:6], v[5:6], off
	s_waitcnt vmcnt(4)
	v_subrev_nc_u32_e32 v17, s39, v19
	s_delay_alu instid0(VALU_DEP_1) | instskip(SKIP_2) | instid1(VALU_DEP_2)
	v_lshl_add_u32 v18, v17, 3, v17
	s_waitcnt vmcnt(3)
	v_mul_f32_e64 v19, v22, -s33
	v_and_b32_e32 v18, 15, v18
	s_delay_alu instid0(VALU_DEP_2) | instskip(NEXT) | instid1(VALU_DEP_1)
	v_dual_mul_f32 v20, s14, v22 :: v_dual_fmac_f32 v19, s14, v21
	v_dual_fmac_f32 v20, s33, v21 :: v_dual_mov_b32 v21, v18
	s_branch .LBB46_78
.LBB46_77:                              ;   in Loop: Header=BB46_78 Depth=2
	s_or_b32 exec_lo, exec_lo, s18
	s_xor_b32 s18, s19, -1
	s_delay_alu instid0(SALU_CYCLE_1) | instskip(NEXT) | instid1(SALU_CYCLE_1)
	s_and_b32 s18, exec_lo, s18
	s_or_b32 s17, s18, s17
	s_delay_alu instid0(SALU_CYCLE_1)
	s_and_not1_b32 exec_lo, exec_lo, s17
	s_cbranch_execz .LBB46_88
.LBB46_78:                              ;   Parent Loop BB46_76 Depth=1
                                        ; =>  This Inner Loop Header: Depth=2
	s_delay_alu instid0(VALU_DEP_1)
	v_lshl_add_u32 v22, v21, 2, v13
	s_mov_b32 s18, exec_lo
                                        ; implicit-def: $sgpr19
	ds_load_b32 v23, v22
	s_waitcnt lgkmcnt(0)
	v_cmpx_ne_u32_e64 v23, v17
	s_xor_b32 s18, exec_lo, s18
	s_cbranch_execz .LBB46_86
; %bb.79:                               ;   in Loop: Header=BB46_78 Depth=2
	s_mov_b32 s20, exec_lo
                                        ; implicit-def: $sgpr19
	v_cmpx_ne_u32_e64 s2, v23
	s_xor_b32 s20, exec_lo, s20
; %bb.80:                               ;   in Loop: Header=BB46_78 Depth=2
	v_add_nc_u32_e32 v21, 1, v21
	s_mov_b32 s19, -1
                                        ; implicit-def: $vgpr22
	s_delay_alu instid0(VALU_DEP_1)
	v_and_b32_e32 v21, 15, v21
; %bb.81:                               ;   in Loop: Header=BB46_78 Depth=2
	s_and_not1_saveexec_b32 s20, s20
	s_cbranch_execz .LBB46_85
; %bb.82:                               ;   in Loop: Header=BB46_78 Depth=2
	v_mov_b32_e32 v23, s2
	s_mov_b32 s21, -1
	s_mov_b32 s22, exec_lo
	ds_cmpstore_rtn_b32 v22, v22, v17, v23
	s_waitcnt lgkmcnt(0)
	v_cmpx_eq_u32_e64 s2, v22
	s_cbranch_execz .LBB46_84
; %bb.83:                               ;   in Loop: Header=BB46_78 Depth=2
	v_lshl_add_u32 v22, v21, 5, v14
	s_xor_b32 s21, exec_lo, -1
	ds_add_f32 v22, v19
	ds_add_f32 v22, v20 offset:4
.LBB46_84:                              ;   in Loop: Header=BB46_78 Depth=2
	s_or_b32 exec_lo, exec_lo, s22
	s_delay_alu instid0(SALU_CYCLE_1) | instskip(SKIP_1) | instid1(SALU_CYCLE_1)
	s_and_not1_b32 s19, s19, exec_lo
	s_and_b32 s21, s21, exec_lo
	s_or_b32 s19, s19, s21
.LBB46_85:                              ;   in Loop: Header=BB46_78 Depth=2
	s_or_b32 exec_lo, exec_lo, s20
	s_delay_alu instid0(SALU_CYCLE_1)
	s_and_b32 s19, s19, exec_lo
.LBB46_86:                              ;   in Loop: Header=BB46_78 Depth=2
	s_and_not1_saveexec_b32 s18, s18
	s_cbranch_execz .LBB46_77
; %bb.87:                               ;   in Loop: Header=BB46_78 Depth=2
	v_lshl_add_u32 v22, v21, 5, v14
	s_and_not1_b32 s19, s19, exec_lo
	ds_add_f32 v22, v19
	ds_add_f32 v22, v20 offset:4
	s_branch .LBB46_77
.LBB46_88:                              ;   in Loop: Header=BB46_76 Depth=1
	s_or_b32 exec_lo, exec_lo, s17
	s_waitcnt vmcnt(1)
	v_mul_f32_e64 v19, v8, -s33
	v_mul_f32_e32 v8, s14, v8
	s_mov_b32 s17, 0
	s_delay_alu instid0(VALU_DEP_2) | instskip(NEXT) | instid1(VALU_DEP_2)
	v_fmac_f32_e32 v19, s14, v7
	v_dual_fmac_f32 v8, s33, v7 :: v_dual_mov_b32 v7, v18
	s_branch .LBB46_90
.LBB46_89:                              ;   in Loop: Header=BB46_90 Depth=2
	s_or_b32 exec_lo, exec_lo, s18
	s_xor_b32 s18, s19, -1
	s_delay_alu instid0(SALU_CYCLE_1) | instskip(NEXT) | instid1(SALU_CYCLE_1)
	s_and_b32 s18, exec_lo, s18
	s_or_b32 s17, s18, s17
	s_delay_alu instid0(SALU_CYCLE_1)
	s_and_not1_b32 exec_lo, exec_lo, s17
	s_cbranch_execz .LBB46_100
.LBB46_90:                              ;   Parent Loop BB46_76 Depth=1
                                        ; =>  This Inner Loop Header: Depth=2
	s_delay_alu instid0(VALU_DEP_1)
	v_lshl_add_u32 v20, v7, 2, v13
	s_mov_b32 s18, exec_lo
                                        ; implicit-def: $sgpr19
	ds_load_b32 v21, v20
	s_waitcnt lgkmcnt(0)
	v_cmpx_ne_u32_e64 v21, v17
	s_xor_b32 s18, exec_lo, s18
	s_cbranch_execz .LBB46_98
; %bb.91:                               ;   in Loop: Header=BB46_90 Depth=2
	s_mov_b32 s20, exec_lo
                                        ; implicit-def: $sgpr19
	v_cmpx_ne_u32_e64 s2, v21
	s_xor_b32 s20, exec_lo, s20
; %bb.92:                               ;   in Loop: Header=BB46_90 Depth=2
	v_add_nc_u32_e32 v7, 1, v7
	s_mov_b32 s19, -1
                                        ; implicit-def: $vgpr20
	s_delay_alu instid0(VALU_DEP_1)
	v_and_b32_e32 v7, 15, v7
; %bb.93:                               ;   in Loop: Header=BB46_90 Depth=2
	s_and_not1_saveexec_b32 s20, s20
	s_cbranch_execz .LBB46_97
; %bb.94:                               ;   in Loop: Header=BB46_90 Depth=2
	v_mov_b32_e32 v21, s2
	s_mov_b32 s21, -1
	s_mov_b32 s22, exec_lo
	ds_cmpstore_rtn_b32 v20, v20, v17, v21
	s_waitcnt lgkmcnt(0)
	v_cmpx_eq_u32_e64 s2, v20
	s_cbranch_execz .LBB46_96
; %bb.95:                               ;   in Loop: Header=BB46_90 Depth=2
	v_lshl_add_u32 v20, v7, 5, v10
	s_xor_b32 s21, exec_lo, -1
	ds_add_f32 v20, v19
	ds_add_f32 v20, v8 offset:4
.LBB46_96:                              ;   in Loop: Header=BB46_90 Depth=2
	s_or_b32 exec_lo, exec_lo, s22
	s_delay_alu instid0(SALU_CYCLE_1) | instskip(SKIP_1) | instid1(SALU_CYCLE_1)
	s_and_not1_b32 s19, s19, exec_lo
	s_and_b32 s21, s21, exec_lo
	s_or_b32 s19, s19, s21
.LBB46_97:                              ;   in Loop: Header=BB46_90 Depth=2
	s_or_b32 exec_lo, exec_lo, s20
	s_delay_alu instid0(SALU_CYCLE_1)
	s_and_b32 s19, s19, exec_lo
.LBB46_98:                              ;   in Loop: Header=BB46_90 Depth=2
	s_and_not1_saveexec_b32 s18, s18
	s_cbranch_execz .LBB46_89
; %bb.99:                               ;   in Loop: Header=BB46_90 Depth=2
	v_lshl_add_u32 v20, v7, 5, v10
	s_and_not1_b32 s19, s19, exec_lo
	ds_add_f32 v20, v19
	ds_add_f32 v20, v8 offset:4
	s_branch .LBB46_89
.LBB46_100:                             ;   in Loop: Header=BB46_76 Depth=1
	s_or_b32 exec_lo, exec_lo, s17
	s_waitcnt vmcnt(0)
	v_mul_f32_e64 v7, v6, -s33
	v_mul_f32_e32 v6, s14, v6
	s_mov_b32 s17, 0
	s_delay_alu instid0(VALU_DEP_2) | instskip(NEXT) | instid1(VALU_DEP_2)
	v_fmac_f32_e32 v7, s14, v5
	v_dual_fmac_f32 v6, s33, v5 :: v_dual_mov_b32 v5, v18
	s_branch .LBB46_102
.LBB46_101:                             ;   in Loop: Header=BB46_102 Depth=2
	s_or_b32 exec_lo, exec_lo, s18
	s_xor_b32 s18, s19, -1
	s_delay_alu instid0(SALU_CYCLE_1) | instskip(NEXT) | instid1(SALU_CYCLE_1)
	s_and_b32 s18, exec_lo, s18
	s_or_b32 s17, s18, s17
	s_delay_alu instid0(SALU_CYCLE_1)
	s_and_not1_b32 exec_lo, exec_lo, s17
	s_cbranch_execz .LBB46_112
.LBB46_102:                             ;   Parent Loop BB46_76 Depth=1
                                        ; =>  This Inner Loop Header: Depth=2
	s_delay_alu instid0(VALU_DEP_1)
	v_lshl_add_u32 v8, v5, 2, v13
	s_mov_b32 s18, exec_lo
                                        ; implicit-def: $sgpr19
	ds_load_b32 v19, v8
	s_waitcnt lgkmcnt(0)
	v_cmpx_ne_u32_e64 v19, v17
	s_xor_b32 s18, exec_lo, s18
	s_cbranch_execz .LBB46_110
; %bb.103:                              ;   in Loop: Header=BB46_102 Depth=2
	s_mov_b32 s20, exec_lo
                                        ; implicit-def: $sgpr19
	v_cmpx_ne_u32_e64 s2, v19
	s_xor_b32 s20, exec_lo, s20
; %bb.104:                              ;   in Loop: Header=BB46_102 Depth=2
	v_add_nc_u32_e32 v5, 1, v5
	s_mov_b32 s19, -1
                                        ; implicit-def: $vgpr8
	s_delay_alu instid0(VALU_DEP_1)
	v_and_b32_e32 v5, 15, v5
; %bb.105:                              ;   in Loop: Header=BB46_102 Depth=2
	s_and_not1_saveexec_b32 s20, s20
	s_cbranch_execz .LBB46_109
; %bb.106:                              ;   in Loop: Header=BB46_102 Depth=2
	v_mov_b32_e32 v19, s2
	s_mov_b32 s21, -1
	s_mov_b32 s22, exec_lo
	ds_cmpstore_rtn_b32 v8, v8, v17, v19
	s_waitcnt lgkmcnt(0)
	v_cmpx_eq_u32_e64 s2, v8
	s_cbranch_execz .LBB46_108
; %bb.107:                              ;   in Loop: Header=BB46_102 Depth=2
	v_lshl_add_u32 v8, v5, 5, v11
	s_xor_b32 s21, exec_lo, -1
	ds_add_f32 v8, v7
	ds_add_f32 v8, v6 offset:4
.LBB46_108:                             ;   in Loop: Header=BB46_102 Depth=2
	s_or_b32 exec_lo, exec_lo, s22
	s_delay_alu instid0(SALU_CYCLE_1) | instskip(SKIP_1) | instid1(SALU_CYCLE_1)
	s_and_not1_b32 s19, s19, exec_lo
	s_and_b32 s21, s21, exec_lo
	s_or_b32 s19, s19, s21
.LBB46_109:                             ;   in Loop: Header=BB46_102 Depth=2
	s_or_b32 exec_lo, exec_lo, s20
	s_delay_alu instid0(SALU_CYCLE_1)
	s_and_b32 s19, s19, exec_lo
.LBB46_110:                             ;   in Loop: Header=BB46_102 Depth=2
	s_and_not1_saveexec_b32 s18, s18
	s_cbranch_execz .LBB46_101
; %bb.111:                              ;   in Loop: Header=BB46_102 Depth=2
	v_lshl_add_u32 v8, v5, 5, v11
	s_and_not1_b32 s19, s19, exec_lo
	ds_add_f32 v8, v7
	ds_add_f32 v8, v6 offset:4
	s_branch .LBB46_101
.LBB46_112:                             ;   in Loop: Header=BB46_76 Depth=1
	s_or_b32 exec_lo, exec_lo, s17
	v_mul_f32_e64 v5, v4, -s33
	v_mul_f32_e32 v4, s14, v4
	s_mov_b32 s17, 0
	s_delay_alu instid0(VALU_DEP_2) | instskip(NEXT) | instid1(VALU_DEP_2)
	v_fmac_f32_e32 v5, s14, v3
	v_fmac_f32_e32 v4, s33, v3
	s_branch .LBB46_114
.LBB46_113:                             ;   in Loop: Header=BB46_114 Depth=2
	s_or_b32 exec_lo, exec_lo, s18
	s_xor_b32 s18, s19, -1
	s_delay_alu instid0(SALU_CYCLE_1) | instskip(NEXT) | instid1(SALU_CYCLE_1)
	s_and_b32 s18, exec_lo, s18
	s_or_b32 s17, s18, s17
	s_delay_alu instid0(SALU_CYCLE_1)
	s_and_not1_b32 exec_lo, exec_lo, s17
	s_cbranch_execz .LBB46_75
.LBB46_114:                             ;   Parent Loop BB46_76 Depth=1
                                        ; =>  This Inner Loop Header: Depth=2
	v_lshl_add_u32 v3, v18, 2, v13
	s_mov_b32 s18, exec_lo
                                        ; implicit-def: $sgpr19
	ds_load_b32 v6, v3
	s_waitcnt lgkmcnt(0)
	v_cmpx_ne_u32_e64 v6, v17
	s_xor_b32 s18, exec_lo, s18
	s_cbranch_execz .LBB46_122
; %bb.115:                              ;   in Loop: Header=BB46_114 Depth=2
	s_mov_b32 s20, exec_lo
                                        ; implicit-def: $sgpr19
	v_cmpx_ne_u32_e64 s2, v6
	s_xor_b32 s20, exec_lo, s20
; %bb.116:                              ;   in Loop: Header=BB46_114 Depth=2
	v_add_nc_u32_e32 v3, 1, v18
	s_mov_b32 s19, -1
	s_delay_alu instid0(VALU_DEP_1)
	v_and_b32_e32 v18, 15, v3
                                        ; implicit-def: $vgpr3
; %bb.117:                              ;   in Loop: Header=BB46_114 Depth=2
	s_and_not1_saveexec_b32 s20, s20
	s_cbranch_execz .LBB46_121
; %bb.118:                              ;   in Loop: Header=BB46_114 Depth=2
	v_mov_b32_e32 v6, s2
	s_mov_b32 s21, -1
	s_mov_b32 s22, exec_lo
	ds_cmpstore_rtn_b32 v3, v3, v17, v6
	s_waitcnt lgkmcnt(0)
	v_cmpx_eq_u32_e64 s2, v3
	s_cbranch_execz .LBB46_120
; %bb.119:                              ;   in Loop: Header=BB46_114 Depth=2
	v_lshl_add_u32 v3, v18, 5, v16
	s_xor_b32 s21, exec_lo, -1
	ds_add_f32 v3, v5
	ds_add_f32 v3, v4 offset:4
.LBB46_120:                             ;   in Loop: Header=BB46_114 Depth=2
	s_or_b32 exec_lo, exec_lo, s22
	s_delay_alu instid0(SALU_CYCLE_1) | instskip(SKIP_1) | instid1(SALU_CYCLE_1)
	s_and_not1_b32 s19, s19, exec_lo
	s_and_b32 s21, s21, exec_lo
	s_or_b32 s19, s19, s21
.LBB46_121:                             ;   in Loop: Header=BB46_114 Depth=2
	s_or_b32 exec_lo, exec_lo, s20
	s_delay_alu instid0(SALU_CYCLE_1)
	s_and_b32 s19, s19, exec_lo
.LBB46_122:                             ;   in Loop: Header=BB46_114 Depth=2
	s_and_not1_saveexec_b32 s18, s18
	s_cbranch_execz .LBB46_113
; %bb.123:                              ;   in Loop: Header=BB46_114 Depth=2
	v_lshl_add_u32 v3, v18, 5, v16
	s_and_not1_b32 s19, s19, exec_lo
	ds_add_f32 v3, v5
	ds_add_f32 v3, v4 offset:4
	s_branch .LBB46_113
.LBB46_124:
	s_or_b32 exec_lo, exec_lo, s1
.LBB46_125:
	s_waitcnt lgkmcnt(0)
	buffer_gl0_inv
	ds_load_b32 v2, v15
	s_waitcnt lgkmcnt(0)
	v_cmp_gt_i32_e32 vcc_lo, s2, v2
	s_and_b32 exec_lo, exec_lo, vcc_lo
	s_cbranch_execz .LBB46_127
; %bb.126:
	v_add_co_u32 v0, vcc_lo, s8, v0
	v_add_co_ci_u32_e32 v1, vcc_lo, s9, v1, vcc_lo
	s_cmp_eq_u32 s0, 0
	s_cselect_b32 s1, 2, 1
	global_load_b32 v0, v[0:1], off
	ds_load_b128 v[3:6], v13
	ds_load_b128 v[7:10], v13 offset:16
	v_lshl_add_u32 v1, v12, 5, v14
	ds_load_b128 v[15:18], v13 offset:32
	ds_load_b128 v[19:22], v13 offset:48
	s_cselect_b32 s0, 1, 2
	ds_load_2addr_b64 v[23:26], v1 offset1:3
	v_lshlrev_b32_e32 v11, 2, v12
	s_waitcnt lgkmcnt(4)
	v_cmp_gt_i32_e32 vcc_lo, v2, v3
	v_cndmask_b32_e64 v1, 0, 1, vcc_lo
	v_cmp_gt_i32_e32 vcc_lo, v2, v5
	v_cndmask_b32_e64 v3, 0, 1, vcc_lo
	v_cmp_gt_i32_e32 vcc_lo, v2, v4
	v_or_b32_e32 v4, s1, v11
	s_waitcnt vmcnt(0)
	v_subrev_nc_u32_e32 v0, s38, v0
	s_delay_alu instid0(VALU_DEP_1)
	v_add_co_ci_u32_e32 v0, vcc_lo, v0, v1, vcc_lo
	s_waitcnt lgkmcnt(3)
	v_cmp_gt_i32_e32 vcc_lo, v2, v7
	v_cndmask_b32_e64 v1, 0, 1, vcc_lo
	v_cmp_gt_i32_e32 vcc_lo, v2, v6
	v_add_co_ci_u32_e32 v0, vcc_lo, v0, v3, vcc_lo
	v_cmp_gt_i32_e32 vcc_lo, v2, v9
	v_cndmask_b32_e64 v3, 0, 1, vcc_lo
	v_cmp_gt_i32_e32 vcc_lo, v2, v8
	v_lshl_add_u32 v8, v4, 3, v14
	s_waitcnt lgkmcnt(0)
	v_mov_b32_e32 v4, v24
	v_add_co_ci_u32_e32 v0, vcc_lo, v0, v1, vcc_lo
	v_cmp_gt_i32_e32 vcc_lo, v2, v15
	v_cndmask_b32_e64 v1, 0, 1, vcc_lo
	v_cmp_gt_i32_e32 vcc_lo, v2, v10
	s_delay_alu instid0(VALU_DEP_4) | instskip(SKIP_3) | instid1(VALU_DEP_4)
	v_add_co_ci_u32_e32 v0, vcc_lo, v0, v3, vcc_lo
	v_cmp_gt_i32_e32 vcc_lo, v2, v17
	v_cndmask_b32_e64 v3, 0, 1, vcc_lo
	v_cmp_gt_i32_e32 vcc_lo, v2, v16
	v_add_co_ci_u32_e32 v0, vcc_lo, v0, v1, vcc_lo
	v_cmp_gt_i32_e32 vcc_lo, v2, v19
	v_cndmask_b32_e64 v1, 0, 1, vcc_lo
	v_cmp_gt_i32_e32 vcc_lo, v2, v18
	s_delay_alu instid0(VALU_DEP_4) | instskip(SKIP_3) | instid1(VALU_DEP_4)
	v_add_co_ci_u32_e32 v0, vcc_lo, v0, v3, vcc_lo
	v_cmp_gt_i32_e32 vcc_lo, v2, v21
	v_cndmask_b32_e64 v3, 0, 1, vcc_lo
	v_cmp_gt_i32_e32 vcc_lo, v2, v20
	v_add_co_ci_u32_e32 v0, vcc_lo, v0, v1, vcc_lo
	v_cmp_gt_i32_e32 vcc_lo, v2, v22
	v_or_b32_e32 v1, s0, v11
	v_add_nc_u32_e32 v2, s38, v2
	s_delay_alu instid0(VALU_DEP_4) | instskip(NEXT) | instid1(VALU_DEP_3)
	v_add_co_ci_u32_e32 v0, vcc_lo, v0, v3, vcc_lo
	v_lshl_add_u32 v5, v1, 3, v14
	v_mov_b32_e32 v3, v23
	ds_load_b64 v[5:6], v5
	ds_load_b64 v[23:24], v8
	v_lshlrev_b32_e32 v7, 2, v0
	v_ashrrev_i32_e32 v1, 31, v0
	s_delay_alu instid0(VALU_DEP_2) | instskip(NEXT) | instid1(VALU_DEP_2)
	v_ashrrev_i32_e32 v8, 31, v7
	v_lshlrev_b64 v[0:1], 2, v[0:1]
	s_delay_alu instid0(VALU_DEP_2) | instskip(NEXT) | instid1(VALU_DEP_2)
	v_lshlrev_b64 v[7:8], 3, v[7:8]
	v_add_co_u32 v0, vcc_lo, s10, v0
	s_delay_alu instid0(VALU_DEP_3) | instskip(NEXT) | instid1(VALU_DEP_3)
	v_add_co_ci_u32_e32 v1, vcc_lo, s11, v1, vcc_lo
	v_add_co_u32 v7, vcc_lo, s12, v7
	s_delay_alu instid0(VALU_DEP_4)
	v_add_co_ci_u32_e32 v8, vcc_lo, s13, v8, vcc_lo
	global_store_b32 v[0:1], v2, off
	s_waitcnt lgkmcnt(1)
	global_store_b128 v[7:8], v[3:6], off
	s_waitcnt lgkmcnt(0)
	global_store_b128 v[7:8], v[23:26], off offset:16
.LBB46_127:
	s_nop 0
	s_sendmsg sendmsg(MSG_DEALLOC_VGPRS)
	s_endpgm
	.section	.rodata,"a",@progbits
	.p2align	6, 0x0
	.amdhsa_kernel _ZN9rocsparseL27bsrgemm_fill_wf_per_row_2x2ILj256ELj16ELj16ELj137Eii21rocsparse_complex_numIfEEEv20rocsparse_direction_T4_S4_PKS4_S6_NS_24const_host_device_scalarIT5_EEPKT3_S6_PKS8_SC_S6_SE_S9_SC_S6_SE_SC_PS4_PS8_21rocsparse_index_base_SH_SH_SH_bbb
		.amdhsa_group_segment_fixed_size 9216
		.amdhsa_private_segment_fixed_size 0
		.amdhsa_kernarg_size 164
		.amdhsa_user_sgpr_count 15
		.amdhsa_user_sgpr_dispatch_ptr 0
		.amdhsa_user_sgpr_queue_ptr 0
		.amdhsa_user_sgpr_kernarg_segment_ptr 1
		.amdhsa_user_sgpr_dispatch_id 0
		.amdhsa_user_sgpr_private_segment_size 0
		.amdhsa_wavefront_size32 1
		.amdhsa_uses_dynamic_stack 0
		.amdhsa_enable_private_segment 0
		.amdhsa_system_sgpr_workgroup_id_x 1
		.amdhsa_system_sgpr_workgroup_id_y 0
		.amdhsa_system_sgpr_workgroup_id_z 0
		.amdhsa_system_sgpr_workgroup_info 0
		.amdhsa_system_vgpr_workitem_id 0
		.amdhsa_next_free_vgpr 36
		.amdhsa_next_free_sgpr 46
		.amdhsa_reserve_vcc 1
		.amdhsa_float_round_mode_32 0
		.amdhsa_float_round_mode_16_64 0
		.amdhsa_float_denorm_mode_32 3
		.amdhsa_float_denorm_mode_16_64 3
		.amdhsa_dx10_clamp 1
		.amdhsa_ieee_mode 1
		.amdhsa_fp16_overflow 0
		.amdhsa_workgroup_processor_mode 1
		.amdhsa_memory_ordered 1
		.amdhsa_forward_progress 0
		.amdhsa_shared_vgpr_count 0
		.amdhsa_exception_fp_ieee_invalid_op 0
		.amdhsa_exception_fp_denorm_src 0
		.amdhsa_exception_fp_ieee_div_zero 0
		.amdhsa_exception_fp_ieee_overflow 0
		.amdhsa_exception_fp_ieee_underflow 0
		.amdhsa_exception_fp_ieee_inexact 0
		.amdhsa_exception_int_div_zero 0
	.end_amdhsa_kernel
	.section	.text._ZN9rocsparseL27bsrgemm_fill_wf_per_row_2x2ILj256ELj16ELj16ELj137Eii21rocsparse_complex_numIfEEEv20rocsparse_direction_T4_S4_PKS4_S6_NS_24const_host_device_scalarIT5_EEPKT3_S6_PKS8_SC_S6_SE_S9_SC_S6_SE_SC_PS4_PS8_21rocsparse_index_base_SH_SH_SH_bbb,"axG",@progbits,_ZN9rocsparseL27bsrgemm_fill_wf_per_row_2x2ILj256ELj16ELj16ELj137Eii21rocsparse_complex_numIfEEEv20rocsparse_direction_T4_S4_PKS4_S6_NS_24const_host_device_scalarIT5_EEPKT3_S6_PKS8_SC_S6_SE_S9_SC_S6_SE_SC_PS4_PS8_21rocsparse_index_base_SH_SH_SH_bbb,comdat
.Lfunc_end46:
	.size	_ZN9rocsparseL27bsrgemm_fill_wf_per_row_2x2ILj256ELj16ELj16ELj137Eii21rocsparse_complex_numIfEEEv20rocsparse_direction_T4_S4_PKS4_S6_NS_24const_host_device_scalarIT5_EEPKT3_S6_PKS8_SC_S6_SE_S9_SC_S6_SE_SC_PS4_PS8_21rocsparse_index_base_SH_SH_SH_bbb, .Lfunc_end46-_ZN9rocsparseL27bsrgemm_fill_wf_per_row_2x2ILj256ELj16ELj16ELj137Eii21rocsparse_complex_numIfEEEv20rocsparse_direction_T4_S4_PKS4_S6_NS_24const_host_device_scalarIT5_EEPKT3_S6_PKS8_SC_S6_SE_S9_SC_S6_SE_SC_PS4_PS8_21rocsparse_index_base_SH_SH_SH_bbb
                                        ; -- End function
	.section	.AMDGPU.csdata,"",@progbits
; Kernel info:
; codeLenInByte = 4468
; NumSgprs: 48
; NumVgprs: 36
; ScratchSize: 0
; MemoryBound: 0
; FloatMode: 240
; IeeeMode: 1
; LDSByteSize: 9216 bytes/workgroup (compile time only)
; SGPRBlocks: 5
; VGPRBlocks: 4
; NumSGPRsForWavesPerEU: 48
; NumVGPRsForWavesPerEU: 36
; Occupancy: 16
; WaveLimiterHint : 1
; COMPUTE_PGM_RSRC2:SCRATCH_EN: 0
; COMPUTE_PGM_RSRC2:USER_SGPR: 15
; COMPUTE_PGM_RSRC2:TRAP_HANDLER: 0
; COMPUTE_PGM_RSRC2:TGID_X_EN: 1
; COMPUTE_PGM_RSRC2:TGID_Y_EN: 0
; COMPUTE_PGM_RSRC2:TGID_Z_EN: 0
; COMPUTE_PGM_RSRC2:TIDIG_COMP_CNT: 0
	.section	.text._ZN9rocsparseL27bsrgemm_fill_wf_per_row_2x2ILj256ELj16ELj32ELj137Eii21rocsparse_complex_numIfEEEv20rocsparse_direction_T4_S4_PKS4_S6_NS_24const_host_device_scalarIT5_EEPKT3_S6_PKS8_SC_S6_SE_S9_SC_S6_SE_SC_PS4_PS8_21rocsparse_index_base_SH_SH_SH_bbb,"axG",@progbits,_ZN9rocsparseL27bsrgemm_fill_wf_per_row_2x2ILj256ELj16ELj32ELj137Eii21rocsparse_complex_numIfEEEv20rocsparse_direction_T4_S4_PKS4_S6_NS_24const_host_device_scalarIT5_EEPKT3_S6_PKS8_SC_S6_SE_S9_SC_S6_SE_SC_PS4_PS8_21rocsparse_index_base_SH_SH_SH_bbb,comdat
	.globl	_ZN9rocsparseL27bsrgemm_fill_wf_per_row_2x2ILj256ELj16ELj32ELj137Eii21rocsparse_complex_numIfEEEv20rocsparse_direction_T4_S4_PKS4_S6_NS_24const_host_device_scalarIT5_EEPKT3_S6_PKS8_SC_S6_SE_S9_SC_S6_SE_SC_PS4_PS8_21rocsparse_index_base_SH_SH_SH_bbb ; -- Begin function _ZN9rocsparseL27bsrgemm_fill_wf_per_row_2x2ILj256ELj16ELj32ELj137Eii21rocsparse_complex_numIfEEEv20rocsparse_direction_T4_S4_PKS4_S6_NS_24const_host_device_scalarIT5_EEPKT3_S6_PKS8_SC_S6_SE_S9_SC_S6_SE_SC_PS4_PS8_21rocsparse_index_base_SH_SH_SH_bbb
	.p2align	8
	.type	_ZN9rocsparseL27bsrgemm_fill_wf_per_row_2x2ILj256ELj16ELj32ELj137Eii21rocsparse_complex_numIfEEEv20rocsparse_direction_T4_S4_PKS4_S6_NS_24const_host_device_scalarIT5_EEPKT3_S6_PKS8_SC_S6_SE_S9_SC_S6_SE_SC_PS4_PS8_21rocsparse_index_base_SH_SH_SH_bbb,@function
_ZN9rocsparseL27bsrgemm_fill_wf_per_row_2x2ILj256ELj16ELj32ELj137Eii21rocsparse_complex_numIfEEEv20rocsparse_direction_T4_S4_PKS4_S6_NS_24const_host_device_scalarIT5_EEPKT3_S6_PKS8_SC_S6_SE_S9_SC_S6_SE_SC_PS4_PS8_21rocsparse_index_base_SH_SH_SH_bbb: ; @_ZN9rocsparseL27bsrgemm_fill_wf_per_row_2x2ILj256ELj16ELj32ELj137Eii21rocsparse_complex_numIfEEEv20rocsparse_direction_T4_S4_PKS4_S6_NS_24const_host_device_scalarIT5_EEPKT3_S6_PKS8_SC_S6_SE_S9_SC_S6_SE_SC_PS4_PS8_21rocsparse_index_base_SH_SH_SH_bbb
; %bb.0:
	s_clause 0x6
	s_load_b32 s2, s[0:1], 0xa0
	s_load_b256 s[4:11], s[0:1], 0x68
	s_load_b256 s[16:23], s[0:1], 0x48
	s_load_b128 s[40:43], s[0:1], 0x10
	s_load_b256 s[24:31], s[0:1], 0x28
	s_load_b64 s[12:13], s[0:1], 0x88
	s_load_b128 s[36:39], s[0:1], 0x90
	s_mov_b32 s35, 0
	s_mov_b32 s44, 0
	s_waitcnt lgkmcnt(0)
	s_bitcmp1_b32 s2, 0
	s_cselect_b32 s45, -1, 0
	s_bitcmp1_b32 s2, 16
	s_cselect_b32 s3, -1, 0
	s_delay_alu instid0(SALU_CYCLE_1) | instskip(SKIP_2) | instid1(VALU_DEP_1)
	s_xor_b32 s3, s3, -1
	s_bitcmp0_b32 s2, 0
	v_cndmask_b32_e64 v1, 0, 1, s3
	v_cmp_ne_u32_e32 vcc_lo, 1, v1
	s_cbranch_scc1 .LBB47_5
; %bb.1:
	s_load_b64 s[34:35], s[0:1], 0x20
	s_and_b32 vcc_lo, exec_lo, vcc_lo
	s_waitcnt lgkmcnt(0)
	s_mov_b32 s44, s34
	s_cbranch_vccnz .LBB47_3
; %bb.2:
	s_load_b32 s44, s[34:35], 0x0
.LBB47_3:
	s_and_not1_b32 vcc_lo, exec_lo, s3
	s_cbranch_vccnz .LBB47_5
; %bb.4:
	s_load_b32 s35, s[34:35], 0x4
.LBB47_5:
	s_bitcmp1_b32 s2, 8
	s_mov_b32 s33, 0
	s_cselect_b32 s34, -1, 0
	s_bfe_u32 s2, s2, 0x10008
	s_mov_b32 s14, 0
	s_cmp_eq_u32 s2, 0
	s_cbranch_scc1 .LBB47_11
; %bb.6:
	v_cmp_ne_u32_e32 vcc_lo, 1, v1
	s_mov_b32 s14, s20
	s_cbranch_vccnz .LBB47_8
; %bb.7:
	s_load_b32 s14, s[20:21], 0x0
.LBB47_8:
	v_cmp_ne_u32_e32 vcc_lo, 1, v1
	s_cbranch_vccnz .LBB47_10
; %bb.9:
	s_load_b32 s21, s[20:21], 0x4
.LBB47_10:
	s_waitcnt lgkmcnt(0)
	s_mov_b32 s33, s21
.LBB47_11:
	s_load_b128 s[0:3], s[0:1], 0x0
	v_lshrrev_b32_e32 v2, 4, v0
	v_and_b32_e32 v15, 15, v0
	s_waitcnt lgkmcnt(0)
	s_mov_b32 s3, 0
	s_delay_alu instid0(VALU_DEP_2) | instskip(NEXT) | instid1(VALU_DEP_2)
	v_lshlrev_b32_e32 v3, 7, v2
	v_dual_mov_b32 v1, s2 :: v_dual_lshlrev_b32 v0, 2, v15
	s_delay_alu instid0(VALU_DEP_1) | instskip(NEXT) | instid1(VALU_DEP_1)
	v_or3_b32 v12, v3, v0, 0x4000
	v_mov_b32_e32 v0, v12
	v_or_b32_e32 v13, -16, v15
	s_delay_alu instid0(VALU_DEP_1)
	v_mov_b32_e32 v4, v13
.LBB47_12:                              ; =>This Inner Loop Header: Depth=1
	s_delay_alu instid0(VALU_DEP_1) | instskip(NEXT) | instid1(VALU_DEP_1)
	v_add_co_u32 v4, s20, v4, 16
	s_xor_b32 s20, s20, -1
	ds_store_b32 v0, v1
	v_add_nc_u32_e32 v0, 64, v0
	s_and_b32 s20, exec_lo, s20
	s_delay_alu instid0(SALU_CYCLE_1) | instskip(NEXT) | instid1(SALU_CYCLE_1)
	s_or_b32 s3, s20, s3
	s_and_not1_b32 exec_lo, exec_lo, s3
	s_cbranch_execnz .LBB47_12
; %bb.13:
	s_or_b32 exec_lo, exec_lo, s3
	v_dual_mov_b32 v0, 0 :: v_dual_mov_b32 v5, v13
	v_lshlrev_b32_e32 v16, 10, v2
	s_mov_b32 s3, 0
	s_delay_alu instid0(VALU_DEP_2) | instskip(NEXT) | instid1(VALU_DEP_2)
	v_mov_b32_e32 v1, v0
	v_lshl_or_b32 v4, v15, 3, v16
.LBB47_14:                              ; =>This Inner Loop Header: Depth=1
	v_add_nc_u32_e32 v5, 16, v5
	ds_store_b64 v4, v[0:1]
	v_add_nc_u32_e32 v4, 0x80, v4
	v_cmp_lt_u32_e32 vcc_lo, 0x6f, v5
	s_or_b32 s3, vcc_lo, s3
	s_delay_alu instid0(SALU_CYCLE_1)
	s_and_not1_b32 exec_lo, exec_lo, s3
	s_cbranch_execnz .LBB47_14
; %bb.15:
	s_or_b32 exec_lo, exec_lo, s3
	v_lshl_or_b32 v0, s15, 4, v2
	s_waitcnt lgkmcnt(0)
	s_barrier
	buffer_gl0_inv
	v_cmp_gt_i32_e32 vcc_lo, s1, v0
	s_and_saveexec_b32 s1, vcc_lo
	s_cbranch_execz .LBB47_131
; %bb.16:
	s_cmp_eq_u64 s[42:43], 0
	s_cbranch_scc1 .LBB47_18
; %bb.17:
	s_load_b32 s1, s[40:41], 0x0
	s_waitcnt lgkmcnt(0)
	v_add_nc_u32_e32 v0, s1, v0
	s_delay_alu instid0(VALU_DEP_1) | instskip(NEXT) | instid1(VALU_DEP_1)
	v_ashrrev_i32_e32 v1, 31, v0
	v_lshlrev_b64 v[0:1], 2, v[0:1]
	s_delay_alu instid0(VALU_DEP_1) | instskip(NEXT) | instid1(VALU_DEP_2)
	v_add_co_u32 v0, vcc_lo, s42, v0
	v_add_co_ci_u32_e32 v1, vcc_lo, s43, v1, vcc_lo
	global_load_b32 v0, v[0:1], off
.LBB47_18:
	s_waitcnt vmcnt(0)
	v_ashrrev_i32_e32 v1, 31, v0
	v_lshlrev_b32_e32 v17, 3, v3
	v_lshl_or_b32 v14, v2, 7, 0x4000
	s_and_not1_b32 vcc_lo, exec_lo, s45
	s_delay_alu instid0(VALU_DEP_3)
	v_lshlrev_b64 v[0:1], 2, v[0:1]
	s_cbranch_vccnz .LBB47_74
; %bb.19:
	s_delay_alu instid0(VALU_DEP_1) | instskip(NEXT) | instid1(VALU_DEP_2)
	v_add_co_u32 v2, vcc_lo, s24, v0
	v_add_co_ci_u32_e32 v3, vcc_lo, s25, v1, vcc_lo
	v_subrev_nc_u32_e32 v4, s36, v15
	s_mov_b32 s1, exec_lo
	global_load_b64 v[2:3], v[2:3], off
	s_waitcnt vmcnt(0)
	v_subrev_nc_u32_e32 v18, s36, v3
	v_add_nc_u32_e32 v2, v2, v4
	s_delay_alu instid0(VALU_DEP_1)
	v_cmpx_lt_i32_e64 v2, v18
	s_cbranch_execz .LBB47_73
; %bb.20:
	v_add_nc_u32_e32 v19, 8, v17
	v_add_nc_u32_e32 v20, 16, v17
	;; [unrolled: 1-line block ×3, first 2 shown]
	s_cmp_eq_u32 s0, 0
	s_mov_b32 s3, 0
	s_cselect_b32 s15, 2, 1
	s_cselect_b32 s20, 1, 2
	s_branch .LBB47_22
.LBB47_21:                              ;   in Loop: Header=BB47_22 Depth=1
	s_or_b32 exec_lo, exec_lo, s21
	v_add_nc_u32_e32 v2, 16, v2
	s_delay_alu instid0(VALU_DEP_1) | instskip(SKIP_1) | instid1(SALU_CYCLE_1)
	v_cmp_ge_i32_e32 vcc_lo, v2, v18
	s_or_b32 s3, vcc_lo, s3
	s_and_not1_b32 exec_lo, exec_lo, s3
	s_cbranch_execz .LBB47_73
.LBB47_22:                              ; =>This Loop Header: Depth=1
                                        ;     Child Loop BB47_25 Depth 2
                                        ;       Child Loop BB47_27 Depth 3
                                        ;       Child Loop BB47_39 Depth 3
                                        ;       Child Loop BB47_51 Depth 3
                                        ;       Child Loop BB47_63 Depth 3
	v_ashrrev_i32_e32 v3, 31, v2
	s_mov_b32 s21, exec_lo
	s_delay_alu instid0(VALU_DEP_1) | instskip(NEXT) | instid1(VALU_DEP_1)
	v_lshlrev_b64 v[3:4], 2, v[2:3]
	v_add_co_u32 v3, vcc_lo, s26, v3
	s_delay_alu instid0(VALU_DEP_2) | instskip(SKIP_3) | instid1(VALU_DEP_1)
	v_add_co_ci_u32_e32 v4, vcc_lo, s27, v4, vcc_lo
	global_load_b32 v3, v[3:4], off
	s_waitcnt vmcnt(0)
	v_subrev_nc_u32_e32 v3, s36, v3
	v_ashrrev_i32_e32 v4, 31, v3
	s_delay_alu instid0(VALU_DEP_1) | instskip(NEXT) | instid1(VALU_DEP_1)
	v_lshlrev_b64 v[3:4], 2, v[3:4]
	v_add_co_u32 v3, vcc_lo, s30, v3
	s_delay_alu instid0(VALU_DEP_2)
	v_add_co_ci_u32_e32 v4, vcc_lo, s31, v4, vcc_lo
	global_load_b64 v[3:4], v[3:4], off
	s_waitcnt vmcnt(0)
	v_cmpx_lt_i32_e64 v3, v4
	s_cbranch_execz .LBB47_21
; %bb.23:                               ;   in Loop: Header=BB47_22 Depth=1
	v_lshlrev_b32_e32 v5, 2, v2
	v_subrev_nc_u32_e32 v24, s37, v4
	v_subrev_nc_u32_e32 v3, s37, v3
	s_mov_b32 s24, 0
	s_delay_alu instid0(VALU_DEP_3) | instskip(SKIP_2) | instid1(VALU_DEP_3)
	v_or_b32_e32 v7, s15, v5
	v_ashrrev_i32_e32 v6, 31, v5
	v_or_b32_e32 v9, s20, v5
	v_ashrrev_i32_e32 v8, 31, v7
	s_delay_alu instid0(VALU_DEP_3) | instskip(NEXT) | instid1(VALU_DEP_3)
	v_lshlrev_b64 v[5:6], 3, v[5:6]
	v_ashrrev_i32_e32 v10, 31, v9
	s_delay_alu instid0(VALU_DEP_3) | instskip(NEXT) | instid1(VALU_DEP_3)
	v_lshlrev_b64 v[7:8], 3, v[7:8]
	v_add_co_u32 v5, vcc_lo, s28, v5
	s_delay_alu instid0(VALU_DEP_3) | instskip(SKIP_1) | instid1(VALU_DEP_4)
	v_lshlrev_b64 v[9:10], 3, v[9:10]
	v_add_co_ci_u32_e32 v6, vcc_lo, s29, v6, vcc_lo
	v_add_co_u32 v7, vcc_lo, s28, v7
	v_add_co_ci_u32_e32 v8, vcc_lo, s29, v8, vcc_lo
	s_delay_alu instid0(VALU_DEP_4)
	v_add_co_u32 v9, vcc_lo, s28, v9
	global_load_b64 v[25:26], v[5:6], off
	v_add_co_ci_u32_e32 v10, vcc_lo, s29, v10, vcc_lo
	s_clause 0x2
	global_load_b64 v[7:8], v[7:8], off
	global_load_b64 v[9:10], v[9:10], off
	global_load_b64 v[5:6], v[5:6], off offset:24
	s_waitcnt vmcnt(3)
	v_mul_f32_e64 v22, v26, -s35
	s_waitcnt vmcnt(2)
	v_dual_mul_f32 v23, s44, v26 :: v_dual_mul_f32 v26, s44, v8
	s_waitcnt vmcnt(1)
	v_mul_f32_e64 v30, v10, -s35
	v_fmac_f32_e32 v22, s44, v25
	s_delay_alu instid0(VALU_DEP_3)
	v_fmac_f32_e32 v23, s35, v25
	v_mul_f32_e64 v25, v8, -s35
	v_fmac_f32_e32 v26, s35, v7
	s_waitcnt vmcnt(0)
	v_mul_f32_e64 v28, v6, -s35
	v_mul_f32_e32 v27, s44, v6
	v_dual_mul_f32 v29, s44, v10 :: v_dual_fmac_f32 v30, s44, v9
	s_delay_alu instid0(VALU_DEP_3) | instskip(NEXT) | instid1(VALU_DEP_3)
	v_dual_fmac_f32 v25, s44, v7 :: v_dual_fmac_f32 v28, s44, v5
	v_fmac_f32_e32 v27, s35, v5
	s_delay_alu instid0(VALU_DEP_3)
	v_fmac_f32_e32 v29, s35, v9
	s_branch .LBB47_25
.LBB47_24:                              ;   in Loop: Header=BB47_25 Depth=2
	s_or_b32 exec_lo, exec_lo, s25
	v_add_nc_u32_e32 v3, 1, v3
	s_delay_alu instid0(VALU_DEP_1) | instskip(SKIP_1) | instid1(SALU_CYCLE_1)
	v_cmp_ge_i32_e32 vcc_lo, v3, v24
	s_or_b32 s24, vcc_lo, s24
	s_and_not1_b32 exec_lo, exec_lo, s24
	s_cbranch_execz .LBB47_21
.LBB47_25:                              ;   Parent Loop BB47_22 Depth=1
                                        ; =>  This Loop Header: Depth=2
                                        ;       Child Loop BB47_27 Depth 3
                                        ;       Child Loop BB47_39 Depth 3
	;; [unrolled: 1-line block ×4, first 2 shown]
	v_lshlrev_b32_e32 v5, 2, v3
	v_ashrrev_i32_e32 v4, 31, v3
	s_mov_b32 s25, 0
	s_delay_alu instid0(VALU_DEP_2) | instskip(NEXT) | instid1(VALU_DEP_2)
	v_or_b32_e32 v6, s15, v5
	v_lshlrev_b64 v[9:10], 2, v[3:4]
	v_or_b32_e32 v31, s20, v5
	s_delay_alu instid0(VALU_DEP_3) | instskip(NEXT) | instid1(VALU_DEP_2)
	v_ashrrev_i32_e32 v7, 31, v6
	v_ashrrev_i32_e32 v32, 31, v31
	s_delay_alu instid0(VALU_DEP_2) | instskip(SKIP_1) | instid1(VALU_DEP_1)
	v_lshlrev_b64 v[7:8], 3, v[6:7]
	v_ashrrev_i32_e32 v6, 31, v5
	v_lshlrev_b64 v[4:5], 3, v[5:6]
	s_delay_alu instid0(VALU_DEP_3) | instskip(NEXT) | instid1(VALU_DEP_4)
	v_add_co_u32 v7, vcc_lo, s18, v7
	v_add_co_ci_u32_e32 v8, vcc_lo, s19, v8, vcc_lo
	v_add_co_u32 v33, vcc_lo, s16, v9
	v_add_co_ci_u32_e32 v34, vcc_lo, s17, v10, vcc_lo
	global_load_b64 v[10:11], v[7:8], off
	global_load_b32 v34, v[33:34], off
	v_add_co_u32 v6, vcc_lo, s18, v4
	v_add_co_ci_u32_e32 v7, vcc_lo, s19, v5, vcc_lo
	v_lshlrev_b64 v[4:5], 3, v[31:32]
	global_load_b64 v[8:9], v[6:7], off
	v_add_co_u32 v4, vcc_lo, s18, v4
	v_add_co_ci_u32_e32 v5, vcc_lo, s19, v5, vcc_lo
	s_clause 0x1
	global_load_b64 v[4:5], v[4:5], off
	global_load_b64 v[6:7], v[6:7], off offset:24
	s_waitcnt vmcnt(4)
	v_mul_f32_e64 v35, v11, -v29
	s_waitcnt vmcnt(3)
	v_subrev_nc_u32_e32 v31, s37, v34
	s_delay_alu instid0(VALU_DEP_2) | instskip(NEXT) | instid1(VALU_DEP_2)
	v_fmac_f32_e32 v35, v30, v10
	v_lshl_add_u32 v32, v31, 3, v31
	v_mul_f32_e32 v33, v30, v11
	s_waitcnt vmcnt(2)
	s_delay_alu instid0(VALU_DEP_3) | instskip(NEXT) | instid1(VALU_DEP_2)
	v_fmac_f32_e32 v35, v22, v8
	v_dual_fmac_f32 v33, v29, v10 :: v_dual_and_b32 v32, 31, v32
	s_delay_alu instid0(VALU_DEP_2) | instskip(NEXT) | instid1(VALU_DEP_2)
	v_fma_f32 v34, -v23, v9, v35
	v_mov_b32_e32 v35, v32
	s_delay_alu instid0(VALU_DEP_3) | instskip(NEXT) | instid1(VALU_DEP_1)
	v_fmac_f32_e32 v33, v23, v8
	v_fmac_f32_e32 v33, v22, v9
	s_branch .LBB47_27
.LBB47_26:                              ;   in Loop: Header=BB47_27 Depth=3
	s_or_b32 exec_lo, exec_lo, s40
	s_xor_b32 s40, s41, -1
	s_delay_alu instid0(SALU_CYCLE_1) | instskip(NEXT) | instid1(SALU_CYCLE_1)
	s_and_b32 s40, exec_lo, s40
	s_or_b32 s25, s40, s25
	s_delay_alu instid0(SALU_CYCLE_1)
	s_and_not1_b32 exec_lo, exec_lo, s25
	s_cbranch_execz .LBB47_37
.LBB47_27:                              ;   Parent Loop BB47_22 Depth=1
                                        ;     Parent Loop BB47_25 Depth=2
                                        ; =>    This Inner Loop Header: Depth=3
	s_delay_alu instid0(VALU_DEP_3)
	v_lshl_add_u32 v36, v35, 2, v14
	s_mov_b32 s40, exec_lo
                                        ; implicit-def: $sgpr41
	ds_load_b32 v37, v36
	s_waitcnt lgkmcnt(0)
	v_cmpx_ne_u32_e64 v37, v31
	s_xor_b32 s40, exec_lo, s40
	s_cbranch_execz .LBB47_35
; %bb.28:                               ;   in Loop: Header=BB47_27 Depth=3
	s_mov_b32 s42, exec_lo
                                        ; implicit-def: $sgpr41
	v_cmpx_ne_u32_e64 s2, v37
	s_xor_b32 s42, exec_lo, s42
; %bb.29:                               ;   in Loop: Header=BB47_27 Depth=3
	v_add_nc_u32_e32 v35, 1, v35
	s_mov_b32 s41, -1
                                        ; implicit-def: $vgpr36
	s_delay_alu instid0(VALU_DEP_1)
	v_and_b32_e32 v35, 31, v35
; %bb.30:                               ;   in Loop: Header=BB47_27 Depth=3
	s_and_not1_saveexec_b32 s42, s42
	s_cbranch_execz .LBB47_34
; %bb.31:                               ;   in Loop: Header=BB47_27 Depth=3
	v_mov_b32_e32 v37, s2
	s_mov_b32 s43, -1
	s_mov_b32 s45, exec_lo
	ds_cmpstore_rtn_b32 v36, v36, v31, v37
	s_waitcnt lgkmcnt(0)
	v_cmpx_eq_u32_e64 s2, v36
	s_cbranch_execz .LBB47_33
; %bb.32:                               ;   in Loop: Header=BB47_27 Depth=3
	v_lshl_add_u32 v36, v35, 5, v17
	s_xor_b32 s43, exec_lo, -1
	ds_add_f32 v36, v34
	ds_add_f32 v36, v33 offset:4
.LBB47_33:                              ;   in Loop: Header=BB47_27 Depth=3
	s_or_b32 exec_lo, exec_lo, s45
	s_delay_alu instid0(SALU_CYCLE_1) | instskip(SKIP_1) | instid1(SALU_CYCLE_1)
	s_and_not1_b32 s41, s41, exec_lo
	s_and_b32 s43, s43, exec_lo
	s_or_b32 s41, s41, s43
.LBB47_34:                              ;   in Loop: Header=BB47_27 Depth=3
	s_or_b32 exec_lo, exec_lo, s42
	s_delay_alu instid0(SALU_CYCLE_1)
	s_and_b32 s41, s41, exec_lo
.LBB47_35:                              ;   in Loop: Header=BB47_27 Depth=3
	s_and_not1_saveexec_b32 s40, s40
	s_cbranch_execz .LBB47_26
; %bb.36:                               ;   in Loop: Header=BB47_27 Depth=3
	v_lshl_add_u32 v36, v35, 5, v17
	s_and_not1_b32 s41, s41, exec_lo
	ds_add_f32 v36, v34
	ds_add_f32 v36, v33 offset:4
	s_branch .LBB47_26
.LBB47_37:                              ;   in Loop: Header=BB47_25 Depth=2
	s_or_b32 exec_lo, exec_lo, s25
	s_waitcnt vmcnt(0)
	v_mul_f32_e64 v34, v7, -v29
	v_mul_f32_e32 v33, v30, v7
	v_mov_b32_e32 v35, v32
	s_mov_b32 s25, 0
	s_delay_alu instid0(VALU_DEP_2) | instskip(NEXT) | instid1(VALU_DEP_1)
	v_fmac_f32_e32 v33, v29, v6
	v_dual_fmac_f32 v34, v30, v6 :: v_dual_fmac_f32 v33, v23, v4
	s_delay_alu instid0(VALU_DEP_1) | instskip(NEXT) | instid1(VALU_DEP_2)
	v_fmac_f32_e32 v34, v22, v4
	v_fmac_f32_e32 v33, v22, v5
	s_delay_alu instid0(VALU_DEP_2)
	v_fma_f32 v34, -v23, v5, v34
	s_branch .LBB47_39
.LBB47_38:                              ;   in Loop: Header=BB47_39 Depth=3
	s_or_b32 exec_lo, exec_lo, s40
	s_xor_b32 s40, s41, -1
	s_delay_alu instid0(SALU_CYCLE_1) | instskip(NEXT) | instid1(SALU_CYCLE_1)
	s_and_b32 s40, exec_lo, s40
	s_or_b32 s25, s40, s25
	s_delay_alu instid0(SALU_CYCLE_1)
	s_and_not1_b32 exec_lo, exec_lo, s25
	s_cbranch_execz .LBB47_49
.LBB47_39:                              ;   Parent Loop BB47_22 Depth=1
                                        ;     Parent Loop BB47_25 Depth=2
                                        ; =>    This Inner Loop Header: Depth=3
	v_lshl_add_u32 v36, v35, 2, v14
	s_mov_b32 s40, exec_lo
                                        ; implicit-def: $sgpr41
	ds_load_b32 v37, v36
	s_waitcnt lgkmcnt(0)
	v_cmpx_ne_u32_e64 v37, v31
	s_xor_b32 s40, exec_lo, s40
	s_cbranch_execz .LBB47_47
; %bb.40:                               ;   in Loop: Header=BB47_39 Depth=3
	s_mov_b32 s42, exec_lo
                                        ; implicit-def: $sgpr41
	v_cmpx_ne_u32_e64 s2, v37
	s_xor_b32 s42, exec_lo, s42
; %bb.41:                               ;   in Loop: Header=BB47_39 Depth=3
	v_add_nc_u32_e32 v35, 1, v35
	s_mov_b32 s41, -1
                                        ; implicit-def: $vgpr36
	s_delay_alu instid0(VALU_DEP_1)
	v_and_b32_e32 v35, 31, v35
; %bb.42:                               ;   in Loop: Header=BB47_39 Depth=3
	s_and_not1_saveexec_b32 s42, s42
	s_cbranch_execz .LBB47_46
; %bb.43:                               ;   in Loop: Header=BB47_39 Depth=3
	v_mov_b32_e32 v37, s2
	s_mov_b32 s43, -1
	s_mov_b32 s45, exec_lo
	ds_cmpstore_rtn_b32 v36, v36, v31, v37
	s_waitcnt lgkmcnt(0)
	v_cmpx_eq_u32_e64 s2, v36
	s_cbranch_execz .LBB47_45
; %bb.44:                               ;   in Loop: Header=BB47_39 Depth=3
	v_lshl_add_u32 v36, v35, 5, v19
	s_xor_b32 s43, exec_lo, -1
	ds_add_f32 v36, v34
	ds_add_f32 v36, v33 offset:4
.LBB47_45:                              ;   in Loop: Header=BB47_39 Depth=3
	s_or_b32 exec_lo, exec_lo, s45
	s_delay_alu instid0(SALU_CYCLE_1) | instskip(SKIP_1) | instid1(SALU_CYCLE_1)
	s_and_not1_b32 s41, s41, exec_lo
	s_and_b32 s43, s43, exec_lo
	s_or_b32 s41, s41, s43
.LBB47_46:                              ;   in Loop: Header=BB47_39 Depth=3
	s_or_b32 exec_lo, exec_lo, s42
	s_delay_alu instid0(SALU_CYCLE_1)
	s_and_b32 s41, s41, exec_lo
.LBB47_47:                              ;   in Loop: Header=BB47_39 Depth=3
	s_and_not1_saveexec_b32 s40, s40
	s_cbranch_execz .LBB47_38
; %bb.48:                               ;   in Loop: Header=BB47_39 Depth=3
	v_lshl_add_u32 v36, v35, 5, v19
	s_and_not1_b32 s41, s41, exec_lo
	ds_add_f32 v36, v34
	ds_add_f32 v36, v33 offset:4
	s_branch .LBB47_38
.LBB47_49:                              ;   in Loop: Header=BB47_25 Depth=2
	s_or_b32 exec_lo, exec_lo, s25
	v_mul_f32_e64 v33, v11, -v27
	v_mul_f32_e32 v11, v28, v11
	s_mov_b32 s25, 0
	s_delay_alu instid0(VALU_DEP_2) | instskip(NEXT) | instid1(VALU_DEP_2)
	v_fmac_f32_e32 v33, v28, v10
	v_fmac_f32_e32 v11, v27, v10
	s_delay_alu instid0(VALU_DEP_2) | instskip(NEXT) | instid1(VALU_DEP_2)
	v_fmac_f32_e32 v33, v25, v8
	v_fmac_f32_e32 v11, v26, v8
	s_delay_alu instid0(VALU_DEP_2) | instskip(NEXT) | instid1(VALU_DEP_2)
	v_fma_f32 v8, -v26, v9, v33
	v_fmac_f32_e32 v11, v25, v9
	v_mov_b32_e32 v9, v32
	s_branch .LBB47_51
.LBB47_50:                              ;   in Loop: Header=BB47_51 Depth=3
	s_or_b32 exec_lo, exec_lo, s40
	s_xor_b32 s40, s41, -1
	s_delay_alu instid0(SALU_CYCLE_1) | instskip(NEXT) | instid1(SALU_CYCLE_1)
	s_and_b32 s40, exec_lo, s40
	s_or_b32 s25, s40, s25
	s_delay_alu instid0(SALU_CYCLE_1)
	s_and_not1_b32 exec_lo, exec_lo, s25
	s_cbranch_execz .LBB47_61
.LBB47_51:                              ;   Parent Loop BB47_22 Depth=1
                                        ;     Parent Loop BB47_25 Depth=2
                                        ; =>    This Inner Loop Header: Depth=3
	s_delay_alu instid0(VALU_DEP_1)
	v_lshl_add_u32 v10, v9, 2, v14
	s_mov_b32 s40, exec_lo
                                        ; implicit-def: $sgpr41
	ds_load_b32 v33, v10
	s_waitcnt lgkmcnt(0)
	v_cmpx_ne_u32_e64 v33, v31
	s_xor_b32 s40, exec_lo, s40
	s_cbranch_execz .LBB47_59
; %bb.52:                               ;   in Loop: Header=BB47_51 Depth=3
	s_mov_b32 s42, exec_lo
                                        ; implicit-def: $sgpr41
	v_cmpx_ne_u32_e64 s2, v33
	s_xor_b32 s42, exec_lo, s42
; %bb.53:                               ;   in Loop: Header=BB47_51 Depth=3
	v_add_nc_u32_e32 v9, 1, v9
	s_mov_b32 s41, -1
                                        ; implicit-def: $vgpr10
	s_delay_alu instid0(VALU_DEP_1)
	v_and_b32_e32 v9, 31, v9
; %bb.54:                               ;   in Loop: Header=BB47_51 Depth=3
	s_and_not1_saveexec_b32 s42, s42
	s_cbranch_execz .LBB47_58
; %bb.55:                               ;   in Loop: Header=BB47_51 Depth=3
	v_mov_b32_e32 v33, s2
	s_mov_b32 s43, -1
	s_mov_b32 s45, exec_lo
	ds_cmpstore_rtn_b32 v10, v10, v31, v33
	s_waitcnt lgkmcnt(0)
	v_cmpx_eq_u32_e64 s2, v10
	s_cbranch_execz .LBB47_57
; %bb.56:                               ;   in Loop: Header=BB47_51 Depth=3
	v_lshl_add_u32 v10, v9, 5, v20
	s_xor_b32 s43, exec_lo, -1
	ds_add_f32 v10, v8
	ds_add_f32 v10, v11 offset:4
.LBB47_57:                              ;   in Loop: Header=BB47_51 Depth=3
	s_or_b32 exec_lo, exec_lo, s45
	s_delay_alu instid0(SALU_CYCLE_1) | instskip(SKIP_1) | instid1(SALU_CYCLE_1)
	s_and_not1_b32 s41, s41, exec_lo
	s_and_b32 s43, s43, exec_lo
	s_or_b32 s41, s41, s43
.LBB47_58:                              ;   in Loop: Header=BB47_51 Depth=3
	s_or_b32 exec_lo, exec_lo, s42
	s_delay_alu instid0(SALU_CYCLE_1)
	s_and_b32 s41, s41, exec_lo
.LBB47_59:                              ;   in Loop: Header=BB47_51 Depth=3
	s_and_not1_saveexec_b32 s40, s40
	s_cbranch_execz .LBB47_50
; %bb.60:                               ;   in Loop: Header=BB47_51 Depth=3
	v_lshl_add_u32 v10, v9, 5, v20
	s_and_not1_b32 s41, s41, exec_lo
	ds_add_f32 v10, v8
	ds_add_f32 v10, v11 offset:4
	s_branch .LBB47_50
.LBB47_61:                              ;   in Loop: Header=BB47_25 Depth=2
	s_or_b32 exec_lo, exec_lo, s25
	v_mul_f32_e64 v8, v7, -v27
	s_mov_b32 s25, 0
	s_delay_alu instid0(VALU_DEP_1) | instskip(NEXT) | instid1(VALU_DEP_1)
	v_fmac_f32_e32 v8, v28, v6
	v_dual_mul_f32 v7, v28, v7 :: v_dual_fmac_f32 v8, v25, v4
	s_delay_alu instid0(VALU_DEP_1) | instskip(NEXT) | instid1(VALU_DEP_1)
	v_fmac_f32_e32 v7, v27, v6
	v_fmac_f32_e32 v7, v26, v4
	s_delay_alu instid0(VALU_DEP_3) | instskip(NEXT) | instid1(VALU_DEP_2)
	v_fma_f32 v4, -v26, v5, v8
	v_fmac_f32_e32 v7, v25, v5
	s_branch .LBB47_63
.LBB47_62:                              ;   in Loop: Header=BB47_63 Depth=3
	s_or_b32 exec_lo, exec_lo, s40
	s_xor_b32 s40, s41, -1
	s_delay_alu instid0(SALU_CYCLE_1) | instskip(NEXT) | instid1(SALU_CYCLE_1)
	s_and_b32 s40, exec_lo, s40
	s_or_b32 s25, s40, s25
	s_delay_alu instid0(SALU_CYCLE_1)
	s_and_not1_b32 exec_lo, exec_lo, s25
	s_cbranch_execz .LBB47_24
.LBB47_63:                              ;   Parent Loop BB47_22 Depth=1
                                        ;     Parent Loop BB47_25 Depth=2
                                        ; =>    This Inner Loop Header: Depth=3
	v_lshl_add_u32 v5, v32, 2, v14
	s_mov_b32 s40, exec_lo
                                        ; implicit-def: $sgpr41
	ds_load_b32 v6, v5
	s_waitcnt lgkmcnt(0)
	v_cmpx_ne_u32_e64 v6, v31
	s_xor_b32 s40, exec_lo, s40
	s_cbranch_execz .LBB47_71
; %bb.64:                               ;   in Loop: Header=BB47_63 Depth=3
	s_mov_b32 s42, exec_lo
                                        ; implicit-def: $sgpr41
	v_cmpx_ne_u32_e64 s2, v6
	s_xor_b32 s42, exec_lo, s42
; %bb.65:                               ;   in Loop: Header=BB47_63 Depth=3
	v_add_nc_u32_e32 v5, 1, v32
	s_mov_b32 s41, -1
	s_delay_alu instid0(VALU_DEP_1)
	v_and_b32_e32 v32, 31, v5
                                        ; implicit-def: $vgpr5
; %bb.66:                               ;   in Loop: Header=BB47_63 Depth=3
	s_and_not1_saveexec_b32 s42, s42
	s_cbranch_execz .LBB47_70
; %bb.67:                               ;   in Loop: Header=BB47_63 Depth=3
	v_mov_b32_e32 v6, s2
	s_mov_b32 s43, -1
	s_mov_b32 s45, exec_lo
	ds_cmpstore_rtn_b32 v5, v5, v31, v6
	s_waitcnt lgkmcnt(0)
	v_cmpx_eq_u32_e64 s2, v5
	s_cbranch_execz .LBB47_69
; %bb.68:                               ;   in Loop: Header=BB47_63 Depth=3
	v_lshl_add_u32 v5, v32, 5, v21
	s_xor_b32 s43, exec_lo, -1
	ds_add_f32 v5, v4
	ds_add_f32 v5, v7 offset:4
.LBB47_69:                              ;   in Loop: Header=BB47_63 Depth=3
	s_or_b32 exec_lo, exec_lo, s45
	s_delay_alu instid0(SALU_CYCLE_1) | instskip(SKIP_1) | instid1(SALU_CYCLE_1)
	s_and_not1_b32 s41, s41, exec_lo
	s_and_b32 s43, s43, exec_lo
	s_or_b32 s41, s41, s43
.LBB47_70:                              ;   in Loop: Header=BB47_63 Depth=3
	s_or_b32 exec_lo, exec_lo, s42
	s_delay_alu instid0(SALU_CYCLE_1)
	s_and_b32 s41, s41, exec_lo
.LBB47_71:                              ;   in Loop: Header=BB47_63 Depth=3
	s_and_not1_saveexec_b32 s40, s40
	s_cbranch_execz .LBB47_62
; %bb.72:                               ;   in Loop: Header=BB47_63 Depth=3
	v_lshl_add_u32 v5, v32, 5, v21
	s_and_not1_b32 s41, s41, exec_lo
	ds_add_f32 v5, v4
	ds_add_f32 v5, v7 offset:4
	s_branch .LBB47_62
.LBB47_73:
	s_or_b32 exec_lo, exec_lo, s1
.LBB47_74:
	s_delay_alu instid0(SALU_CYCLE_1)
	s_and_not1_b32 vcc_lo, exec_lo, s34
	s_waitcnt lgkmcnt(0)
	buffer_gl0_inv
	s_cbranch_vccnz .LBB47_127
; %bb.75:
	v_add_co_u32 v2, vcc_lo, s22, v0
	v_add_co_ci_u32_e32 v3, vcc_lo, s23, v1, vcc_lo
	v_subrev_nc_u32_e32 v4, s39, v15
	s_mov_b32 s1, exec_lo
	global_load_b64 v[2:3], v[2:3], off
	s_waitcnt vmcnt(0)
	v_subrev_nc_u32_e32 v9, s39, v3
	v_add_nc_u32_e32 v2, v2, v4
	s_delay_alu instid0(VALU_DEP_1)
	v_cmpx_lt_i32_e64 v2, v9
	s_cbranch_execz .LBB47_126
; %bb.76:
	v_add_nc_u32_e32 v10, 8, v17
	v_add_nc_u32_e32 v11, 16, v17
	;; [unrolled: 1-line block ×3, first 2 shown]
	s_cmp_eq_u32 s0, 0
	s_mov_b32 s3, 0
	s_cselect_b32 s15, 1, 2
	s_cselect_b32 s16, 2, 1
	s_branch .LBB47_78
.LBB47_77:                              ;   in Loop: Header=BB47_78 Depth=1
	s_or_b32 exec_lo, exec_lo, s17
	v_add_nc_u32_e32 v2, 16, v2
	s_delay_alu instid0(VALU_DEP_1) | instskip(SKIP_1) | instid1(SALU_CYCLE_1)
	v_cmp_ge_i32_e32 vcc_lo, v2, v9
	s_or_b32 s3, vcc_lo, s3
	s_and_not1_b32 exec_lo, exec_lo, s3
	s_cbranch_execz .LBB47_126
.LBB47_78:                              ; =>This Loop Header: Depth=1
                                        ;     Child Loop BB47_80 Depth 2
                                        ;     Child Loop BB47_92 Depth 2
	;; [unrolled: 1-line block ×4, first 2 shown]
	v_ashrrev_i32_e32 v3, 31, v2
	v_lshlrev_b32_e32 v4, 2, v2
	s_mov_b32 s17, 0
	s_delay_alu instid0(VALU_DEP_2) | instskip(NEXT) | instid1(VALU_DEP_2)
	v_lshlrev_b64 v[6:7], 2, v[2:3]
	v_ashrrev_i32_e32 v5, 31, v4
	v_or_b32_e32 v3, s15, v4
	s_delay_alu instid0(VALU_DEP_2) | instskip(NEXT) | instid1(VALU_DEP_4)
	v_lshlrev_b64 v[19:20], 3, v[4:5]
	v_add_co_u32 v6, vcc_lo, s4, v6
	v_add_co_ci_u32_e32 v7, vcc_lo, s5, v7, vcc_lo
	v_or_b32_e32 v5, s16, v4
	v_ashrrev_i32_e32 v4, 31, v3
	global_load_b32 v21, v[6:7], off
	v_add_co_u32 v7, vcc_lo, s6, v19
	v_ashrrev_i32_e32 v6, 31, v5
	v_add_co_ci_u32_e32 v8, vcc_lo, s7, v20, vcc_lo
	v_lshlrev_b64 v[3:4], 3, v[3:4]
	s_delay_alu instid0(VALU_DEP_3)
	v_lshlrev_b64 v[5:6], 3, v[5:6]
	global_load_b64 v[23:24], v[7:8], off
	v_add_co_u32 v19, vcc_lo, s6, v3
	v_add_co_ci_u32_e32 v20, vcc_lo, s7, v4, vcc_lo
	v_add_co_u32 v5, vcc_lo, s6, v5
	v_add_co_ci_u32_e32 v6, vcc_lo, s7, v6, vcc_lo
	s_clause 0x2
	global_load_b64 v[3:4], v[7:8], off offset:24
	global_load_b64 v[7:8], v[19:20], off
	global_load_b64 v[5:6], v[5:6], off
	s_waitcnt vmcnt(4)
	v_subrev_nc_u32_e32 v19, s39, v21
	s_delay_alu instid0(VALU_DEP_1) | instskip(SKIP_2) | instid1(VALU_DEP_2)
	v_lshl_add_u32 v20, v19, 3, v19
	s_waitcnt vmcnt(3)
	v_mul_f32_e64 v21, v24, -s33
	v_and_b32_e32 v20, 31, v20
	s_delay_alu instid0(VALU_DEP_2) | instskip(NEXT) | instid1(VALU_DEP_1)
	v_dual_mul_f32 v22, s14, v24 :: v_dual_fmac_f32 v21, s14, v23
	v_dual_fmac_f32 v22, s33, v23 :: v_dual_mov_b32 v23, v20
	s_branch .LBB47_80
.LBB47_79:                              ;   in Loop: Header=BB47_80 Depth=2
	s_or_b32 exec_lo, exec_lo, s18
	s_xor_b32 s18, s19, -1
	s_delay_alu instid0(SALU_CYCLE_1) | instskip(NEXT) | instid1(SALU_CYCLE_1)
	s_and_b32 s18, exec_lo, s18
	s_or_b32 s17, s18, s17
	s_delay_alu instid0(SALU_CYCLE_1)
	s_and_not1_b32 exec_lo, exec_lo, s17
	s_cbranch_execz .LBB47_90
.LBB47_80:                              ;   Parent Loop BB47_78 Depth=1
                                        ; =>  This Inner Loop Header: Depth=2
	s_delay_alu instid0(VALU_DEP_1)
	v_lshl_add_u32 v24, v23, 2, v14
	s_mov_b32 s18, exec_lo
                                        ; implicit-def: $sgpr19
	ds_load_b32 v25, v24
	s_waitcnt lgkmcnt(0)
	v_cmpx_ne_u32_e64 v25, v19
	s_xor_b32 s18, exec_lo, s18
	s_cbranch_execz .LBB47_88
; %bb.81:                               ;   in Loop: Header=BB47_80 Depth=2
	s_mov_b32 s20, exec_lo
                                        ; implicit-def: $sgpr19
	v_cmpx_ne_u32_e64 s2, v25
	s_xor_b32 s20, exec_lo, s20
; %bb.82:                               ;   in Loop: Header=BB47_80 Depth=2
	v_add_nc_u32_e32 v23, 1, v23
	s_mov_b32 s19, -1
                                        ; implicit-def: $vgpr24
	s_delay_alu instid0(VALU_DEP_1)
	v_and_b32_e32 v23, 31, v23
; %bb.83:                               ;   in Loop: Header=BB47_80 Depth=2
	s_and_not1_saveexec_b32 s20, s20
	s_cbranch_execz .LBB47_87
; %bb.84:                               ;   in Loop: Header=BB47_80 Depth=2
	v_mov_b32_e32 v25, s2
	s_mov_b32 s21, -1
	s_mov_b32 s22, exec_lo
	ds_cmpstore_rtn_b32 v24, v24, v19, v25
	s_waitcnt lgkmcnt(0)
	v_cmpx_eq_u32_e64 s2, v24
	s_cbranch_execz .LBB47_86
; %bb.85:                               ;   in Loop: Header=BB47_80 Depth=2
	v_lshl_add_u32 v24, v23, 5, v17
	s_xor_b32 s21, exec_lo, -1
	ds_add_f32 v24, v21
	ds_add_f32 v24, v22 offset:4
.LBB47_86:                              ;   in Loop: Header=BB47_80 Depth=2
	s_or_b32 exec_lo, exec_lo, s22
	s_delay_alu instid0(SALU_CYCLE_1) | instskip(SKIP_1) | instid1(SALU_CYCLE_1)
	s_and_not1_b32 s19, s19, exec_lo
	s_and_b32 s21, s21, exec_lo
	s_or_b32 s19, s19, s21
.LBB47_87:                              ;   in Loop: Header=BB47_80 Depth=2
	s_or_b32 exec_lo, exec_lo, s20
	s_delay_alu instid0(SALU_CYCLE_1)
	s_and_b32 s19, s19, exec_lo
.LBB47_88:                              ;   in Loop: Header=BB47_80 Depth=2
	s_and_not1_saveexec_b32 s18, s18
	s_cbranch_execz .LBB47_79
; %bb.89:                               ;   in Loop: Header=BB47_80 Depth=2
	v_lshl_add_u32 v24, v23, 5, v17
	s_and_not1_b32 s19, s19, exec_lo
	ds_add_f32 v24, v21
	ds_add_f32 v24, v22 offset:4
	s_branch .LBB47_79
.LBB47_90:                              ;   in Loop: Header=BB47_78 Depth=1
	s_or_b32 exec_lo, exec_lo, s17
	s_waitcnt vmcnt(1)
	v_mul_f32_e64 v21, v8, -s33
	v_mul_f32_e32 v8, s14, v8
	s_mov_b32 s17, 0
	s_delay_alu instid0(VALU_DEP_2) | instskip(NEXT) | instid1(VALU_DEP_2)
	v_fmac_f32_e32 v21, s14, v7
	v_dual_fmac_f32 v8, s33, v7 :: v_dual_mov_b32 v7, v20
	s_branch .LBB47_92
.LBB47_91:                              ;   in Loop: Header=BB47_92 Depth=2
	s_or_b32 exec_lo, exec_lo, s18
	s_xor_b32 s18, s19, -1
	s_delay_alu instid0(SALU_CYCLE_1) | instskip(NEXT) | instid1(SALU_CYCLE_1)
	s_and_b32 s18, exec_lo, s18
	s_or_b32 s17, s18, s17
	s_delay_alu instid0(SALU_CYCLE_1)
	s_and_not1_b32 exec_lo, exec_lo, s17
	s_cbranch_execz .LBB47_102
.LBB47_92:                              ;   Parent Loop BB47_78 Depth=1
                                        ; =>  This Inner Loop Header: Depth=2
	s_delay_alu instid0(VALU_DEP_1)
	v_lshl_add_u32 v22, v7, 2, v14
	s_mov_b32 s18, exec_lo
                                        ; implicit-def: $sgpr19
	ds_load_b32 v23, v22
	s_waitcnt lgkmcnt(0)
	v_cmpx_ne_u32_e64 v23, v19
	s_xor_b32 s18, exec_lo, s18
	s_cbranch_execz .LBB47_100
; %bb.93:                               ;   in Loop: Header=BB47_92 Depth=2
	s_mov_b32 s20, exec_lo
                                        ; implicit-def: $sgpr19
	v_cmpx_ne_u32_e64 s2, v23
	s_xor_b32 s20, exec_lo, s20
; %bb.94:                               ;   in Loop: Header=BB47_92 Depth=2
	v_add_nc_u32_e32 v7, 1, v7
	s_mov_b32 s19, -1
                                        ; implicit-def: $vgpr22
	s_delay_alu instid0(VALU_DEP_1)
	v_and_b32_e32 v7, 31, v7
; %bb.95:                               ;   in Loop: Header=BB47_92 Depth=2
	s_and_not1_saveexec_b32 s20, s20
	s_cbranch_execz .LBB47_99
; %bb.96:                               ;   in Loop: Header=BB47_92 Depth=2
	v_mov_b32_e32 v23, s2
	s_mov_b32 s21, -1
	s_mov_b32 s22, exec_lo
	ds_cmpstore_rtn_b32 v22, v22, v19, v23
	s_waitcnt lgkmcnt(0)
	v_cmpx_eq_u32_e64 s2, v22
	s_cbranch_execz .LBB47_98
; %bb.97:                               ;   in Loop: Header=BB47_92 Depth=2
	v_lshl_add_u32 v22, v7, 5, v10
	s_xor_b32 s21, exec_lo, -1
	ds_add_f32 v22, v21
	ds_add_f32 v22, v8 offset:4
.LBB47_98:                              ;   in Loop: Header=BB47_92 Depth=2
	s_or_b32 exec_lo, exec_lo, s22
	s_delay_alu instid0(SALU_CYCLE_1) | instskip(SKIP_1) | instid1(SALU_CYCLE_1)
	s_and_not1_b32 s19, s19, exec_lo
	s_and_b32 s21, s21, exec_lo
	s_or_b32 s19, s19, s21
.LBB47_99:                              ;   in Loop: Header=BB47_92 Depth=2
	s_or_b32 exec_lo, exec_lo, s20
	s_delay_alu instid0(SALU_CYCLE_1)
	s_and_b32 s19, s19, exec_lo
.LBB47_100:                             ;   in Loop: Header=BB47_92 Depth=2
	s_and_not1_saveexec_b32 s18, s18
	s_cbranch_execz .LBB47_91
; %bb.101:                              ;   in Loop: Header=BB47_92 Depth=2
	v_lshl_add_u32 v22, v7, 5, v10
	s_and_not1_b32 s19, s19, exec_lo
	ds_add_f32 v22, v21
	ds_add_f32 v22, v8 offset:4
	s_branch .LBB47_91
.LBB47_102:                             ;   in Loop: Header=BB47_78 Depth=1
	s_or_b32 exec_lo, exec_lo, s17
	s_waitcnt vmcnt(0)
	v_mul_f32_e64 v7, v6, -s33
	v_mul_f32_e32 v6, s14, v6
	s_mov_b32 s17, 0
	s_delay_alu instid0(VALU_DEP_2) | instskip(NEXT) | instid1(VALU_DEP_2)
	v_fmac_f32_e32 v7, s14, v5
	v_dual_fmac_f32 v6, s33, v5 :: v_dual_mov_b32 v5, v20
	s_branch .LBB47_104
.LBB47_103:                             ;   in Loop: Header=BB47_104 Depth=2
	s_or_b32 exec_lo, exec_lo, s18
	s_xor_b32 s18, s19, -1
	s_delay_alu instid0(SALU_CYCLE_1) | instskip(NEXT) | instid1(SALU_CYCLE_1)
	s_and_b32 s18, exec_lo, s18
	s_or_b32 s17, s18, s17
	s_delay_alu instid0(SALU_CYCLE_1)
	s_and_not1_b32 exec_lo, exec_lo, s17
	s_cbranch_execz .LBB47_114
.LBB47_104:                             ;   Parent Loop BB47_78 Depth=1
                                        ; =>  This Inner Loop Header: Depth=2
	s_delay_alu instid0(VALU_DEP_1)
	v_lshl_add_u32 v8, v5, 2, v14
	s_mov_b32 s18, exec_lo
                                        ; implicit-def: $sgpr19
	ds_load_b32 v21, v8
	s_waitcnt lgkmcnt(0)
	v_cmpx_ne_u32_e64 v21, v19
	s_xor_b32 s18, exec_lo, s18
	s_cbranch_execz .LBB47_112
; %bb.105:                              ;   in Loop: Header=BB47_104 Depth=2
	s_mov_b32 s20, exec_lo
                                        ; implicit-def: $sgpr19
	v_cmpx_ne_u32_e64 s2, v21
	s_xor_b32 s20, exec_lo, s20
; %bb.106:                              ;   in Loop: Header=BB47_104 Depth=2
	v_add_nc_u32_e32 v5, 1, v5
	s_mov_b32 s19, -1
                                        ; implicit-def: $vgpr8
	s_delay_alu instid0(VALU_DEP_1)
	v_and_b32_e32 v5, 31, v5
; %bb.107:                              ;   in Loop: Header=BB47_104 Depth=2
	s_and_not1_saveexec_b32 s20, s20
	s_cbranch_execz .LBB47_111
; %bb.108:                              ;   in Loop: Header=BB47_104 Depth=2
	v_mov_b32_e32 v21, s2
	s_mov_b32 s21, -1
	s_mov_b32 s22, exec_lo
	ds_cmpstore_rtn_b32 v8, v8, v19, v21
	s_waitcnt lgkmcnt(0)
	v_cmpx_eq_u32_e64 s2, v8
	s_cbranch_execz .LBB47_110
; %bb.109:                              ;   in Loop: Header=BB47_104 Depth=2
	v_lshl_add_u32 v8, v5, 5, v11
	s_xor_b32 s21, exec_lo, -1
	ds_add_f32 v8, v7
	ds_add_f32 v8, v6 offset:4
.LBB47_110:                             ;   in Loop: Header=BB47_104 Depth=2
	s_or_b32 exec_lo, exec_lo, s22
	s_delay_alu instid0(SALU_CYCLE_1) | instskip(SKIP_1) | instid1(SALU_CYCLE_1)
	s_and_not1_b32 s19, s19, exec_lo
	s_and_b32 s21, s21, exec_lo
	s_or_b32 s19, s19, s21
.LBB47_111:                             ;   in Loop: Header=BB47_104 Depth=2
	s_or_b32 exec_lo, exec_lo, s20
	s_delay_alu instid0(SALU_CYCLE_1)
	s_and_b32 s19, s19, exec_lo
.LBB47_112:                             ;   in Loop: Header=BB47_104 Depth=2
	s_and_not1_saveexec_b32 s18, s18
	s_cbranch_execz .LBB47_103
; %bb.113:                              ;   in Loop: Header=BB47_104 Depth=2
	v_lshl_add_u32 v8, v5, 5, v11
	s_and_not1_b32 s19, s19, exec_lo
	ds_add_f32 v8, v7
	ds_add_f32 v8, v6 offset:4
	s_branch .LBB47_103
.LBB47_114:                             ;   in Loop: Header=BB47_78 Depth=1
	s_or_b32 exec_lo, exec_lo, s17
	v_mul_f32_e64 v5, v4, -s33
	v_mul_f32_e32 v4, s14, v4
	s_mov_b32 s17, 0
	s_delay_alu instid0(VALU_DEP_2) | instskip(NEXT) | instid1(VALU_DEP_2)
	v_fmac_f32_e32 v5, s14, v3
	v_fmac_f32_e32 v4, s33, v3
	s_branch .LBB47_116
.LBB47_115:                             ;   in Loop: Header=BB47_116 Depth=2
	s_or_b32 exec_lo, exec_lo, s18
	s_xor_b32 s18, s19, -1
	s_delay_alu instid0(SALU_CYCLE_1) | instskip(NEXT) | instid1(SALU_CYCLE_1)
	s_and_b32 s18, exec_lo, s18
	s_or_b32 s17, s18, s17
	s_delay_alu instid0(SALU_CYCLE_1)
	s_and_not1_b32 exec_lo, exec_lo, s17
	s_cbranch_execz .LBB47_77
.LBB47_116:                             ;   Parent Loop BB47_78 Depth=1
                                        ; =>  This Inner Loop Header: Depth=2
	v_lshl_add_u32 v3, v20, 2, v14
	s_mov_b32 s18, exec_lo
                                        ; implicit-def: $sgpr19
	ds_load_b32 v6, v3
	s_waitcnt lgkmcnt(0)
	v_cmpx_ne_u32_e64 v6, v19
	s_xor_b32 s18, exec_lo, s18
	s_cbranch_execz .LBB47_124
; %bb.117:                              ;   in Loop: Header=BB47_116 Depth=2
	s_mov_b32 s20, exec_lo
                                        ; implicit-def: $sgpr19
	v_cmpx_ne_u32_e64 s2, v6
	s_xor_b32 s20, exec_lo, s20
; %bb.118:                              ;   in Loop: Header=BB47_116 Depth=2
	v_add_nc_u32_e32 v3, 1, v20
	s_mov_b32 s19, -1
	s_delay_alu instid0(VALU_DEP_1)
	v_and_b32_e32 v20, 31, v3
                                        ; implicit-def: $vgpr3
; %bb.119:                              ;   in Loop: Header=BB47_116 Depth=2
	s_and_not1_saveexec_b32 s20, s20
	s_cbranch_execz .LBB47_123
; %bb.120:                              ;   in Loop: Header=BB47_116 Depth=2
	v_mov_b32_e32 v6, s2
	s_mov_b32 s21, -1
	s_mov_b32 s22, exec_lo
	ds_cmpstore_rtn_b32 v3, v3, v19, v6
	s_waitcnt lgkmcnt(0)
	v_cmpx_eq_u32_e64 s2, v3
	s_cbranch_execz .LBB47_122
; %bb.121:                              ;   in Loop: Header=BB47_116 Depth=2
	v_lshl_add_u32 v3, v20, 5, v18
	s_xor_b32 s21, exec_lo, -1
	ds_add_f32 v3, v5
	ds_add_f32 v3, v4 offset:4
.LBB47_122:                             ;   in Loop: Header=BB47_116 Depth=2
	s_or_b32 exec_lo, exec_lo, s22
	s_delay_alu instid0(SALU_CYCLE_1) | instskip(SKIP_1) | instid1(SALU_CYCLE_1)
	s_and_not1_b32 s19, s19, exec_lo
	s_and_b32 s21, s21, exec_lo
	s_or_b32 s19, s19, s21
.LBB47_123:                             ;   in Loop: Header=BB47_116 Depth=2
	s_or_b32 exec_lo, exec_lo, s20
	s_delay_alu instid0(SALU_CYCLE_1)
	s_and_b32 s19, s19, exec_lo
.LBB47_124:                             ;   in Loop: Header=BB47_116 Depth=2
	s_and_not1_saveexec_b32 s18, s18
	s_cbranch_execz .LBB47_115
; %bb.125:                              ;   in Loop: Header=BB47_116 Depth=2
	v_lshl_add_u32 v3, v20, 5, v18
	s_and_not1_b32 s19, s19, exec_lo
	ds_add_f32 v3, v5
	ds_add_f32 v3, v4 offset:4
	s_branch .LBB47_115
.LBB47_126:
	s_or_b32 exec_lo, exec_lo, s1
.LBB47_127:
	v_add_co_u32 v0, vcc_lo, s8, v0
	v_add_co_ci_u32_e32 v1, vcc_lo, s9, v1, vcc_lo
	s_waitcnt lgkmcnt(0)
	buffer_gl0_inv
	s_cmp_eq_u32 s0, 0
	s_mov_b32 s0, 0
	global_load_b32 v0, v[0:1], off
	v_lshl_add_u32 v1, v15, 5, v16
	s_cselect_b32 s1, 8, 16
	s_cselect_b32 s3, 16, 8
	s_waitcnt vmcnt(0)
	v_subrev_nc_u32_e32 v0, s38, v0
	s_branch .LBB47_129
.LBB47_128:                             ;   in Loop: Header=BB47_129 Depth=1
	s_or_b32 exec_lo, exec_lo, s4
	v_add_co_u32 v13, s4, v13, 16
	s_delay_alu instid0(VALU_DEP_1) | instskip(SKIP_3) | instid1(SALU_CYCLE_1)
	s_xor_b32 s4, s4, -1
	v_add_nc_u32_e32 v1, 0x200, v1
	v_add_nc_u32_e32 v12, 64, v12
	s_and_b32 s4, exec_lo, s4
	s_or_b32 s0, s4, s0
	s_delay_alu instid0(SALU_CYCLE_1)
	s_and_not1_b32 exec_lo, exec_lo, s0
	s_cbranch_execz .LBB47_131
.LBB47_129:                             ; =>This Inner Loop Header: Depth=1
	ds_load_b32 v2, v12
	s_mov_b32 s4, exec_lo
	s_waitcnt lgkmcnt(0)
	v_cmpx_gt_i32_e64 s2, v2
	s_cbranch_execz .LBB47_128
; %bb.130:                              ;   in Loop: Header=BB47_129 Depth=1
	ds_load_b128 v[3:6], v14
	ds_load_b128 v[7:10], v14 offset:16
	ds_load_b128 v[15:18], v14 offset:32
	;; [unrolled: 1-line block ×7, first 2 shown]
	ds_load_2addr_b64 v[39:42], v1 offset1:3
	s_waitcnt lgkmcnt(8)
	v_cmp_gt_i32_e32 vcc_lo, v2, v3
	v_cndmask_b32_e64 v3, 0, 1, vcc_lo
	v_cmp_gt_i32_e32 vcc_lo, v2, v5
	v_cndmask_b32_e64 v5, 0, 1, vcc_lo
	v_cmp_gt_i32_e32 vcc_lo, v2, v4
	s_delay_alu instid0(VALU_DEP_4)
	v_add_co_ci_u32_e32 v3, vcc_lo, v0, v3, vcc_lo
	s_waitcnt lgkmcnt(7)
	v_cmp_gt_i32_e32 vcc_lo, v2, v7
	v_cndmask_b32_e64 v4, 0, 1, vcc_lo
	v_cmp_gt_i32_e32 vcc_lo, v2, v6
	v_add_co_ci_u32_e32 v3, vcc_lo, v3, v5, vcc_lo
	v_cmp_gt_i32_e32 vcc_lo, v2, v9
	v_cndmask_b32_e64 v5, 0, 1, vcc_lo
	v_cmp_gt_i32_e32 vcc_lo, v2, v8
	s_delay_alu instid0(VALU_DEP_4)
	v_add_co_ci_u32_e32 v3, vcc_lo, v3, v4, vcc_lo
	s_waitcnt lgkmcnt(6)
	v_cmp_gt_i32_e32 vcc_lo, v2, v15
	v_cndmask_b32_e64 v4, 0, 1, vcc_lo
	v_cmp_gt_i32_e32 vcc_lo, v2, v10
	v_add_nc_u32_e32 v10, s3, v1
	v_add_co_ci_u32_e32 v3, vcc_lo, v3, v5, vcc_lo
	v_cmp_gt_i32_e32 vcc_lo, v2, v17
	v_cndmask_b32_e64 v5, 0, 1, vcc_lo
	v_cmp_gt_i32_e32 vcc_lo, v2, v16
	s_delay_alu instid0(VALU_DEP_4)
	v_add_co_ci_u32_e32 v3, vcc_lo, v3, v4, vcc_lo
	s_waitcnt lgkmcnt(5)
	v_cmp_gt_i32_e32 vcc_lo, v2, v19
	v_cndmask_b32_e64 v4, 0, 1, vcc_lo
	v_cmp_gt_i32_e32 vcc_lo, v2, v18
	v_add_co_ci_u32_e32 v3, vcc_lo, v3, v5, vcc_lo
	v_cmp_gt_i32_e32 vcc_lo, v2, v21
	v_cndmask_b32_e64 v5, 0, 1, vcc_lo
	v_cmp_gt_i32_e32 vcc_lo, v2, v20
	s_delay_alu instid0(VALU_DEP_4)
	v_add_co_ci_u32_e32 v3, vcc_lo, v3, v4, vcc_lo
	s_waitcnt lgkmcnt(4)
	v_cmp_gt_i32_e32 vcc_lo, v2, v23
	v_cndmask_b32_e64 v4, 0, 1, vcc_lo
	v_cmp_gt_i32_e32 vcc_lo, v2, v22
	;; [unrolled: 10-line block ×5, first 2 shown]
	v_add_co_ci_u32_e32 v3, vcc_lo, v3, v5, vcc_lo
	v_cmp_gt_i32_e32 vcc_lo, v2, v37
	v_cndmask_b32_e64 v5, 0, 1, vcc_lo
	v_cmp_gt_i32_e32 vcc_lo, v2, v36
	s_delay_alu instid0(VALU_DEP_4)
	v_add_co_ci_u32_e32 v3, vcc_lo, v3, v4, vcc_lo
	v_cmp_gt_i32_e32 vcc_lo, v2, v38
	s_waitcnt lgkmcnt(0)
	v_mov_b32_e32 v4, v40
	v_add_nc_u32_e32 v2, s38, v2
	v_add_co_ci_u32_e32 v7, vcc_lo, v3, v5, vcc_lo
	v_mov_b32_e32 v3, v39
	v_add_nc_u32_e32 v5, s1, v1
	ds_load_b64 v[5:6], v5
	ds_load_b64 v[39:40], v10
	v_lshlrev_b32_e32 v9, 2, v7
	v_ashrrev_i32_e32 v8, 31, v7
	s_delay_alu instid0(VALU_DEP_2) | instskip(NEXT) | instid1(VALU_DEP_2)
	v_ashrrev_i32_e32 v10, 31, v9
	v_lshlrev_b64 v[7:8], 2, v[7:8]
	s_delay_alu instid0(VALU_DEP_2) | instskip(NEXT) | instid1(VALU_DEP_2)
	v_lshlrev_b64 v[9:10], 3, v[9:10]
	v_add_co_u32 v7, vcc_lo, s10, v7
	s_delay_alu instid0(VALU_DEP_3) | instskip(NEXT) | instid1(VALU_DEP_3)
	v_add_co_ci_u32_e32 v8, vcc_lo, s11, v8, vcc_lo
	v_add_co_u32 v9, vcc_lo, s12, v9
	s_delay_alu instid0(VALU_DEP_4)
	v_add_co_ci_u32_e32 v10, vcc_lo, s13, v10, vcc_lo
	global_store_b32 v[7:8], v2, off
	s_waitcnt lgkmcnt(1)
	global_store_b128 v[9:10], v[3:6], off
	s_waitcnt lgkmcnt(0)
	global_store_b128 v[9:10], v[39:42], off offset:16
	s_branch .LBB47_128
.LBB47_131:
	s_nop 0
	s_sendmsg sendmsg(MSG_DEALLOC_VGPRS)
	s_endpgm
	.section	.rodata,"a",@progbits
	.p2align	6, 0x0
	.amdhsa_kernel _ZN9rocsparseL27bsrgemm_fill_wf_per_row_2x2ILj256ELj16ELj32ELj137Eii21rocsparse_complex_numIfEEEv20rocsparse_direction_T4_S4_PKS4_S6_NS_24const_host_device_scalarIT5_EEPKT3_S6_PKS8_SC_S6_SE_S9_SC_S6_SE_SC_PS4_PS8_21rocsparse_index_base_SH_SH_SH_bbb
		.amdhsa_group_segment_fixed_size 18432
		.amdhsa_private_segment_fixed_size 0
		.amdhsa_kernarg_size 164
		.amdhsa_user_sgpr_count 15
		.amdhsa_user_sgpr_dispatch_ptr 0
		.amdhsa_user_sgpr_queue_ptr 0
		.amdhsa_user_sgpr_kernarg_segment_ptr 1
		.amdhsa_user_sgpr_dispatch_id 0
		.amdhsa_user_sgpr_private_segment_size 0
		.amdhsa_wavefront_size32 1
		.amdhsa_uses_dynamic_stack 0
		.amdhsa_enable_private_segment 0
		.amdhsa_system_sgpr_workgroup_id_x 1
		.amdhsa_system_sgpr_workgroup_id_y 0
		.amdhsa_system_sgpr_workgroup_id_z 0
		.amdhsa_system_sgpr_workgroup_info 0
		.amdhsa_system_vgpr_workitem_id 0
		.amdhsa_next_free_vgpr 43
		.amdhsa_next_free_sgpr 46
		.amdhsa_reserve_vcc 1
		.amdhsa_float_round_mode_32 0
		.amdhsa_float_round_mode_16_64 0
		.amdhsa_float_denorm_mode_32 3
		.amdhsa_float_denorm_mode_16_64 3
		.amdhsa_dx10_clamp 1
		.amdhsa_ieee_mode 1
		.amdhsa_fp16_overflow 0
		.amdhsa_workgroup_processor_mode 1
		.amdhsa_memory_ordered 1
		.amdhsa_forward_progress 0
		.amdhsa_shared_vgpr_count 0
		.amdhsa_exception_fp_ieee_invalid_op 0
		.amdhsa_exception_fp_denorm_src 0
		.amdhsa_exception_fp_ieee_div_zero 0
		.amdhsa_exception_fp_ieee_overflow 0
		.amdhsa_exception_fp_ieee_underflow 0
		.amdhsa_exception_fp_ieee_inexact 0
		.amdhsa_exception_int_div_zero 0
	.end_amdhsa_kernel
	.section	.text._ZN9rocsparseL27bsrgemm_fill_wf_per_row_2x2ILj256ELj16ELj32ELj137Eii21rocsparse_complex_numIfEEEv20rocsparse_direction_T4_S4_PKS4_S6_NS_24const_host_device_scalarIT5_EEPKT3_S6_PKS8_SC_S6_SE_S9_SC_S6_SE_SC_PS4_PS8_21rocsparse_index_base_SH_SH_SH_bbb,"axG",@progbits,_ZN9rocsparseL27bsrgemm_fill_wf_per_row_2x2ILj256ELj16ELj32ELj137Eii21rocsparse_complex_numIfEEEv20rocsparse_direction_T4_S4_PKS4_S6_NS_24const_host_device_scalarIT5_EEPKT3_S6_PKS8_SC_S6_SE_S9_SC_S6_SE_SC_PS4_PS8_21rocsparse_index_base_SH_SH_SH_bbb,comdat
.Lfunc_end47:
	.size	_ZN9rocsparseL27bsrgemm_fill_wf_per_row_2x2ILj256ELj16ELj32ELj137Eii21rocsparse_complex_numIfEEEv20rocsparse_direction_T4_S4_PKS4_S6_NS_24const_host_device_scalarIT5_EEPKT3_S6_PKS8_SC_S6_SE_S9_SC_S6_SE_SC_PS4_PS8_21rocsparse_index_base_SH_SH_SH_bbb, .Lfunc_end47-_ZN9rocsparseL27bsrgemm_fill_wf_per_row_2x2ILj256ELj16ELj32ELj137Eii21rocsparse_complex_numIfEEEv20rocsparse_direction_T4_S4_PKS4_S6_NS_24const_host_device_scalarIT5_EEPKT3_S6_PKS8_SC_S6_SE_S9_SC_S6_SE_SC_PS4_PS8_21rocsparse_index_base_SH_SH_SH_bbb
                                        ; -- End function
	.section	.AMDGPU.csdata,"",@progbits
; Kernel info:
; codeLenInByte = 4840
; NumSgprs: 48
; NumVgprs: 43
; ScratchSize: 0
; MemoryBound: 0
; FloatMode: 240
; IeeeMode: 1
; LDSByteSize: 18432 bytes/workgroup (compile time only)
; SGPRBlocks: 5
; VGPRBlocks: 5
; NumSGPRsForWavesPerEU: 48
; NumVGPRsForWavesPerEU: 43
; Occupancy: 14
; WaveLimiterHint : 1
; COMPUTE_PGM_RSRC2:SCRATCH_EN: 0
; COMPUTE_PGM_RSRC2:USER_SGPR: 15
; COMPUTE_PGM_RSRC2:TRAP_HANDLER: 0
; COMPUTE_PGM_RSRC2:TGID_X_EN: 1
; COMPUTE_PGM_RSRC2:TGID_Y_EN: 0
; COMPUTE_PGM_RSRC2:TGID_Z_EN: 0
; COMPUTE_PGM_RSRC2:TIDIG_COMP_CNT: 0
	.section	.text._ZN9rocsparseL30bsrgemm_fill_block_per_row_2x2ILj256ELj16ELj64ELj137Eii21rocsparse_complex_numIfEEEv20rocsparse_direction_T4_S4_PKS4_S6_NS_24const_host_device_scalarIT5_EEPKT3_S6_PKS8_SC_S6_SE_S9_SC_S6_SE_SC_PS4_PS8_21rocsparse_index_base_SH_SH_SH_bbb,"axG",@progbits,_ZN9rocsparseL30bsrgemm_fill_block_per_row_2x2ILj256ELj16ELj64ELj137Eii21rocsparse_complex_numIfEEEv20rocsparse_direction_T4_S4_PKS4_S6_NS_24const_host_device_scalarIT5_EEPKT3_S6_PKS8_SC_S6_SE_S9_SC_S6_SE_SC_PS4_PS8_21rocsparse_index_base_SH_SH_SH_bbb,comdat
	.globl	_ZN9rocsparseL30bsrgemm_fill_block_per_row_2x2ILj256ELj16ELj64ELj137Eii21rocsparse_complex_numIfEEEv20rocsparse_direction_T4_S4_PKS4_S6_NS_24const_host_device_scalarIT5_EEPKT3_S6_PKS8_SC_S6_SE_S9_SC_S6_SE_SC_PS4_PS8_21rocsparse_index_base_SH_SH_SH_bbb ; -- Begin function _ZN9rocsparseL30bsrgemm_fill_block_per_row_2x2ILj256ELj16ELj64ELj137Eii21rocsparse_complex_numIfEEEv20rocsparse_direction_T4_S4_PKS4_S6_NS_24const_host_device_scalarIT5_EEPKT3_S6_PKS8_SC_S6_SE_S9_SC_S6_SE_SC_PS4_PS8_21rocsparse_index_base_SH_SH_SH_bbb
	.p2align	8
	.type	_ZN9rocsparseL30bsrgemm_fill_block_per_row_2x2ILj256ELj16ELj64ELj137Eii21rocsparse_complex_numIfEEEv20rocsparse_direction_T4_S4_PKS4_S6_NS_24const_host_device_scalarIT5_EEPKT3_S6_PKS8_SC_S6_SE_S9_SC_S6_SE_SC_PS4_PS8_21rocsparse_index_base_SH_SH_SH_bbb,@function
_ZN9rocsparseL30bsrgemm_fill_block_per_row_2x2ILj256ELj16ELj64ELj137Eii21rocsparse_complex_numIfEEEv20rocsparse_direction_T4_S4_PKS4_S6_NS_24const_host_device_scalarIT5_EEPKT3_S6_PKS8_SC_S6_SE_S9_SC_S6_SE_SC_PS4_PS8_21rocsparse_index_base_SH_SH_SH_bbb: ; @_ZN9rocsparseL30bsrgemm_fill_block_per_row_2x2ILj256ELj16ELj64ELj137Eii21rocsparse_complex_numIfEEEv20rocsparse_direction_T4_S4_PKS4_S6_NS_24const_host_device_scalarIT5_EEPKT3_S6_PKS8_SC_S6_SE_S9_SC_S6_SE_SC_PS4_PS8_21rocsparse_index_base_SH_SH_SH_bbb
; %bb.0:
	s_mov_b32 s40, s15
	s_clause 0x6
	s_load_b32 s33, s[0:1], 0xa0
	s_load_b256 s[4:11], s[0:1], 0x68
	s_load_b256 s[12:19], s[0:1], 0x48
	s_load_b128 s[36:39], s[0:1], 0x10
	s_load_b256 s[20:27], s[0:1], 0x28
	s_load_b64 s[34:35], s[0:1], 0x88
	s_load_b128 s[28:31], s[0:1], 0x90
	s_mov_b32 s3, 0
	s_mov_b32 s43, 0
	s_waitcnt lgkmcnt(0)
	s_bitcmp1_b32 s33, 0
	s_cselect_b32 s41, -1, 0
	s_bitcmp1_b32 s33, 16
	s_cselect_b32 s2, -1, 0
	s_delay_alu instid0(SALU_CYCLE_1) | instskip(SKIP_2) | instid1(VALU_DEP_1)
	s_xor_b32 s42, s2, -1
	s_bitcmp0_b32 s33, 0
	v_cndmask_b32_e64 v1, 0, 1, s42
	v_cmp_ne_u32_e32 vcc_lo, 1, v1
	s_cbranch_scc1 .LBB48_5
; %bb.1:
	s_load_b64 s[2:3], s[0:1], 0x20
	s_and_b32 vcc_lo, exec_lo, vcc_lo
	s_waitcnt lgkmcnt(0)
	s_mov_b32 s43, s2
	s_cbranch_vccnz .LBB48_3
; %bb.2:
	s_load_b32 s43, s[2:3], 0x0
.LBB48_3:
	s_and_not1_b32 vcc_lo, exec_lo, s42
	s_cbranch_vccnz .LBB48_5
; %bb.4:
	s_load_b32 s3, s[2:3], 0x4
.LBB48_5:
	s_bitcmp1_b32 s33, 8
	s_mov_b32 s42, 0
	s_cselect_b32 s44, -1, 0
	s_bfe_u32 s2, s33, 0x10008
	s_mov_b32 s33, 0
	s_cmp_eq_u32 s2, 0
	s_cbranch_scc1 .LBB48_11
; %bb.6:
	v_cmp_ne_u32_e32 vcc_lo, 1, v1
	s_mov_b32 s33, s16
	s_cbranch_vccnz .LBB48_8
; %bb.7:
	s_load_b32 s33, s[16:17], 0x0
.LBB48_8:
	v_cmp_ne_u32_e32 vcc_lo, 1, v1
	s_cbranch_vccnz .LBB48_10
; %bb.9:
	s_load_b32 s17, s[16:17], 0x4
.LBB48_10:
	s_waitcnt lgkmcnt(0)
	s_mov_b32 s42, s17
.LBB48_11:
	s_load_b32 s16, s[0:1], 0x8
	v_cmp_gt_u32_e64 s2, 64, v0
	v_lshl_add_u32 v12, v0, 2, 0
	s_delay_alu instid0(VALU_DEP_2)
	s_and_saveexec_b32 s17, s2
	s_cbranch_execz .LBB48_13
; %bb.12:
	s_waitcnt lgkmcnt(0)
	v_mov_b32_e32 v1, s16
	ds_store_b32 v12, v1
.LBB48_13:
	s_or_b32 exec_lo, exec_lo, s17
	s_delay_alu instid0(SALU_CYCLE_1)
	s_mov_b32 s17, exec_lo
	v_cmpx_gt_u32_e32 0x100, v0
	s_cbranch_execz .LBB48_15
; %bb.14:
	v_lshl_add_u32 v1, v0, 3, 0
	v_mov_b32_e32 v2, 0
	ds_store_2addr_b32 v1, v2, v2 offset0:64 offset1:65
.LBB48_15:
	s_or_b32 exec_lo, exec_lo, s17
	s_cmp_eq_u64 s[38:39], 0
	s_waitcnt lgkmcnt(0)
	s_barrier
	buffer_gl0_inv
	s_cbranch_scc1 .LBB48_17
; %bb.16:
	s_load_b32 s17, s[36:37], 0x0
	s_mov_b32 s37, 0
	s_waitcnt lgkmcnt(0)
	s_add_i32 s36, s17, s40
	s_delay_alu instid0(SALU_CYCLE_1) | instskip(NEXT) | instid1(SALU_CYCLE_1)
	s_lshl_b64 s[36:37], s[36:37], 2
	s_add_u32 s36, s38, s36
	s_addc_u32 s37, s39, s37
	s_load_b32 s40, s[36:37], 0x0
.LBB48_17:
	s_load_b32 s0, s[0:1], 0x0
	s_and_not1_b32 vcc_lo, exec_lo, s41
	s_waitcnt lgkmcnt(0)
	s_ashr_i32 s41, s40, 31
	s_cbranch_vccnz .LBB48_73
; %bb.18:
	s_lshl_b64 s[36:37], s[40:41], 2
	v_lshrrev_b32_e32 v1, 4, v0
	s_add_u32 s20, s20, s36
	s_addc_u32 s21, s21, s37
	s_mov_b32 s17, exec_lo
	s_load_b64 s[20:21], s[20:21], 0x0
	v_subrev_nc_u32_e32 v1, s28, v1
	s_waitcnt lgkmcnt(0)
	s_delay_alu instid0(VALU_DEP_1)
	v_add_nc_u32_e32 v1, s20, v1
	s_sub_i32 s1, s21, s28
	s_delay_alu instid0(VALU_DEP_1) | instid1(SALU_CYCLE_1)
	v_cmpx_gt_i32_e64 s1, v1
	s_cbranch_execz .LBB48_72
; %bb.19:
	v_and_b32_e32 v2, 15, v0
	s_cmp_eq_u32 s0, 0
	s_mov_b32 s20, 0
	s_cselect_b32 s21, 2, 1
	s_cselect_b32 s36, 1, 2
	v_subrev_nc_u32_e32 v13, s29, v2
	s_branch .LBB48_21
.LBB48_20:                              ;   in Loop: Header=BB48_21 Depth=1
	s_or_b32 exec_lo, exec_lo, s37
	v_add_nc_u32_e32 v1, 16, v1
	s_delay_alu instid0(VALU_DEP_1) | instskip(SKIP_1) | instid1(SALU_CYCLE_1)
	v_cmp_le_i32_e32 vcc_lo, s1, v1
	s_or_b32 s20, vcc_lo, s20
	s_and_not1_b32 exec_lo, exec_lo, s20
	s_cbranch_execz .LBB48_72
.LBB48_21:                              ; =>This Loop Header: Depth=1
                                        ;     Child Loop BB48_24 Depth 2
                                        ;       Child Loop BB48_26 Depth 3
                                        ;       Child Loop BB48_38 Depth 3
	;; [unrolled: 1-line block ×4, first 2 shown]
	v_ashrrev_i32_e32 v2, 31, v1
	s_mov_b32 s37, exec_lo
	s_delay_alu instid0(VALU_DEP_1) | instskip(NEXT) | instid1(VALU_DEP_1)
	v_lshlrev_b64 v[2:3], 2, v[1:2]
	v_add_co_u32 v2, vcc_lo, s22, v2
	s_delay_alu instid0(VALU_DEP_2) | instskip(SKIP_3) | instid1(VALU_DEP_1)
	v_add_co_ci_u32_e32 v3, vcc_lo, s23, v3, vcc_lo
	global_load_b32 v2, v[2:3], off
	s_waitcnt vmcnt(0)
	v_subrev_nc_u32_e32 v2, s28, v2
	v_ashrrev_i32_e32 v3, 31, v2
	s_delay_alu instid0(VALU_DEP_1) | instskip(NEXT) | instid1(VALU_DEP_1)
	v_lshlrev_b64 v[2:3], 2, v[2:3]
	v_add_co_u32 v2, vcc_lo, s26, v2
	s_delay_alu instid0(VALU_DEP_2) | instskip(SKIP_4) | instid1(VALU_DEP_1)
	v_add_co_ci_u32_e32 v3, vcc_lo, s27, v3, vcc_lo
	global_load_b64 v[2:3], v[2:3], off
	s_waitcnt vmcnt(0)
	v_subrev_nc_u32_e32 v14, s29, v3
	v_add_nc_u32_e32 v2, v2, v13
	v_cmpx_lt_i32_e64 v2, v14
	s_cbranch_execz .LBB48_20
; %bb.22:                               ;   in Loop: Header=BB48_21 Depth=1
	v_lshlrev_b32_e32 v3, 2, v1
	s_mov_b32 s38, 0
	s_delay_alu instid0(VALU_DEP_1) | instskip(SKIP_2) | instid1(VALU_DEP_3)
	v_or_b32_e32 v5, s21, v3
	v_ashrrev_i32_e32 v4, 31, v3
	v_or_b32_e32 v7, s36, v3
	v_ashrrev_i32_e32 v6, 31, v5
	s_delay_alu instid0(VALU_DEP_3) | instskip(NEXT) | instid1(VALU_DEP_3)
	v_lshlrev_b64 v[3:4], 3, v[3:4]
	v_ashrrev_i32_e32 v8, 31, v7
	s_delay_alu instid0(VALU_DEP_3) | instskip(NEXT) | instid1(VALU_DEP_3)
	v_lshlrev_b64 v[5:6], 3, v[5:6]
	v_add_co_u32 v3, vcc_lo, s24, v3
	s_delay_alu instid0(VALU_DEP_3) | instskip(SKIP_1) | instid1(VALU_DEP_4)
	v_lshlrev_b64 v[7:8], 3, v[7:8]
	v_add_co_ci_u32_e32 v4, vcc_lo, s25, v4, vcc_lo
	v_add_co_u32 v5, vcc_lo, s24, v5
	v_add_co_ci_u32_e32 v6, vcc_lo, s25, v6, vcc_lo
	s_delay_alu instid0(VALU_DEP_4)
	v_add_co_u32 v7, vcc_lo, s24, v7
	global_load_b64 v[9:10], v[3:4], off
	v_add_co_ci_u32_e32 v8, vcc_lo, s25, v8, vcc_lo
	s_clause 0x2
	global_load_b64 v[5:6], v[5:6], off
	global_load_b64 v[7:8], v[7:8], off
	global_load_b64 v[3:4], v[3:4], off offset:24
	s_waitcnt vmcnt(3)
	v_mul_f32_e32 v16, s43, v10
	v_mul_f32_e64 v15, v10, -s3
	s_waitcnt vmcnt(2)
	v_mul_f32_e64 v17, v6, -s3
	v_mul_f32_e32 v18, s43, v6
	s_waitcnt vmcnt(0)
	v_dual_fmac_f32 v16, s3, v9 :: v_dual_mul_f32 v19, s43, v4
	v_fmac_f32_e32 v15, s43, v9
	v_mul_f32_e64 v20, v4, -s3
	v_dual_mul_f32 v21, s43, v8 :: v_dual_fmac_f32 v18, s3, v5
	v_mul_f32_e64 v22, v8, -s3
	s_delay_alu instid0(VALU_DEP_3) | instskip(SKIP_1) | instid1(VALU_DEP_4)
	v_dual_fmac_f32 v17, s43, v5 :: v_dual_fmac_f32 v20, s43, v3
	v_fmac_f32_e32 v19, s3, v3
	v_fmac_f32_e32 v21, s3, v7
	s_delay_alu instid0(VALU_DEP_4)
	v_fmac_f32_e32 v22, s43, v7
	s_branch .LBB48_24
.LBB48_23:                              ;   in Loop: Header=BB48_24 Depth=2
	s_or_b32 exec_lo, exec_lo, s39
	v_add_nc_u32_e32 v2, 16, v2
	s_delay_alu instid0(VALU_DEP_1) | instskip(SKIP_1) | instid1(SALU_CYCLE_1)
	v_cmp_ge_i32_e32 vcc_lo, v2, v14
	s_or_b32 s38, vcc_lo, s38
	s_and_not1_b32 exec_lo, exec_lo, s38
	s_cbranch_execz .LBB48_20
.LBB48_24:                              ;   Parent Loop BB48_21 Depth=1
                                        ; =>  This Loop Header: Depth=2
                                        ;       Child Loop BB48_26 Depth 3
                                        ;       Child Loop BB48_38 Depth 3
	;; [unrolled: 1-line block ×4, first 2 shown]
	v_lshlrev_b32_e32 v4, 2, v2
	v_ashrrev_i32_e32 v3, 31, v2
	s_mov_b32 s39, 0
	s_delay_alu instid0(VALU_DEP_2) | instskip(NEXT) | instid1(VALU_DEP_2)
	v_or_b32_e32 v5, s21, v4
	v_lshlrev_b64 v[8:9], 2, v[2:3]
	s_delay_alu instid0(VALU_DEP_2) | instskip(NEXT) | instid1(VALU_DEP_1)
	v_ashrrev_i32_e32 v6, 31, v5
	v_lshlrev_b64 v[6:7], 3, v[5:6]
	s_delay_alu instid0(VALU_DEP_1) | instskip(NEXT) | instid1(VALU_DEP_2)
	v_add_co_u32 v6, vcc_lo, s14, v6
	v_add_co_ci_u32_e32 v7, vcc_lo, s15, v7, vcc_lo
	v_add_co_u32 v25, vcc_lo, s12, v8
	v_add_co_ci_u32_e32 v26, vcc_lo, s13, v9, vcc_lo
	global_load_b64 v[9:10], v[6:7], off
	global_load_b32 v11, v[25:26], off
	s_waitcnt vmcnt(1)
	v_mul_f32_e64 v26, v10, -v21
	s_delay_alu instid0(VALU_DEP_1) | instskip(SKIP_1) | instid1(VALU_DEP_1)
	v_fmac_f32_e32 v26, v22, v9
	v_mul_f32_e32 v25, v22, v10
	v_fmac_f32_e32 v25, v21, v9
	v_ashrrev_i32_e32 v5, 31, v4
	v_or_b32_e32 v23, s36, v4
	s_delay_alu instid0(VALU_DEP_2) | instskip(NEXT) | instid1(VALU_DEP_2)
	v_lshlrev_b64 v[3:4], 3, v[4:5]
	v_ashrrev_i32_e32 v24, 31, v23
	s_delay_alu instid0(VALU_DEP_2) | instskip(NEXT) | instid1(VALU_DEP_3)
	v_add_co_u32 v5, vcc_lo, s14, v3
	v_add_co_ci_u32_e32 v6, vcc_lo, s15, v4, vcc_lo
	s_delay_alu instid0(VALU_DEP_3)
	v_lshlrev_b64 v[3:4], 3, v[23:24]
	s_waitcnt vmcnt(0)
	v_subrev_nc_u32_e32 v23, s29, v11
	global_load_b64 v[7:8], v[5:6], off
	v_add_co_u32 v3, vcc_lo, s14, v3
	v_add_co_ci_u32_e32 v4, vcc_lo, s15, v4, vcc_lo
	s_clause 0x1
	global_load_b64 v[3:4], v[3:4], off
	global_load_b64 v[5:6], v[5:6], off offset:24
	v_lshl_add_u32 v11, v23, 3, v23
	s_waitcnt vmcnt(2)
	v_fmac_f32_e32 v25, v16, v7
	v_fmac_f32_e32 v26, v15, v7
	s_delay_alu instid0(VALU_DEP_2) | instskip(NEXT) | instid1(VALU_DEP_2)
	v_dual_fmac_f32 v25, v15, v8 :: v_dual_and_b32 v24, 63, v11
	v_fma_f32 v26, -v16, v8, v26
	s_delay_alu instid0(VALU_DEP_2)
	v_mov_b32_e32 v27, v24
	s_branch .LBB48_26
.LBB48_25:                              ;   in Loop: Header=BB48_26 Depth=3
	s_or_b32 exec_lo, exec_lo, s45
	s_xor_b32 s45, s46, -1
	s_delay_alu instid0(SALU_CYCLE_1) | instskip(NEXT) | instid1(SALU_CYCLE_1)
	s_and_b32 s45, exec_lo, s45
	s_or_b32 s39, s45, s39
	s_delay_alu instid0(SALU_CYCLE_1)
	s_and_not1_b32 exec_lo, exec_lo, s39
	s_cbranch_execz .LBB48_36
.LBB48_26:                              ;   Parent Loop BB48_21 Depth=1
                                        ;     Parent Loop BB48_24 Depth=2
                                        ; =>    This Inner Loop Header: Depth=3
	s_delay_alu instid0(VALU_DEP_1)
	v_lshl_add_u32 v11, v27, 2, 0
	s_mov_b32 s45, exec_lo
                                        ; implicit-def: $sgpr46
	ds_load_b32 v28, v11
	s_waitcnt lgkmcnt(0)
	v_cmpx_ne_u32_e64 v28, v23
	s_xor_b32 s45, exec_lo, s45
	s_cbranch_execz .LBB48_34
; %bb.27:                               ;   in Loop: Header=BB48_26 Depth=3
	s_mov_b32 s47, exec_lo
                                        ; implicit-def: $sgpr46
	v_cmpx_ne_u32_e64 s16, v28
	s_xor_b32 s47, exec_lo, s47
; %bb.28:                               ;   in Loop: Header=BB48_26 Depth=3
	v_add_nc_u32_e32 v11, 1, v27
	s_mov_b32 s46, -1
	s_delay_alu instid0(VALU_DEP_1)
	v_and_b32_e32 v27, 63, v11
                                        ; implicit-def: $vgpr11
; %bb.29:                               ;   in Loop: Header=BB48_26 Depth=3
	s_and_not1_saveexec_b32 s47, s47
	s_cbranch_execz .LBB48_33
; %bb.30:                               ;   in Loop: Header=BB48_26 Depth=3
	v_mov_b32_e32 v28, s16
	s_mov_b32 s49, -1
	s_mov_b32 s48, exec_lo
	ds_cmpstore_rtn_b32 v28, v11, v23, v28
	s_waitcnt lgkmcnt(0)
	v_cmpx_eq_u32_e64 s16, v28
	s_cbranch_execz .LBB48_32
; %bb.31:                               ;   in Loop: Header=BB48_26 Depth=3
	v_mad_u64_u32 v[28:29], null, v27, 28, v[11:12]
	s_xor_b32 s49, exec_lo, -1
	ds_add_f32 v28, v26 offset:256
	ds_add_f32 v28, v25 offset:260
.LBB48_32:                              ;   in Loop: Header=BB48_26 Depth=3
	s_or_b32 exec_lo, exec_lo, s48
	s_delay_alu instid0(SALU_CYCLE_1) | instskip(SKIP_1) | instid1(SALU_CYCLE_1)
	s_and_not1_b32 s46, s46, exec_lo
	s_and_b32 s48, s49, exec_lo
	s_or_b32 s46, s46, s48
.LBB48_33:                              ;   in Loop: Header=BB48_26 Depth=3
	s_or_b32 exec_lo, exec_lo, s47
	s_delay_alu instid0(SALU_CYCLE_1)
	s_and_b32 s46, s46, exec_lo
                                        ; implicit-def: $vgpr11
.LBB48_34:                              ;   in Loop: Header=BB48_26 Depth=3
	s_and_not1_saveexec_b32 s45, s45
	s_cbranch_execz .LBB48_25
; %bb.35:                               ;   in Loop: Header=BB48_26 Depth=3
	v_mad_u64_u32 v[28:29], null, v27, 28, v[11:12]
	s_and_not1_b32 s46, s46, exec_lo
	ds_add_f32 v28, v26 offset:256
	ds_add_f32 v28, v25 offset:260
	s_branch .LBB48_25
.LBB48_36:                              ;   in Loop: Header=BB48_24 Depth=2
	s_or_b32 exec_lo, exec_lo, s39
	s_waitcnt vmcnt(0)
	v_mul_f32_e64 v11, v6, -v21
	v_mul_f32_e32 v25, v22, v6
	v_mov_b32_e32 v27, v24
	s_mov_b32 s39, 0
	s_delay_alu instid0(VALU_DEP_3) | instskip(NEXT) | instid1(VALU_DEP_3)
	v_fmac_f32_e32 v11, v22, v5
	v_fmac_f32_e32 v25, v21, v5
	s_delay_alu instid0(VALU_DEP_2) | instskip(NEXT) | instid1(VALU_DEP_2)
	v_fmac_f32_e32 v11, v15, v3
	v_fmac_f32_e32 v25, v16, v3
	s_delay_alu instid0(VALU_DEP_2) | instskip(NEXT) | instid1(VALU_DEP_2)
	v_fma_f32 v26, -v16, v4, v11
	v_fmac_f32_e32 v25, v15, v4
	s_branch .LBB48_38
.LBB48_37:                              ;   in Loop: Header=BB48_38 Depth=3
	s_or_b32 exec_lo, exec_lo, s45
	s_xor_b32 s45, s46, -1
	s_delay_alu instid0(SALU_CYCLE_1) | instskip(NEXT) | instid1(SALU_CYCLE_1)
	s_and_b32 s45, exec_lo, s45
	s_or_b32 s39, s45, s39
	s_delay_alu instid0(SALU_CYCLE_1)
	s_and_not1_b32 exec_lo, exec_lo, s39
	s_cbranch_execz .LBB48_48
.LBB48_38:                              ;   Parent Loop BB48_21 Depth=1
                                        ;     Parent Loop BB48_24 Depth=2
                                        ; =>    This Inner Loop Header: Depth=3
	v_lshl_add_u32 v11, v27, 2, 0
	s_mov_b32 s45, exec_lo
                                        ; implicit-def: $sgpr46
	ds_load_b32 v28, v11
	s_waitcnt lgkmcnt(0)
	v_cmpx_ne_u32_e64 v28, v23
	s_xor_b32 s45, exec_lo, s45
	s_cbranch_execz .LBB48_46
; %bb.39:                               ;   in Loop: Header=BB48_38 Depth=3
	s_mov_b32 s47, exec_lo
                                        ; implicit-def: $sgpr46
	v_cmpx_ne_u32_e64 s16, v28
	s_xor_b32 s47, exec_lo, s47
; %bb.40:                               ;   in Loop: Header=BB48_38 Depth=3
	v_add_nc_u32_e32 v11, 1, v27
	s_mov_b32 s46, -1
	s_delay_alu instid0(VALU_DEP_1)
	v_and_b32_e32 v27, 63, v11
                                        ; implicit-def: $vgpr11
; %bb.41:                               ;   in Loop: Header=BB48_38 Depth=3
	s_and_not1_saveexec_b32 s47, s47
	s_cbranch_execz .LBB48_45
; %bb.42:                               ;   in Loop: Header=BB48_38 Depth=3
	v_mov_b32_e32 v28, s16
	s_mov_b32 s49, -1
	s_mov_b32 s48, exec_lo
	ds_cmpstore_rtn_b32 v28, v11, v23, v28
	s_waitcnt lgkmcnt(0)
	v_cmpx_eq_u32_e64 s16, v28
	s_cbranch_execz .LBB48_44
; %bb.43:                               ;   in Loop: Header=BB48_38 Depth=3
	v_mad_u64_u32 v[28:29], null, v27, 28, v[11:12]
	s_xor_b32 s49, exec_lo, -1
	ds_add_f32 v28, v26 offset:264
	ds_add_f32 v28, v25 offset:268
.LBB48_44:                              ;   in Loop: Header=BB48_38 Depth=3
	s_or_b32 exec_lo, exec_lo, s48
	s_delay_alu instid0(SALU_CYCLE_1) | instskip(SKIP_1) | instid1(SALU_CYCLE_1)
	s_and_not1_b32 s46, s46, exec_lo
	s_and_b32 s48, s49, exec_lo
	s_or_b32 s46, s46, s48
.LBB48_45:                              ;   in Loop: Header=BB48_38 Depth=3
	s_or_b32 exec_lo, exec_lo, s47
	s_delay_alu instid0(SALU_CYCLE_1)
	s_and_b32 s46, s46, exec_lo
                                        ; implicit-def: $vgpr11
.LBB48_46:                              ;   in Loop: Header=BB48_38 Depth=3
	s_and_not1_saveexec_b32 s45, s45
	s_cbranch_execz .LBB48_37
; %bb.47:                               ;   in Loop: Header=BB48_38 Depth=3
	v_mad_u64_u32 v[28:29], null, v27, 28, v[11:12]
	s_and_not1_b32 s46, s46, exec_lo
	ds_add_f32 v28, v26 offset:264
	ds_add_f32 v28, v25 offset:268
	s_branch .LBB48_37
.LBB48_48:                              ;   in Loop: Header=BB48_24 Depth=2
	s_or_b32 exec_lo, exec_lo, s39
	v_mul_f32_e64 v11, v10, -v19
	s_mov_b32 s39, 0
	s_delay_alu instid0(VALU_DEP_1) | instskip(NEXT) | instid1(VALU_DEP_1)
	v_fmac_f32_e32 v11, v20, v9
	v_dual_mul_f32 v10, v20, v10 :: v_dual_fmac_f32 v11, v17, v7
	s_delay_alu instid0(VALU_DEP_1) | instskip(NEXT) | instid1(VALU_DEP_2)
	v_fmac_f32_e32 v10, v19, v9
	v_fma_f32 v9, -v18, v8, v11
	s_delay_alu instid0(VALU_DEP_2) | instskip(NEXT) | instid1(VALU_DEP_1)
	v_fmac_f32_e32 v10, v18, v7
	v_fmac_f32_e32 v10, v17, v8
	v_mov_b32_e32 v8, v24
	s_branch .LBB48_50
.LBB48_49:                              ;   in Loop: Header=BB48_50 Depth=3
	s_or_b32 exec_lo, exec_lo, s45
	s_xor_b32 s45, s46, -1
	s_delay_alu instid0(SALU_CYCLE_1) | instskip(NEXT) | instid1(SALU_CYCLE_1)
	s_and_b32 s45, exec_lo, s45
	s_or_b32 s39, s45, s39
	s_delay_alu instid0(SALU_CYCLE_1)
	s_and_not1_b32 exec_lo, exec_lo, s39
	s_cbranch_execz .LBB48_60
.LBB48_50:                              ;   Parent Loop BB48_21 Depth=1
                                        ;     Parent Loop BB48_24 Depth=2
                                        ; =>    This Inner Loop Header: Depth=3
	s_delay_alu instid0(VALU_DEP_1)
	v_lshl_add_u32 v7, v8, 2, 0
	s_mov_b32 s45, exec_lo
                                        ; implicit-def: $sgpr46
	ds_load_b32 v11, v7
	s_waitcnt lgkmcnt(0)
	v_cmpx_ne_u32_e64 v11, v23
	s_xor_b32 s45, exec_lo, s45
	s_cbranch_execz .LBB48_58
; %bb.51:                               ;   in Loop: Header=BB48_50 Depth=3
	s_mov_b32 s47, exec_lo
                                        ; implicit-def: $sgpr46
	v_cmpx_ne_u32_e64 s16, v11
	s_xor_b32 s47, exec_lo, s47
; %bb.52:                               ;   in Loop: Header=BB48_50 Depth=3
	v_add_nc_u32_e32 v7, 1, v8
	s_mov_b32 s46, -1
	s_delay_alu instid0(VALU_DEP_1)
	v_and_b32_e32 v8, 63, v7
                                        ; implicit-def: $vgpr7
; %bb.53:                               ;   in Loop: Header=BB48_50 Depth=3
	s_and_not1_saveexec_b32 s47, s47
	s_cbranch_execz .LBB48_57
; %bb.54:                               ;   in Loop: Header=BB48_50 Depth=3
	v_mov_b32_e32 v11, s16
	s_mov_b32 s49, -1
	s_mov_b32 s48, exec_lo
	ds_cmpstore_rtn_b32 v11, v7, v23, v11
	s_waitcnt lgkmcnt(0)
	v_cmpx_eq_u32_e64 s16, v11
	s_cbranch_execz .LBB48_56
; %bb.55:                               ;   in Loop: Header=BB48_50 Depth=3
	v_mad_u64_u32 v[25:26], null, v8, 28, v[7:8]
	s_xor_b32 s49, exec_lo, -1
	ds_add_f32 v25, v9 offset:272
	ds_add_f32 v25, v10 offset:276
.LBB48_56:                              ;   in Loop: Header=BB48_50 Depth=3
	s_or_b32 exec_lo, exec_lo, s48
	s_delay_alu instid0(SALU_CYCLE_1) | instskip(SKIP_1) | instid1(SALU_CYCLE_1)
	s_and_not1_b32 s46, s46, exec_lo
	s_and_b32 s48, s49, exec_lo
	s_or_b32 s46, s46, s48
.LBB48_57:                              ;   in Loop: Header=BB48_50 Depth=3
	s_or_b32 exec_lo, exec_lo, s47
	s_delay_alu instid0(SALU_CYCLE_1)
	s_and_b32 s46, s46, exec_lo
                                        ; implicit-def: $vgpr7
.LBB48_58:                              ;   in Loop: Header=BB48_50 Depth=3
	s_and_not1_saveexec_b32 s45, s45
	s_cbranch_execz .LBB48_49
; %bb.59:                               ;   in Loop: Header=BB48_50 Depth=3
	v_mad_u64_u32 v[25:26], null, v8, 28, v[7:8]
	s_and_not1_b32 s46, s46, exec_lo
	ds_add_f32 v25, v9 offset:272
	ds_add_f32 v25, v10 offset:276
	s_branch .LBB48_49
.LBB48_60:                              ;   in Loop: Header=BB48_24 Depth=2
	s_or_b32 exec_lo, exec_lo, s39
	v_mul_f32_e64 v7, v6, -v19
	s_mov_b32 s39, 0
	s_delay_alu instid0(VALU_DEP_1) | instskip(NEXT) | instid1(VALU_DEP_1)
	v_fmac_f32_e32 v7, v20, v5
	v_dual_mul_f32 v6, v20, v6 :: v_dual_fmac_f32 v7, v17, v3
	s_delay_alu instid0(VALU_DEP_1) | instskip(NEXT) | instid1(VALU_DEP_2)
	v_fmac_f32_e32 v6, v19, v5
	v_fma_f32 v5, -v18, v4, v7
	s_delay_alu instid0(VALU_DEP_2) | instskip(NEXT) | instid1(VALU_DEP_1)
	v_fmac_f32_e32 v6, v18, v3
	v_fmac_f32_e32 v6, v17, v4
	s_branch .LBB48_62
.LBB48_61:                              ;   in Loop: Header=BB48_62 Depth=3
	s_or_b32 exec_lo, exec_lo, s45
	s_xor_b32 s45, s46, -1
	s_delay_alu instid0(SALU_CYCLE_1) | instskip(NEXT) | instid1(SALU_CYCLE_1)
	s_and_b32 s45, exec_lo, s45
	s_or_b32 s39, s45, s39
	s_delay_alu instid0(SALU_CYCLE_1)
	s_and_not1_b32 exec_lo, exec_lo, s39
	s_cbranch_execz .LBB48_23
.LBB48_62:                              ;   Parent Loop BB48_21 Depth=1
                                        ;     Parent Loop BB48_24 Depth=2
                                        ; =>    This Inner Loop Header: Depth=3
	v_lshl_add_u32 v3, v24, 2, 0
	s_mov_b32 s45, exec_lo
                                        ; implicit-def: $sgpr46
	ds_load_b32 v4, v3
	s_waitcnt lgkmcnt(0)
	v_cmpx_ne_u32_e64 v4, v23
	s_xor_b32 s45, exec_lo, s45
	s_cbranch_execz .LBB48_70
; %bb.63:                               ;   in Loop: Header=BB48_62 Depth=3
	s_mov_b32 s47, exec_lo
                                        ; implicit-def: $sgpr46
	v_cmpx_ne_u32_e64 s16, v4
	s_xor_b32 s47, exec_lo, s47
; %bb.64:                               ;   in Loop: Header=BB48_62 Depth=3
	v_add_nc_u32_e32 v3, 1, v24
	s_mov_b32 s46, -1
	s_delay_alu instid0(VALU_DEP_1)
	v_and_b32_e32 v24, 63, v3
                                        ; implicit-def: $vgpr3
; %bb.65:                               ;   in Loop: Header=BB48_62 Depth=3
	s_and_not1_saveexec_b32 s47, s47
	s_cbranch_execz .LBB48_69
; %bb.66:                               ;   in Loop: Header=BB48_62 Depth=3
	v_mov_b32_e32 v4, s16
	s_mov_b32 s49, -1
	s_mov_b32 s48, exec_lo
	ds_cmpstore_rtn_b32 v4, v3, v23, v4
	s_waitcnt lgkmcnt(0)
	v_cmpx_eq_u32_e64 s16, v4
	s_cbranch_execz .LBB48_68
; %bb.67:                               ;   in Loop: Header=BB48_62 Depth=3
	v_mad_u64_u32 v[7:8], null, v24, 28, v[3:4]
	s_xor_b32 s49, exec_lo, -1
	ds_add_f32 v7, v5 offset:280
	ds_add_f32 v7, v6 offset:284
.LBB48_68:                              ;   in Loop: Header=BB48_62 Depth=3
	s_or_b32 exec_lo, exec_lo, s48
	s_delay_alu instid0(SALU_CYCLE_1) | instskip(SKIP_1) | instid1(SALU_CYCLE_1)
	s_and_not1_b32 s46, s46, exec_lo
	s_and_b32 s48, s49, exec_lo
	s_or_b32 s46, s46, s48
.LBB48_69:                              ;   in Loop: Header=BB48_62 Depth=3
	s_or_b32 exec_lo, exec_lo, s47
	s_delay_alu instid0(SALU_CYCLE_1)
	s_and_b32 s46, s46, exec_lo
                                        ; implicit-def: $vgpr3
.LBB48_70:                              ;   in Loop: Header=BB48_62 Depth=3
	s_and_not1_saveexec_b32 s45, s45
	s_cbranch_execz .LBB48_61
; %bb.71:                               ;   in Loop: Header=BB48_62 Depth=3
	v_mad_u64_u32 v[7:8], null, v24, 28, v[3:4]
	s_and_not1_b32 s46, s46, exec_lo
	ds_add_f32 v7, v5 offset:280
	ds_add_f32 v7, v6 offset:284
	s_branch .LBB48_61
.LBB48_72:
	s_or_b32 exec_lo, exec_lo, s17
.LBB48_73:
	s_delay_alu instid0(SALU_CYCLE_1)
	s_and_not1_b32 vcc_lo, exec_lo, s44
	s_waitcnt lgkmcnt(0)
	s_barrier
	buffer_gl0_inv
	s_cbranch_vccnz .LBB48_126
; %bb.74:
	s_lshl_b64 s[12:13], s[40:41], 2
	v_subrev_nc_u32_e32 v1, s31, v0
	s_add_u32 s12, s18, s12
	s_addc_u32 s13, s19, s13
	s_mov_b32 s3, exec_lo
	s_load_b64 s[12:13], s[12:13], 0x0
	s_waitcnt lgkmcnt(0)
	v_add_nc_u32_e32 v1, s12, v1
	s_sub_i32 s1, s13, s31
	s_delay_alu instid0(VALU_DEP_1) | instid1(SALU_CYCLE_1)
	v_cmpx_gt_i32_e64 s1, v1
	s_cbranch_execz .LBB48_125
; %bb.75:
	s_cmp_eq_u32 s0, 0
	s_mov_b32 s12, 0
	s_cselect_b32 s13, 1, 2
	s_cselect_b32 s14, 2, 1
	s_branch .LBB48_77
.LBB48_76:                              ;   in Loop: Header=BB48_77 Depth=1
	s_or_b32 exec_lo, exec_lo, s15
	v_add_nc_u32_e32 v1, 0x100, v1
	s_delay_alu instid0(VALU_DEP_1) | instskip(SKIP_1) | instid1(SALU_CYCLE_1)
	v_cmp_le_i32_e32 vcc_lo, s1, v1
	s_or_b32 s12, vcc_lo, s12
	s_and_not1_b32 exec_lo, exec_lo, s12
	s_cbranch_execz .LBB48_125
.LBB48_77:                              ; =>This Loop Header: Depth=1
                                        ;     Child Loop BB48_79 Depth 2
                                        ;     Child Loop BB48_91 Depth 2
	;; [unrolled: 1-line block ×4, first 2 shown]
	v_ashrrev_i32_e32 v2, 31, v1
	v_lshlrev_b32_e32 v3, 2, v1
	s_mov_b32 s15, 0
	s_delay_alu instid0(VALU_DEP_2) | instskip(NEXT) | instid1(VALU_DEP_2)
	v_lshlrev_b64 v[5:6], 2, v[1:2]
	v_ashrrev_i32_e32 v4, 31, v3
	v_or_b32_e32 v2, s13, v3
	s_delay_alu instid0(VALU_DEP_2) | instskip(NEXT) | instid1(VALU_DEP_4)
	v_lshlrev_b64 v[7:8], 3, v[3:4]
	v_add_co_u32 v5, vcc_lo, s4, v5
	v_add_co_ci_u32_e32 v6, vcc_lo, s5, v6, vcc_lo
	v_or_b32_e32 v4, s14, v3
	v_ashrrev_i32_e32 v3, 31, v2
	global_load_b32 v10, v[5:6], off
	v_add_co_u32 v6, vcc_lo, s6, v7
	v_ashrrev_i32_e32 v5, 31, v4
	v_add_co_ci_u32_e32 v7, vcc_lo, s7, v8, vcc_lo
	v_lshlrev_b64 v[2:3], 3, v[2:3]
	s_delay_alu instid0(VALU_DEP_3)
	v_lshlrev_b64 v[4:5], 3, v[4:5]
	global_load_b64 v[14:15], v[6:7], off
	v_add_co_u32 v8, vcc_lo, s6, v2
	v_add_co_ci_u32_e32 v9, vcc_lo, s7, v3, vcc_lo
	v_add_co_u32 v4, vcc_lo, s6, v4
	v_add_co_ci_u32_e32 v5, vcc_lo, s7, v5, vcc_lo
	s_clause 0x2
	global_load_b64 v[2:3], v[6:7], off offset:24
	global_load_b64 v[6:7], v[8:9], off
	global_load_b64 v[4:5], v[4:5], off
	s_waitcnt vmcnt(4)
	v_subrev_nc_u32_e32 v9, s31, v10
	s_delay_alu instid0(VALU_DEP_1) | instskip(SKIP_2) | instid1(VALU_DEP_2)
	v_lshl_add_u32 v8, v9, 3, v9
	s_waitcnt vmcnt(3)
	v_mul_f32_e64 v11, v15, -s42
	v_dual_mul_f32 v13, s33, v15 :: v_dual_and_b32 v10, 63, v8
	s_delay_alu instid0(VALU_DEP_2) | instskip(NEXT) | instid1(VALU_DEP_2)
	v_fmac_f32_e32 v11, s33, v14
	v_dual_fmac_f32 v13, s42, v14 :: v_dual_mov_b32 v14, v10
	s_branch .LBB48_79
.LBB48_78:                              ;   in Loop: Header=BB48_79 Depth=2
	s_or_b32 exec_lo, exec_lo, s17
	s_xor_b32 s17, s18, -1
	s_delay_alu instid0(SALU_CYCLE_1) | instskip(NEXT) | instid1(SALU_CYCLE_1)
	s_and_b32 s17, exec_lo, s17
	s_or_b32 s15, s17, s15
	s_delay_alu instid0(SALU_CYCLE_1)
	s_and_not1_b32 exec_lo, exec_lo, s15
	s_cbranch_execz .LBB48_89
.LBB48_79:                              ;   Parent Loop BB48_77 Depth=1
                                        ; =>  This Inner Loop Header: Depth=2
	s_delay_alu instid0(VALU_DEP_1)
	v_lshl_add_u32 v8, v14, 2, 0
	s_mov_b32 s17, exec_lo
                                        ; implicit-def: $sgpr18
	ds_load_b32 v15, v8
	s_waitcnt lgkmcnt(0)
	v_cmpx_ne_u32_e64 v15, v9
	s_xor_b32 s17, exec_lo, s17
	s_cbranch_execz .LBB48_87
; %bb.80:                               ;   in Loop: Header=BB48_79 Depth=2
	s_mov_b32 s19, exec_lo
                                        ; implicit-def: $sgpr18
	v_cmpx_ne_u32_e64 s16, v15
	s_xor_b32 s19, exec_lo, s19
; %bb.81:                               ;   in Loop: Header=BB48_79 Depth=2
	v_add_nc_u32_e32 v8, 1, v14
	s_mov_b32 s18, -1
	s_delay_alu instid0(VALU_DEP_1)
	v_and_b32_e32 v14, 63, v8
                                        ; implicit-def: $vgpr8
; %bb.82:                               ;   in Loop: Header=BB48_79 Depth=2
	s_and_not1_saveexec_b32 s19, s19
	s_cbranch_execz .LBB48_86
; %bb.83:                               ;   in Loop: Header=BB48_79 Depth=2
	v_mov_b32_e32 v15, s16
	s_mov_b32 s21, -1
	s_mov_b32 s20, exec_lo
	ds_cmpstore_rtn_b32 v15, v8, v9, v15
	s_waitcnt lgkmcnt(0)
	v_cmpx_eq_u32_e64 s16, v15
	s_cbranch_execz .LBB48_85
; %bb.84:                               ;   in Loop: Header=BB48_79 Depth=2
	v_mad_u64_u32 v[15:16], null, v14, 28, v[8:9]
	s_xor_b32 s21, exec_lo, -1
	ds_add_f32 v15, v11 offset:256
	ds_add_f32 v15, v13 offset:260
.LBB48_85:                              ;   in Loop: Header=BB48_79 Depth=2
	s_or_b32 exec_lo, exec_lo, s20
	s_delay_alu instid0(SALU_CYCLE_1) | instskip(SKIP_1) | instid1(SALU_CYCLE_1)
	s_and_not1_b32 s18, s18, exec_lo
	s_and_b32 s20, s21, exec_lo
	s_or_b32 s18, s18, s20
.LBB48_86:                              ;   in Loop: Header=BB48_79 Depth=2
	s_or_b32 exec_lo, exec_lo, s19
	s_delay_alu instid0(SALU_CYCLE_1)
	s_and_b32 s18, s18, exec_lo
                                        ; implicit-def: $vgpr8
.LBB48_87:                              ;   in Loop: Header=BB48_79 Depth=2
	s_and_not1_saveexec_b32 s17, s17
	s_cbranch_execz .LBB48_78
; %bb.88:                               ;   in Loop: Header=BB48_79 Depth=2
	v_mad_u64_u32 v[15:16], null, v14, 28, v[8:9]
	s_and_not1_b32 s18, s18, exec_lo
	ds_add_f32 v15, v11 offset:256
	ds_add_f32 v15, v13 offset:260
	s_branch .LBB48_78
.LBB48_89:                              ;   in Loop: Header=BB48_77 Depth=1
	s_or_b32 exec_lo, exec_lo, s15
	s_waitcnt vmcnt(1)
	v_mul_f32_e64 v8, v7, -s42
	v_mul_f32_e32 v7, s33, v7
	v_mov_b32_e32 v11, v10
	s_mov_b32 s15, 0
	s_delay_alu instid0(VALU_DEP_3) | instskip(NEXT) | instid1(VALU_DEP_3)
	v_fmac_f32_e32 v8, s33, v6
	v_fmac_f32_e32 v7, s42, v6
	s_branch .LBB48_91
.LBB48_90:                              ;   in Loop: Header=BB48_91 Depth=2
	s_or_b32 exec_lo, exec_lo, s17
	s_xor_b32 s17, s18, -1
	s_delay_alu instid0(SALU_CYCLE_1) | instskip(NEXT) | instid1(SALU_CYCLE_1)
	s_and_b32 s17, exec_lo, s17
	s_or_b32 s15, s17, s15
	s_delay_alu instid0(SALU_CYCLE_1)
	s_and_not1_b32 exec_lo, exec_lo, s15
	s_cbranch_execz .LBB48_101
.LBB48_91:                              ;   Parent Loop BB48_77 Depth=1
                                        ; =>  This Inner Loop Header: Depth=2
	v_lshl_add_u32 v6, v11, 2, 0
	s_mov_b32 s17, exec_lo
                                        ; implicit-def: $sgpr18
	ds_load_b32 v13, v6
	s_waitcnt lgkmcnt(0)
	v_cmpx_ne_u32_e64 v13, v9
	s_xor_b32 s17, exec_lo, s17
	s_cbranch_execz .LBB48_99
; %bb.92:                               ;   in Loop: Header=BB48_91 Depth=2
	s_mov_b32 s19, exec_lo
                                        ; implicit-def: $sgpr18
	v_cmpx_ne_u32_e64 s16, v13
	s_xor_b32 s19, exec_lo, s19
; %bb.93:                               ;   in Loop: Header=BB48_91 Depth=2
	v_add_nc_u32_e32 v6, 1, v11
	s_mov_b32 s18, -1
	s_delay_alu instid0(VALU_DEP_1)
	v_and_b32_e32 v11, 63, v6
                                        ; implicit-def: $vgpr6
; %bb.94:                               ;   in Loop: Header=BB48_91 Depth=2
	s_and_not1_saveexec_b32 s19, s19
	s_cbranch_execz .LBB48_98
; %bb.95:                               ;   in Loop: Header=BB48_91 Depth=2
	v_mov_b32_e32 v13, s16
	s_mov_b32 s21, -1
	s_mov_b32 s20, exec_lo
	ds_cmpstore_rtn_b32 v13, v6, v9, v13
	s_waitcnt lgkmcnt(0)
	v_cmpx_eq_u32_e64 s16, v13
	s_cbranch_execz .LBB48_97
; %bb.96:                               ;   in Loop: Header=BB48_91 Depth=2
	v_mad_u64_u32 v[13:14], null, v11, 28, v[6:7]
	s_xor_b32 s21, exec_lo, -1
	ds_add_f32 v13, v8 offset:264
	ds_add_f32 v13, v7 offset:268
.LBB48_97:                              ;   in Loop: Header=BB48_91 Depth=2
	s_or_b32 exec_lo, exec_lo, s20
	s_delay_alu instid0(SALU_CYCLE_1) | instskip(SKIP_1) | instid1(SALU_CYCLE_1)
	s_and_not1_b32 s18, s18, exec_lo
	s_and_b32 s20, s21, exec_lo
	s_or_b32 s18, s18, s20
.LBB48_98:                              ;   in Loop: Header=BB48_91 Depth=2
	s_or_b32 exec_lo, exec_lo, s19
	s_delay_alu instid0(SALU_CYCLE_1)
	s_and_b32 s18, s18, exec_lo
                                        ; implicit-def: $vgpr6
.LBB48_99:                              ;   in Loop: Header=BB48_91 Depth=2
	s_and_not1_saveexec_b32 s17, s17
	s_cbranch_execz .LBB48_90
; %bb.100:                              ;   in Loop: Header=BB48_91 Depth=2
	v_mad_u64_u32 v[13:14], null, v11, 28, v[6:7]
	s_and_not1_b32 s18, s18, exec_lo
	ds_add_f32 v13, v8 offset:264
	ds_add_f32 v13, v7 offset:268
	s_branch .LBB48_90
.LBB48_101:                             ;   in Loop: Header=BB48_77 Depth=1
	s_or_b32 exec_lo, exec_lo, s15
	s_waitcnt vmcnt(0)
	v_mul_f32_e64 v6, v5, -s42
	v_mul_f32_e32 v5, s33, v5
	v_mov_b32_e32 v7, v10
	s_mov_b32 s15, 0
	s_delay_alu instid0(VALU_DEP_3) | instskip(NEXT) | instid1(VALU_DEP_3)
	v_fmac_f32_e32 v6, s33, v4
	v_fmac_f32_e32 v5, s42, v4
	s_branch .LBB48_103
.LBB48_102:                             ;   in Loop: Header=BB48_103 Depth=2
	s_or_b32 exec_lo, exec_lo, s17
	s_xor_b32 s17, s18, -1
	s_delay_alu instid0(SALU_CYCLE_1) | instskip(NEXT) | instid1(SALU_CYCLE_1)
	s_and_b32 s17, exec_lo, s17
	s_or_b32 s15, s17, s15
	s_delay_alu instid0(SALU_CYCLE_1)
	s_and_not1_b32 exec_lo, exec_lo, s15
	s_cbranch_execz .LBB48_113
.LBB48_103:                             ;   Parent Loop BB48_77 Depth=1
                                        ; =>  This Inner Loop Header: Depth=2
	v_lshl_add_u32 v4, v7, 2, 0
	s_mov_b32 s17, exec_lo
                                        ; implicit-def: $sgpr18
	ds_load_b32 v8, v4
	s_waitcnt lgkmcnt(0)
	v_cmpx_ne_u32_e64 v8, v9
	s_xor_b32 s17, exec_lo, s17
	s_cbranch_execz .LBB48_111
; %bb.104:                              ;   in Loop: Header=BB48_103 Depth=2
	s_mov_b32 s19, exec_lo
                                        ; implicit-def: $sgpr18
	v_cmpx_ne_u32_e64 s16, v8
	s_xor_b32 s19, exec_lo, s19
; %bb.105:                              ;   in Loop: Header=BB48_103 Depth=2
	v_add_nc_u32_e32 v4, 1, v7
	s_mov_b32 s18, -1
	s_delay_alu instid0(VALU_DEP_1)
	v_and_b32_e32 v7, 63, v4
                                        ; implicit-def: $vgpr4
; %bb.106:                              ;   in Loop: Header=BB48_103 Depth=2
	s_and_not1_saveexec_b32 s19, s19
	s_cbranch_execz .LBB48_110
; %bb.107:                              ;   in Loop: Header=BB48_103 Depth=2
	v_mov_b32_e32 v8, s16
	s_mov_b32 s21, -1
	s_mov_b32 s20, exec_lo
	ds_cmpstore_rtn_b32 v8, v4, v9, v8
	s_waitcnt lgkmcnt(0)
	v_cmpx_eq_u32_e64 s16, v8
	s_cbranch_execz .LBB48_109
; %bb.108:                              ;   in Loop: Header=BB48_103 Depth=2
	v_mad_u64_u32 v[13:14], null, v7, 28, v[4:5]
	s_xor_b32 s21, exec_lo, -1
	ds_add_f32 v13, v6 offset:272
	ds_add_f32 v13, v5 offset:276
.LBB48_109:                             ;   in Loop: Header=BB48_103 Depth=2
	s_or_b32 exec_lo, exec_lo, s20
	s_delay_alu instid0(SALU_CYCLE_1) | instskip(SKIP_1) | instid1(SALU_CYCLE_1)
	s_and_not1_b32 s18, s18, exec_lo
	s_and_b32 s20, s21, exec_lo
	s_or_b32 s18, s18, s20
.LBB48_110:                             ;   in Loop: Header=BB48_103 Depth=2
	s_or_b32 exec_lo, exec_lo, s19
	s_delay_alu instid0(SALU_CYCLE_1)
	s_and_b32 s18, s18, exec_lo
                                        ; implicit-def: $vgpr4
.LBB48_111:                             ;   in Loop: Header=BB48_103 Depth=2
	s_and_not1_saveexec_b32 s17, s17
	s_cbranch_execz .LBB48_102
; %bb.112:                              ;   in Loop: Header=BB48_103 Depth=2
	v_mad_u64_u32 v[13:14], null, v7, 28, v[4:5]
	s_and_not1_b32 s18, s18, exec_lo
	ds_add_f32 v13, v6 offset:272
	ds_add_f32 v13, v5 offset:276
	s_branch .LBB48_102
.LBB48_113:                             ;   in Loop: Header=BB48_77 Depth=1
	s_or_b32 exec_lo, exec_lo, s15
	v_mul_f32_e64 v4, v3, -s42
	v_mul_f32_e32 v3, s33, v3
	s_mov_b32 s15, 0
	s_delay_alu instid0(VALU_DEP_2) | instskip(NEXT) | instid1(VALU_DEP_2)
	v_fmac_f32_e32 v4, s33, v2
	v_fmac_f32_e32 v3, s42, v2
	s_branch .LBB48_115
.LBB48_114:                             ;   in Loop: Header=BB48_115 Depth=2
	s_or_b32 exec_lo, exec_lo, s17
	s_xor_b32 s17, s18, -1
	s_delay_alu instid0(SALU_CYCLE_1) | instskip(NEXT) | instid1(SALU_CYCLE_1)
	s_and_b32 s17, exec_lo, s17
	s_or_b32 s15, s17, s15
	s_delay_alu instid0(SALU_CYCLE_1)
	s_and_not1_b32 exec_lo, exec_lo, s15
	s_cbranch_execz .LBB48_76
.LBB48_115:                             ;   Parent Loop BB48_77 Depth=1
                                        ; =>  This Inner Loop Header: Depth=2
	v_lshl_add_u32 v2, v10, 2, 0
	s_mov_b32 s17, exec_lo
                                        ; implicit-def: $sgpr18
	ds_load_b32 v5, v2
	s_waitcnt lgkmcnt(0)
	v_cmpx_ne_u32_e64 v5, v9
	s_xor_b32 s17, exec_lo, s17
	s_cbranch_execz .LBB48_123
; %bb.116:                              ;   in Loop: Header=BB48_115 Depth=2
	s_mov_b32 s19, exec_lo
                                        ; implicit-def: $sgpr18
	v_cmpx_ne_u32_e64 s16, v5
	s_xor_b32 s19, exec_lo, s19
; %bb.117:                              ;   in Loop: Header=BB48_115 Depth=2
	v_add_nc_u32_e32 v2, 1, v10
	s_mov_b32 s18, -1
	s_delay_alu instid0(VALU_DEP_1)
	v_and_b32_e32 v10, 63, v2
                                        ; implicit-def: $vgpr2
; %bb.118:                              ;   in Loop: Header=BB48_115 Depth=2
	s_and_not1_saveexec_b32 s19, s19
	s_cbranch_execz .LBB48_122
; %bb.119:                              ;   in Loop: Header=BB48_115 Depth=2
	v_mov_b32_e32 v5, s16
	s_mov_b32 s21, -1
	s_mov_b32 s20, exec_lo
	ds_cmpstore_rtn_b32 v5, v2, v9, v5
	s_waitcnt lgkmcnt(0)
	v_cmpx_eq_u32_e64 s16, v5
	s_cbranch_execz .LBB48_121
; %bb.120:                              ;   in Loop: Header=BB48_115 Depth=2
	v_mad_u64_u32 v[5:6], null, v10, 28, v[2:3]
	s_xor_b32 s21, exec_lo, -1
	ds_add_f32 v5, v4 offset:280
	ds_add_f32 v5, v3 offset:284
.LBB48_121:                             ;   in Loop: Header=BB48_115 Depth=2
	s_or_b32 exec_lo, exec_lo, s20
	s_delay_alu instid0(SALU_CYCLE_1) | instskip(SKIP_1) | instid1(SALU_CYCLE_1)
	s_and_not1_b32 s18, s18, exec_lo
	s_and_b32 s20, s21, exec_lo
	s_or_b32 s18, s18, s20
.LBB48_122:                             ;   in Loop: Header=BB48_115 Depth=2
	s_or_b32 exec_lo, exec_lo, s19
	s_delay_alu instid0(SALU_CYCLE_1)
	s_and_b32 s18, s18, exec_lo
                                        ; implicit-def: $vgpr2
.LBB48_123:                             ;   in Loop: Header=BB48_115 Depth=2
	s_and_not1_saveexec_b32 s17, s17
	s_cbranch_execz .LBB48_114
; %bb.124:                              ;   in Loop: Header=BB48_115 Depth=2
	v_mad_u64_u32 v[5:6], null, v10, 28, v[2:3]
	s_and_not1_b32 s18, s18, exec_lo
	ds_add_f32 v5, v4 offset:280
	ds_add_f32 v5, v3 offset:284
	s_branch .LBB48_114
.LBB48_125:
	s_or_b32 exec_lo, exec_lo, s3
.LBB48_126:
	s_waitcnt lgkmcnt(0)
	s_barrier
	buffer_gl0_inv
	s_and_saveexec_b32 s1, s2
	s_cbranch_execz .LBB48_129
; %bb.127:
	ds_load_b32 v1, v12
	s_waitcnt lgkmcnt(0)
	v_cmp_gt_i32_e32 vcc_lo, s16, v1
	s_and_b32 exec_lo, exec_lo, vcc_lo
	s_cbranch_execz .LBB48_129
; %bb.128:
	s_lshl_b64 s[2:3], s[40:41], 2
	v_mov_b32_e32 v38, 0
	s_add_u32 s2, s8, s2
	s_addc_u32 s3, s9, s3
	s_load_b32 s1, s[2:3], 0x0
	ds_load_2addr_b32 v[2:3], v38 offset1:1
	ds_load_2addr_b32 v[4:5], v38 offset0:2 offset1:3
	ds_load_2addr_b32 v[6:7], v38 offset0:4 offset1:5
	;; [unrolled: 1-line block ×17, first 2 shown]
	s_waitcnt lgkmcnt(0)
	v_cmp_gt_i32_e32 vcc_lo, v1, v2
	v_cndmask_b32_e64 v2, 0, 1, vcc_lo
	v_cmp_gt_i32_e32 vcc_lo, v1, v4
	v_cndmask_b32_e64 v4, 0, 1, vcc_lo
	v_cmp_gt_i32_e32 vcc_lo, v1, v3
	s_sub_i32 s1, s1, s30
	s_cmp_eq_u32 s0, 0
	v_add_co_ci_u32_e32 v2, vcc_lo, s1, v2, vcc_lo
	v_cmp_gt_i32_e32 vcc_lo, v1, v6
	s_cselect_b32 s0, 2, 1
	s_cselect_b32 s1, 1, 2
	v_cndmask_b32_e64 v3, 0, 1, vcc_lo
	v_cmp_gt_i32_e32 vcc_lo, v1, v5
	v_add_co_ci_u32_e32 v2, vcc_lo, v2, v4, vcc_lo
	v_cmp_gt_i32_e32 vcc_lo, v1, v8
	v_cndmask_b32_e64 v4, 0, 1, vcc_lo
	v_cmp_gt_i32_e32 vcc_lo, v1, v7
	s_delay_alu instid0(VALU_DEP_4) | instskip(SKIP_3) | instid1(VALU_DEP_4)
	v_add_co_ci_u32_e32 v2, vcc_lo, v2, v3, vcc_lo
	v_cmp_gt_i32_e32 vcc_lo, v1, v10
	v_cndmask_b32_e64 v3, 0, 1, vcc_lo
	v_cmp_gt_i32_e32 vcc_lo, v1, v9
	v_add_co_ci_u32_e32 v2, vcc_lo, v2, v4, vcc_lo
	v_cmp_gt_i32_e32 vcc_lo, v1, v12
	v_cndmask_b32_e64 v4, 0, 1, vcc_lo
	v_cmp_gt_i32_e32 vcc_lo, v1, v11
	s_delay_alu instid0(VALU_DEP_4)
	v_add_co_ci_u32_e32 v2, vcc_lo, v2, v3, vcc_lo
	v_cmp_gt_i32_e32 vcc_lo, v1, v14
	v_add_nc_u32_e32 v14, s30, v1
	v_cndmask_b32_e64 v3, 0, 1, vcc_lo
	v_cmp_gt_i32_e32 vcc_lo, v1, v13
	v_add_co_ci_u32_e32 v2, vcc_lo, v2, v4, vcc_lo
	v_cmp_gt_i32_e32 vcc_lo, v1, v16
	v_cndmask_b32_e64 v4, 0, 1, vcc_lo
	v_cmp_gt_i32_e32 vcc_lo, v1, v15
	s_delay_alu instid0(VALU_DEP_4) | instskip(SKIP_3) | instid1(VALU_DEP_4)
	v_add_co_ci_u32_e32 v2, vcc_lo, v2, v3, vcc_lo
	v_cmp_gt_i32_e32 vcc_lo, v1, v18
	v_cndmask_b32_e64 v3, 0, 1, vcc_lo
	v_cmp_gt_i32_e32 vcc_lo, v1, v17
	v_add_co_ci_u32_e32 v2, vcc_lo, v2, v4, vcc_lo
	v_cmp_gt_i32_e32 vcc_lo, v1, v20
	v_cndmask_b32_e64 v4, 0, 1, vcc_lo
	v_cmp_gt_i32_e32 vcc_lo, v1, v19
	s_delay_alu instid0(VALU_DEP_4) | instskip(SKIP_3) | instid1(VALU_DEP_4)
	v_add_co_ci_u32_e32 v2, vcc_lo, v2, v3, vcc_lo
	v_cmp_gt_i32_e32 vcc_lo, v1, v22
	v_cndmask_b32_e64 v3, 0, 1, vcc_lo
	v_cmp_gt_i32_e32 vcc_lo, v1, v21
	v_add_co_ci_u32_e32 v2, vcc_lo, v2, v4, vcc_lo
	v_cmp_gt_i32_e32 vcc_lo, v1, v24
	v_cndmask_b32_e64 v4, 0, 1, vcc_lo
	v_cmp_gt_i32_e32 vcc_lo, v1, v23
	s_delay_alu instid0(VALU_DEP_4) | instskip(SKIP_3) | instid1(VALU_DEP_4)
	v_add_co_ci_u32_e32 v2, vcc_lo, v2, v3, vcc_lo
	v_cmp_gt_i32_e32 vcc_lo, v1, v26
	v_cndmask_b32_e64 v3, 0, 1, vcc_lo
	v_cmp_gt_i32_e32 vcc_lo, v1, v25
	v_add_co_ci_u32_e32 v2, vcc_lo, v2, v4, vcc_lo
	v_cmp_gt_i32_e32 vcc_lo, v1, v28
	v_cndmask_b32_e64 v4, 0, 1, vcc_lo
	v_cmp_gt_i32_e32 vcc_lo, v1, v27
	s_delay_alu instid0(VALU_DEP_4) | instskip(SKIP_3) | instid1(VALU_DEP_4)
	v_add_co_ci_u32_e32 v2, vcc_lo, v2, v3, vcc_lo
	v_cmp_gt_i32_e32 vcc_lo, v1, v30
	v_cndmask_b32_e64 v5, 0, 1, vcc_lo
	v_cmp_gt_i32_e32 vcc_lo, v1, v29
	v_add_co_ci_u32_e32 v4, vcc_lo, v2, v4, vcc_lo
	v_cmp_gt_i32_e32 vcc_lo, v1, v31
	ds_load_2addr_b32 v[2:3], v38 offset0:36 offset1:37
	v_add_co_ci_u32_e32 v6, vcc_lo, v4, v5, vcc_lo
	ds_load_2addr_b32 v[4:5], v38 offset0:38 offset1:39
	v_cmp_gt_i32_e32 vcc_lo, v1, v32
	v_cndmask_b32_e64 v7, 0, 1, vcc_lo
	v_cmp_gt_i32_e32 vcc_lo, v1, v34
	v_cndmask_b32_e64 v8, 0, 1, vcc_lo
	v_cmp_gt_i32_e32 vcc_lo, v1, v33
	s_delay_alu instid0(VALU_DEP_4) | instskip(SKIP_1) | instid1(VALU_DEP_2)
	v_add_co_ci_u32_e32 v6, vcc_lo, v6, v7, vcc_lo
	v_cmp_gt_i32_e32 vcc_lo, v1, v35
	v_add_co_ci_u32_e32 v8, vcc_lo, v6, v8, vcc_lo
	ds_load_2addr_b32 v[6:7], v38 offset0:40 offset1:41
	v_cmp_gt_i32_e32 vcc_lo, v1, v36
	v_cndmask_b32_e64 v9, 0, 1, vcc_lo
	v_cmp_gt_i32_e32 vcc_lo, v1, v37
	s_delay_alu instid0(VALU_DEP_2)
	v_add_co_ci_u32_e32 v10, vcc_lo, v8, v9, vcc_lo
	ds_load_2addr_b32 v[8:9], v38 offset0:42 offset1:43
	s_waitcnt lgkmcnt(3)
	v_cmp_gt_i32_e32 vcc_lo, v1, v2
	v_cndmask_b32_e64 v2, 0, 1, vcc_lo
	v_cmp_gt_i32_e32 vcc_lo, v1, v3
	s_delay_alu instid0(VALU_DEP_2)
	v_add_co_ci_u32_e32 v10, vcc_lo, v10, v2, vcc_lo
	s_waitcnt lgkmcnt(2)
	v_cmp_gt_i32_e32 vcc_lo, v1, v4
	ds_load_2addr_b32 v[2:3], v38 offset0:44 offset1:45
	v_cndmask_b32_e64 v4, 0, 1, vcc_lo
	v_cmp_gt_i32_e32 vcc_lo, v1, v5
	s_delay_alu instid0(VALU_DEP_2)
	v_add_co_ci_u32_e32 v10, vcc_lo, v10, v4, vcc_lo
	ds_load_2addr_b32 v[4:5], v38 offset0:46 offset1:47
	s_waitcnt lgkmcnt(3)
	v_cmp_gt_i32_e32 vcc_lo, v1, v6
	v_cndmask_b32_e64 v6, 0, 1, vcc_lo
	v_cmp_gt_i32_e32 vcc_lo, v1, v7
	s_delay_alu instid0(VALU_DEP_2)
	v_add_co_ci_u32_e32 v10, vcc_lo, v10, v6, vcc_lo
	ds_load_2addr_b32 v[6:7], v38 offset0:48 offset1:49
	s_waitcnt lgkmcnt(3)
	v_cmp_gt_i32_e32 vcc_lo, v1, v8
	;; [unrolled: 7-line block ×3, first 2 shown]
	v_cndmask_b32_e64 v2, 0, 1, vcc_lo
	v_cmp_gt_i32_e32 vcc_lo, v1, v3
	s_delay_alu instid0(VALU_DEP_2)
	v_add_co_ci_u32_e32 v10, vcc_lo, v10, v2, vcc_lo
	s_waitcnt lgkmcnt(2)
	v_cmp_gt_i32_e32 vcc_lo, v1, v4
	ds_load_2addr_b32 v[2:3], v38 offset0:52 offset1:53
	v_cndmask_b32_e64 v4, 0, 1, vcc_lo
	v_cmp_gt_i32_e32 vcc_lo, v1, v5
	s_delay_alu instid0(VALU_DEP_2)
	v_add_co_ci_u32_e32 v10, vcc_lo, v10, v4, vcc_lo
	ds_load_2addr_b32 v[4:5], v38 offset0:54 offset1:55
	s_waitcnt lgkmcnt(3)
	v_cmp_gt_i32_e32 vcc_lo, v1, v6
	v_cndmask_b32_e64 v6, 0, 1, vcc_lo
	v_cmp_gt_i32_e32 vcc_lo, v1, v7
	s_delay_alu instid0(VALU_DEP_2)
	v_add_co_ci_u32_e32 v10, vcc_lo, v10, v6, vcc_lo
	ds_load_2addr_b32 v[6:7], v38 offset0:56 offset1:57
	s_waitcnt lgkmcnt(3)
	v_cmp_gt_i32_e32 vcc_lo, v1, v8
	;; [unrolled: 7-line block ×3, first 2 shown]
	v_cndmask_b32_e64 v2, 0, 1, vcc_lo
	v_cmp_gt_i32_e32 vcc_lo, v1, v3
	s_delay_alu instid0(VALU_DEP_2)
	v_add_co_ci_u32_e32 v10, vcc_lo, v10, v2, vcc_lo
	s_waitcnt lgkmcnt(2)
	v_cmp_gt_i32_e32 vcc_lo, v1, v4
	ds_load_2addr_b32 v[2:3], v38 offset0:60 offset1:61
	v_cndmask_b32_e64 v4, 0, 1, vcc_lo
	v_cmp_gt_i32_e32 vcc_lo, v1, v5
	s_delay_alu instid0(VALU_DEP_2)
	v_add_co_ci_u32_e32 v10, vcc_lo, v10, v4, vcc_lo
	ds_load_2addr_b32 v[4:5], v38 offset0:62 offset1:63
	s_waitcnt lgkmcnt(3)
	v_cmp_gt_i32_e32 vcc_lo, v1, v6
	v_cndmask_b32_e64 v6, 0, 1, vcc_lo
	v_cmp_gt_i32_e32 vcc_lo, v1, v7
	s_delay_alu instid0(VALU_DEP_2) | instskip(SKIP_4) | instid1(VALU_DEP_2)
	v_add_co_ci_u32_e32 v6, vcc_lo, v10, v6, vcc_lo
	s_waitcnt lgkmcnt(2)
	v_cmp_gt_i32_e32 vcc_lo, v1, v8
	v_cndmask_b32_e64 v7, 0, 1, vcc_lo
	v_cmp_gt_i32_e32 vcc_lo, v1, v9
	v_add_co_ci_u32_e32 v6, vcc_lo, v6, v7, vcc_lo
	s_waitcnt lgkmcnt(1)
	v_cmp_gt_i32_e32 vcc_lo, v1, v2
	v_cndmask_b32_e64 v2, 0, 1, vcc_lo
	v_cmp_gt_i32_e32 vcc_lo, v1, v3
	s_delay_alu instid0(VALU_DEP_2)
	v_add_co_ci_u32_e32 v2, vcc_lo, v6, v2, vcc_lo
	s_waitcnt lgkmcnt(0)
	v_cmp_gt_i32_e32 vcc_lo, v1, v4
	v_lshlrev_b32_e32 v4, 2, v0
	v_lshlrev_b32_e32 v0, 5, v0
	v_cndmask_b32_e64 v3, 0, 1, vcc_lo
	v_cmp_gt_i32_e32 vcc_lo, v1, v5
	s_delay_alu instid0(VALU_DEP_2)
	v_add_co_ci_u32_e32 v10, vcc_lo, v2, v3, vcc_lo
	v_or_b32_e32 v2, s0, v4
	v_or_b32_e32 v3, s1, v4
	v_add_nc_u32_e32 v4, 0, v0
	v_add3_u32 v0, 0, 0x100, v0
	v_lshlrev_b32_e32 v12, 2, v10
	v_lshl_add_u32 v5, v2, 3, 0
	v_lshl_add_u32 v8, v3, 3, 0
	v_ashrrev_i32_e32 v11, 31, v10
	ds_load_2addr_b32 v[2:3], v4 offset0:64 offset1:65
	ds_load_2addr_b32 v[6:7], v5 offset0:64 offset1:65
	;; [unrolled: 1-line block ×4, first 2 shown]
	v_ashrrev_i32_e32 v13, 31, v12
	v_lshlrev_b64 v[10:11], 2, v[10:11]
	s_delay_alu instid0(VALU_DEP_2) | instskip(NEXT) | instid1(VALU_DEP_2)
	v_lshlrev_b64 v[0:1], 3, v[12:13]
	v_add_co_u32 v10, vcc_lo, s10, v10
	s_delay_alu instid0(VALU_DEP_3) | instskip(NEXT) | instid1(VALU_DEP_3)
	v_add_co_ci_u32_e32 v11, vcc_lo, s11, v11, vcc_lo
	v_add_co_u32 v0, vcc_lo, s34, v0
	s_delay_alu instid0(VALU_DEP_4)
	v_add_co_ci_u32_e32 v1, vcc_lo, s35, v1, vcc_lo
	global_store_b32 v[10:11], v14, off
	s_waitcnt lgkmcnt(1)
	global_store_b128 v[0:1], v[2:5], off
	s_waitcnt lgkmcnt(0)
	global_store_b128 v[0:1], v[6:9], off offset:16
.LBB48_129:
	s_nop 0
	s_sendmsg sendmsg(MSG_DEALLOC_VGPRS)
	s_endpgm
	.section	.rodata,"a",@progbits
	.p2align	6, 0x0
	.amdhsa_kernel _ZN9rocsparseL30bsrgemm_fill_block_per_row_2x2ILj256ELj16ELj64ELj137Eii21rocsparse_complex_numIfEEEv20rocsparse_direction_T4_S4_PKS4_S6_NS_24const_host_device_scalarIT5_EEPKT3_S6_PKS8_SC_S6_SE_S9_SC_S6_SE_SC_PS4_PS8_21rocsparse_index_base_SH_SH_SH_bbb
		.amdhsa_group_segment_fixed_size 0
		.amdhsa_private_segment_fixed_size 0
		.amdhsa_kernarg_size 164
		.amdhsa_user_sgpr_count 15
		.amdhsa_user_sgpr_dispatch_ptr 0
		.amdhsa_user_sgpr_queue_ptr 0
		.amdhsa_user_sgpr_kernarg_segment_ptr 1
		.amdhsa_user_sgpr_dispatch_id 0
		.amdhsa_user_sgpr_private_segment_size 0
		.amdhsa_wavefront_size32 1
		.amdhsa_uses_dynamic_stack 0
		.amdhsa_enable_private_segment 0
		.amdhsa_system_sgpr_workgroup_id_x 1
		.amdhsa_system_sgpr_workgroup_id_y 0
		.amdhsa_system_sgpr_workgroup_id_z 0
		.amdhsa_system_sgpr_workgroup_info 0
		.amdhsa_system_vgpr_workitem_id 0
		.amdhsa_next_free_vgpr 39
		.amdhsa_next_free_sgpr 50
		.amdhsa_reserve_vcc 1
		.amdhsa_float_round_mode_32 0
		.amdhsa_float_round_mode_16_64 0
		.amdhsa_float_denorm_mode_32 3
		.amdhsa_float_denorm_mode_16_64 3
		.amdhsa_dx10_clamp 1
		.amdhsa_ieee_mode 1
		.amdhsa_fp16_overflow 0
		.amdhsa_workgroup_processor_mode 1
		.amdhsa_memory_ordered 1
		.amdhsa_forward_progress 0
		.amdhsa_shared_vgpr_count 0
		.amdhsa_exception_fp_ieee_invalid_op 0
		.amdhsa_exception_fp_denorm_src 0
		.amdhsa_exception_fp_ieee_div_zero 0
		.amdhsa_exception_fp_ieee_overflow 0
		.amdhsa_exception_fp_ieee_underflow 0
		.amdhsa_exception_fp_ieee_inexact 0
		.amdhsa_exception_int_div_zero 0
	.end_amdhsa_kernel
	.section	.text._ZN9rocsparseL30bsrgemm_fill_block_per_row_2x2ILj256ELj16ELj64ELj137Eii21rocsparse_complex_numIfEEEv20rocsparse_direction_T4_S4_PKS4_S6_NS_24const_host_device_scalarIT5_EEPKT3_S6_PKS8_SC_S6_SE_S9_SC_S6_SE_SC_PS4_PS8_21rocsparse_index_base_SH_SH_SH_bbb,"axG",@progbits,_ZN9rocsparseL30bsrgemm_fill_block_per_row_2x2ILj256ELj16ELj64ELj137Eii21rocsparse_complex_numIfEEEv20rocsparse_direction_T4_S4_PKS4_S6_NS_24const_host_device_scalarIT5_EEPKT3_S6_PKS8_SC_S6_SE_S9_SC_S6_SE_SC_PS4_PS8_21rocsparse_index_base_SH_SH_SH_bbb,comdat
.Lfunc_end48:
	.size	_ZN9rocsparseL30bsrgemm_fill_block_per_row_2x2ILj256ELj16ELj64ELj137Eii21rocsparse_complex_numIfEEEv20rocsparse_direction_T4_S4_PKS4_S6_NS_24const_host_device_scalarIT5_EEPKT3_S6_PKS8_SC_S6_SE_S9_SC_S6_SE_SC_PS4_PS8_21rocsparse_index_base_SH_SH_SH_bbb, .Lfunc_end48-_ZN9rocsparseL30bsrgemm_fill_block_per_row_2x2ILj256ELj16ELj64ELj137Eii21rocsparse_complex_numIfEEEv20rocsparse_direction_T4_S4_PKS4_S6_NS_24const_host_device_scalarIT5_EEPKT3_S6_PKS8_SC_S6_SE_S9_SC_S6_SE_SC_PS4_PS8_21rocsparse_index_base_SH_SH_SH_bbb
                                        ; -- End function
	.section	.AMDGPU.csdata,"",@progbits
; Kernel info:
; codeLenInByte = 5232
; NumSgprs: 52
; NumVgprs: 39
; ScratchSize: 0
; MemoryBound: 0
; FloatMode: 240
; IeeeMode: 1
; LDSByteSize: 0 bytes/workgroup (compile time only)
; SGPRBlocks: 6
; VGPRBlocks: 4
; NumSGPRsForWavesPerEU: 52
; NumVGPRsForWavesPerEU: 39
; Occupancy: 16
; WaveLimiterHint : 1
; COMPUTE_PGM_RSRC2:SCRATCH_EN: 0
; COMPUTE_PGM_RSRC2:USER_SGPR: 15
; COMPUTE_PGM_RSRC2:TRAP_HANDLER: 0
; COMPUTE_PGM_RSRC2:TGID_X_EN: 1
; COMPUTE_PGM_RSRC2:TGID_Y_EN: 0
; COMPUTE_PGM_RSRC2:TGID_Z_EN: 0
; COMPUTE_PGM_RSRC2:TIDIG_COMP_CNT: 0
	.section	.text._ZN9rocsparseL30bsrgemm_fill_block_per_row_2x2ILj256ELj16ELj128ELj137Eii21rocsparse_complex_numIfEEEv20rocsparse_direction_T4_S4_PKS4_S6_NS_24const_host_device_scalarIT5_EEPKT3_S6_PKS8_SC_S6_SE_S9_SC_S6_SE_SC_PS4_PS8_21rocsparse_index_base_SH_SH_SH_bbb,"axG",@progbits,_ZN9rocsparseL30bsrgemm_fill_block_per_row_2x2ILj256ELj16ELj128ELj137Eii21rocsparse_complex_numIfEEEv20rocsparse_direction_T4_S4_PKS4_S6_NS_24const_host_device_scalarIT5_EEPKT3_S6_PKS8_SC_S6_SE_S9_SC_S6_SE_SC_PS4_PS8_21rocsparse_index_base_SH_SH_SH_bbb,comdat
	.globl	_ZN9rocsparseL30bsrgemm_fill_block_per_row_2x2ILj256ELj16ELj128ELj137Eii21rocsparse_complex_numIfEEEv20rocsparse_direction_T4_S4_PKS4_S6_NS_24const_host_device_scalarIT5_EEPKT3_S6_PKS8_SC_S6_SE_S9_SC_S6_SE_SC_PS4_PS8_21rocsparse_index_base_SH_SH_SH_bbb ; -- Begin function _ZN9rocsparseL30bsrgemm_fill_block_per_row_2x2ILj256ELj16ELj128ELj137Eii21rocsparse_complex_numIfEEEv20rocsparse_direction_T4_S4_PKS4_S6_NS_24const_host_device_scalarIT5_EEPKT3_S6_PKS8_SC_S6_SE_S9_SC_S6_SE_SC_PS4_PS8_21rocsparse_index_base_SH_SH_SH_bbb
	.p2align	8
	.type	_ZN9rocsparseL30bsrgemm_fill_block_per_row_2x2ILj256ELj16ELj128ELj137Eii21rocsparse_complex_numIfEEEv20rocsparse_direction_T4_S4_PKS4_S6_NS_24const_host_device_scalarIT5_EEPKT3_S6_PKS8_SC_S6_SE_S9_SC_S6_SE_SC_PS4_PS8_21rocsparse_index_base_SH_SH_SH_bbb,@function
_ZN9rocsparseL30bsrgemm_fill_block_per_row_2x2ILj256ELj16ELj128ELj137Eii21rocsparse_complex_numIfEEEv20rocsparse_direction_T4_S4_PKS4_S6_NS_24const_host_device_scalarIT5_EEPKT3_S6_PKS8_SC_S6_SE_S9_SC_S6_SE_SC_PS4_PS8_21rocsparse_index_base_SH_SH_SH_bbb: ; @_ZN9rocsparseL30bsrgemm_fill_block_per_row_2x2ILj256ELj16ELj128ELj137Eii21rocsparse_complex_numIfEEEv20rocsparse_direction_T4_S4_PKS4_S6_NS_24const_host_device_scalarIT5_EEPKT3_S6_PKS8_SC_S6_SE_S9_SC_S6_SE_SC_PS4_PS8_21rocsparse_index_base_SH_SH_SH_bbb
; %bb.0:
	s_mov_b32 s40, s15
	s_clause 0x6
	s_load_b32 s33, s[0:1], 0xa0
	s_load_b256 s[4:11], s[0:1], 0x68
	s_load_b256 s[12:19], s[0:1], 0x48
	s_load_b128 s[36:39], s[0:1], 0x10
	s_load_b256 s[20:27], s[0:1], 0x28
	s_load_b64 s[34:35], s[0:1], 0x88
	s_load_b128 s[28:31], s[0:1], 0x90
	s_mov_b32 s3, 0
	s_mov_b32 s43, 0
	s_waitcnt lgkmcnt(0)
	s_bitcmp1_b32 s33, 0
	s_cselect_b32 s41, -1, 0
	s_bitcmp1_b32 s33, 16
	s_cselect_b32 s2, -1, 0
	s_delay_alu instid0(SALU_CYCLE_1) | instskip(SKIP_2) | instid1(VALU_DEP_1)
	s_xor_b32 s42, s2, -1
	s_bitcmp0_b32 s33, 0
	v_cndmask_b32_e64 v1, 0, 1, s42
	v_cmp_ne_u32_e32 vcc_lo, 1, v1
	s_cbranch_scc1 .LBB49_5
; %bb.1:
	s_load_b64 s[2:3], s[0:1], 0x20
	s_and_b32 vcc_lo, exec_lo, vcc_lo
	s_waitcnt lgkmcnt(0)
	s_mov_b32 s43, s2
	s_cbranch_vccnz .LBB49_3
; %bb.2:
	s_load_b32 s43, s[2:3], 0x0
.LBB49_3:
	s_and_not1_b32 vcc_lo, exec_lo, s42
	s_cbranch_vccnz .LBB49_5
; %bb.4:
	s_load_b32 s3, s[2:3], 0x4
.LBB49_5:
	s_bitcmp1_b32 s33, 8
	s_mov_b32 s42, 0
	s_cselect_b32 s44, -1, 0
	s_bfe_u32 s2, s33, 0x10008
	s_mov_b32 s33, 0
	s_cmp_eq_u32 s2, 0
	s_cbranch_scc1 .LBB49_11
; %bb.6:
	v_cmp_ne_u32_e32 vcc_lo, 1, v1
	s_mov_b32 s33, s16
	s_cbranch_vccnz .LBB49_8
; %bb.7:
	s_load_b32 s33, s[16:17], 0x0
.LBB49_8:
	v_cmp_ne_u32_e32 vcc_lo, 1, v1
	s_cbranch_vccnz .LBB49_10
; %bb.9:
	s_load_b32 s17, s[16:17], 0x4
.LBB49_10:
	s_waitcnt lgkmcnt(0)
	s_mov_b32 s42, s17
.LBB49_11:
	s_load_b32 s16, s[0:1], 0x8
	v_cmp_gt_u32_e64 s2, 0x80, v0
	v_lshl_add_u32 v12, v0, 2, 0
	s_delay_alu instid0(VALU_DEP_2)
	s_and_saveexec_b32 s17, s2
	s_cbranch_execz .LBB49_13
; %bb.12:
	s_waitcnt lgkmcnt(0)
	v_mov_b32_e32 v1, s16
	ds_store_b32 v12, v1
.LBB49_13:
	s_or_b32 exec_lo, exec_lo, s17
	s_delay_alu instid0(SALU_CYCLE_1)
	s_mov_b32 s17, exec_lo
	v_cmpx_gt_u32_e32 0x200, v0
	s_cbranch_execz .LBB49_16
; %bb.14:
	v_dual_mov_b32 v3, 0 :: v_dual_lshlrev_b32 v2, 3, v0
	v_or_b32_e32 v1, 0xffffff00, v0
	s_mov_b32 s45, 0
	s_delay_alu instid0(VALU_DEP_2)
	v_add3_u32 v2, v2, 0, 0x200
.LBB49_15:                              ; =>This Inner Loop Header: Depth=1
	s_delay_alu instid0(VALU_DEP_2) | instskip(NEXT) | instid1(VALU_DEP_1)
	v_add_co_u32 v1, s46, 0x100, v1
	s_xor_b32 s46, s46, -1
	ds_store_2addr_b32 v2, v3, v3 offset1:1
	v_add_nc_u32_e32 v2, 0x800, v2
	s_and_b32 s46, exec_lo, s46
	s_delay_alu instid0(SALU_CYCLE_1) | instskip(NEXT) | instid1(SALU_CYCLE_1)
	s_or_b32 s45, s46, s45
	s_and_not1_b32 exec_lo, exec_lo, s45
	s_cbranch_execnz .LBB49_15
.LBB49_16:
	s_or_b32 exec_lo, exec_lo, s17
	s_cmp_lg_u64 s[38:39], 0
	s_waitcnt lgkmcnt(0)
	s_barrier
	buffer_gl0_inv
	s_cbranch_scc0 .LBB49_18
; %bb.17:
	s_load_b32 s17, s[36:37], 0x0
	s_mov_b32 s37, 0
	s_waitcnt lgkmcnt(0)
	s_add_i32 s36, s17, s40
	s_delay_alu instid0(SALU_CYCLE_1) | instskip(NEXT) | instid1(SALU_CYCLE_1)
	s_lshl_b64 s[36:37], s[36:37], 2
	s_add_u32 s36, s38, s36
	s_addc_u32 s37, s39, s37
	s_load_b32 s40, s[36:37], 0x0
.LBB49_18:
	s_load_b32 s0, s[0:1], 0x0
	s_and_not1_b32 vcc_lo, exec_lo, s41
	s_waitcnt lgkmcnt(0)
	s_ashr_i32 s41, s40, 31
	s_cbranch_vccnz .LBB49_74
; %bb.19:
	s_lshl_b64 s[36:37], s[40:41], 2
	v_lshrrev_b32_e32 v1, 4, v0
	s_add_u32 s20, s20, s36
	s_addc_u32 s21, s21, s37
	s_mov_b32 s17, exec_lo
	s_load_b64 s[20:21], s[20:21], 0x0
	v_subrev_nc_u32_e32 v1, s28, v1
	s_waitcnt lgkmcnt(0)
	s_delay_alu instid0(VALU_DEP_1)
	v_add_nc_u32_e32 v1, s20, v1
	s_sub_i32 s1, s21, s28
	s_delay_alu instid0(VALU_DEP_1) | instid1(SALU_CYCLE_1)
	v_cmpx_gt_i32_e64 s1, v1
	s_cbranch_execz .LBB49_73
; %bb.20:
	v_and_b32_e32 v2, 15, v0
	s_cmp_eq_u32 s0, 0
	s_mov_b32 s20, 0
	s_cselect_b32 s21, 2, 1
	s_cselect_b32 s36, 1, 2
	v_subrev_nc_u32_e32 v13, s29, v2
	s_branch .LBB49_22
.LBB49_21:                              ;   in Loop: Header=BB49_22 Depth=1
	s_or_b32 exec_lo, exec_lo, s37
	v_add_nc_u32_e32 v1, 16, v1
	s_delay_alu instid0(VALU_DEP_1) | instskip(SKIP_1) | instid1(SALU_CYCLE_1)
	v_cmp_le_i32_e32 vcc_lo, s1, v1
	s_or_b32 s20, vcc_lo, s20
	s_and_not1_b32 exec_lo, exec_lo, s20
	s_cbranch_execz .LBB49_73
.LBB49_22:                              ; =>This Loop Header: Depth=1
                                        ;     Child Loop BB49_25 Depth 2
                                        ;       Child Loop BB49_27 Depth 3
                                        ;       Child Loop BB49_39 Depth 3
	;; [unrolled: 1-line block ×4, first 2 shown]
	v_ashrrev_i32_e32 v2, 31, v1
	s_mov_b32 s37, exec_lo
	s_delay_alu instid0(VALU_DEP_1) | instskip(NEXT) | instid1(VALU_DEP_1)
	v_lshlrev_b64 v[2:3], 2, v[1:2]
	v_add_co_u32 v2, vcc_lo, s22, v2
	s_delay_alu instid0(VALU_DEP_2) | instskip(SKIP_3) | instid1(VALU_DEP_1)
	v_add_co_ci_u32_e32 v3, vcc_lo, s23, v3, vcc_lo
	global_load_b32 v2, v[2:3], off
	s_waitcnt vmcnt(0)
	v_subrev_nc_u32_e32 v2, s28, v2
	v_ashrrev_i32_e32 v3, 31, v2
	s_delay_alu instid0(VALU_DEP_1) | instskip(NEXT) | instid1(VALU_DEP_1)
	v_lshlrev_b64 v[2:3], 2, v[2:3]
	v_add_co_u32 v2, vcc_lo, s26, v2
	s_delay_alu instid0(VALU_DEP_2) | instskip(SKIP_4) | instid1(VALU_DEP_1)
	v_add_co_ci_u32_e32 v3, vcc_lo, s27, v3, vcc_lo
	global_load_b64 v[2:3], v[2:3], off
	s_waitcnt vmcnt(0)
	v_subrev_nc_u32_e32 v14, s29, v3
	v_add_nc_u32_e32 v2, v2, v13
	v_cmpx_lt_i32_e64 v2, v14
	s_cbranch_execz .LBB49_21
; %bb.23:                               ;   in Loop: Header=BB49_22 Depth=1
	v_lshlrev_b32_e32 v3, 2, v1
	s_mov_b32 s38, 0
	s_delay_alu instid0(VALU_DEP_1) | instskip(SKIP_2) | instid1(VALU_DEP_3)
	v_or_b32_e32 v5, s21, v3
	v_ashrrev_i32_e32 v4, 31, v3
	v_or_b32_e32 v7, s36, v3
	v_ashrrev_i32_e32 v6, 31, v5
	s_delay_alu instid0(VALU_DEP_3) | instskip(NEXT) | instid1(VALU_DEP_3)
	v_lshlrev_b64 v[3:4], 3, v[3:4]
	v_ashrrev_i32_e32 v8, 31, v7
	s_delay_alu instid0(VALU_DEP_3) | instskip(NEXT) | instid1(VALU_DEP_3)
	v_lshlrev_b64 v[5:6], 3, v[5:6]
	v_add_co_u32 v3, vcc_lo, s24, v3
	s_delay_alu instid0(VALU_DEP_3) | instskip(SKIP_1) | instid1(VALU_DEP_4)
	v_lshlrev_b64 v[7:8], 3, v[7:8]
	v_add_co_ci_u32_e32 v4, vcc_lo, s25, v4, vcc_lo
	v_add_co_u32 v5, vcc_lo, s24, v5
	v_add_co_ci_u32_e32 v6, vcc_lo, s25, v6, vcc_lo
	s_delay_alu instid0(VALU_DEP_4)
	v_add_co_u32 v7, vcc_lo, s24, v7
	global_load_b64 v[9:10], v[3:4], off
	v_add_co_ci_u32_e32 v8, vcc_lo, s25, v8, vcc_lo
	s_clause 0x2
	global_load_b64 v[5:6], v[5:6], off
	global_load_b64 v[7:8], v[7:8], off
	global_load_b64 v[3:4], v[3:4], off offset:24
	s_waitcnt vmcnt(3)
	v_mul_f32_e32 v16, s43, v10
	v_mul_f32_e64 v15, v10, -s3
	s_waitcnt vmcnt(2)
	v_mul_f32_e64 v17, v6, -s3
	v_mul_f32_e32 v18, s43, v6
	s_waitcnt vmcnt(0)
	v_dual_fmac_f32 v16, s3, v9 :: v_dual_mul_f32 v19, s43, v4
	v_fmac_f32_e32 v15, s43, v9
	v_mul_f32_e64 v20, v4, -s3
	v_dual_mul_f32 v21, s43, v8 :: v_dual_fmac_f32 v18, s3, v5
	v_mul_f32_e64 v22, v8, -s3
	s_delay_alu instid0(VALU_DEP_3) | instskip(SKIP_1) | instid1(VALU_DEP_4)
	v_dual_fmac_f32 v17, s43, v5 :: v_dual_fmac_f32 v20, s43, v3
	v_fmac_f32_e32 v19, s3, v3
	v_fmac_f32_e32 v21, s3, v7
	s_delay_alu instid0(VALU_DEP_4)
	v_fmac_f32_e32 v22, s43, v7
	s_branch .LBB49_25
.LBB49_24:                              ;   in Loop: Header=BB49_25 Depth=2
	s_or_b32 exec_lo, exec_lo, s39
	v_add_nc_u32_e32 v2, 16, v2
	s_delay_alu instid0(VALU_DEP_1) | instskip(SKIP_1) | instid1(SALU_CYCLE_1)
	v_cmp_ge_i32_e32 vcc_lo, v2, v14
	s_or_b32 s38, vcc_lo, s38
	s_and_not1_b32 exec_lo, exec_lo, s38
	s_cbranch_execz .LBB49_21
.LBB49_25:                              ;   Parent Loop BB49_22 Depth=1
                                        ; =>  This Loop Header: Depth=2
                                        ;       Child Loop BB49_27 Depth 3
                                        ;       Child Loop BB49_39 Depth 3
	;; [unrolled: 1-line block ×4, first 2 shown]
	v_lshlrev_b32_e32 v4, 2, v2
	v_ashrrev_i32_e32 v3, 31, v2
	s_mov_b32 s39, 0
	s_delay_alu instid0(VALU_DEP_2) | instskip(NEXT) | instid1(VALU_DEP_2)
	v_or_b32_e32 v5, s21, v4
	v_lshlrev_b64 v[8:9], 2, v[2:3]
	s_delay_alu instid0(VALU_DEP_2) | instskip(NEXT) | instid1(VALU_DEP_1)
	v_ashrrev_i32_e32 v6, 31, v5
	v_lshlrev_b64 v[6:7], 3, v[5:6]
	s_delay_alu instid0(VALU_DEP_1) | instskip(NEXT) | instid1(VALU_DEP_2)
	v_add_co_u32 v6, vcc_lo, s14, v6
	v_add_co_ci_u32_e32 v7, vcc_lo, s15, v7, vcc_lo
	v_add_co_u32 v25, vcc_lo, s12, v8
	v_add_co_ci_u32_e32 v26, vcc_lo, s13, v9, vcc_lo
	global_load_b64 v[9:10], v[6:7], off
	global_load_b32 v11, v[25:26], off
	s_waitcnt vmcnt(1)
	v_mul_f32_e64 v26, v10, -v21
	s_delay_alu instid0(VALU_DEP_1) | instskip(SKIP_1) | instid1(VALU_DEP_1)
	v_fmac_f32_e32 v26, v22, v9
	v_mul_f32_e32 v25, v22, v10
	v_fmac_f32_e32 v25, v21, v9
	v_ashrrev_i32_e32 v5, 31, v4
	v_or_b32_e32 v23, s36, v4
	s_delay_alu instid0(VALU_DEP_2) | instskip(NEXT) | instid1(VALU_DEP_2)
	v_lshlrev_b64 v[3:4], 3, v[4:5]
	v_ashrrev_i32_e32 v24, 31, v23
	s_delay_alu instid0(VALU_DEP_2) | instskip(NEXT) | instid1(VALU_DEP_3)
	v_add_co_u32 v5, vcc_lo, s14, v3
	v_add_co_ci_u32_e32 v6, vcc_lo, s15, v4, vcc_lo
	s_delay_alu instid0(VALU_DEP_3)
	v_lshlrev_b64 v[3:4], 3, v[23:24]
	s_waitcnt vmcnt(0)
	v_subrev_nc_u32_e32 v23, s29, v11
	global_load_b64 v[7:8], v[5:6], off
	v_add_co_u32 v3, vcc_lo, s14, v3
	v_add_co_ci_u32_e32 v4, vcc_lo, s15, v4, vcc_lo
	s_clause 0x1
	global_load_b64 v[3:4], v[3:4], off
	global_load_b64 v[5:6], v[5:6], off offset:24
	v_lshl_add_u32 v11, v23, 3, v23
	s_waitcnt vmcnt(2)
	v_fmac_f32_e32 v25, v16, v7
	v_fmac_f32_e32 v26, v15, v7
	s_delay_alu instid0(VALU_DEP_2) | instskip(NEXT) | instid1(VALU_DEP_2)
	v_dual_fmac_f32 v25, v15, v8 :: v_dual_and_b32 v24, 0x7f, v11
	v_fma_f32 v26, -v16, v8, v26
	s_delay_alu instid0(VALU_DEP_2)
	v_mov_b32_e32 v27, v24
	s_branch .LBB49_27
.LBB49_26:                              ;   in Loop: Header=BB49_27 Depth=3
	s_or_b32 exec_lo, exec_lo, s45
	s_xor_b32 s45, s46, -1
	s_delay_alu instid0(SALU_CYCLE_1) | instskip(NEXT) | instid1(SALU_CYCLE_1)
	s_and_b32 s45, exec_lo, s45
	s_or_b32 s39, s45, s39
	s_delay_alu instid0(SALU_CYCLE_1)
	s_and_not1_b32 exec_lo, exec_lo, s39
	s_cbranch_execz .LBB49_37
.LBB49_27:                              ;   Parent Loop BB49_22 Depth=1
                                        ;     Parent Loop BB49_25 Depth=2
                                        ; =>    This Inner Loop Header: Depth=3
	s_delay_alu instid0(VALU_DEP_1)
	v_lshl_add_u32 v11, v27, 2, 0
	s_mov_b32 s45, exec_lo
                                        ; implicit-def: $sgpr46
	ds_load_b32 v28, v11
	s_waitcnt lgkmcnt(0)
	v_cmpx_ne_u32_e64 v28, v23
	s_xor_b32 s45, exec_lo, s45
	s_cbranch_execz .LBB49_35
; %bb.28:                               ;   in Loop: Header=BB49_27 Depth=3
	s_mov_b32 s47, exec_lo
                                        ; implicit-def: $sgpr46
	v_cmpx_ne_u32_e64 s16, v28
	s_xor_b32 s47, exec_lo, s47
; %bb.29:                               ;   in Loop: Header=BB49_27 Depth=3
	v_add_nc_u32_e32 v11, 1, v27
	s_mov_b32 s46, -1
	s_delay_alu instid0(VALU_DEP_1)
	v_and_b32_e32 v27, 0x7f, v11
                                        ; implicit-def: $vgpr11
; %bb.30:                               ;   in Loop: Header=BB49_27 Depth=3
	s_and_not1_saveexec_b32 s47, s47
	s_cbranch_execz .LBB49_34
; %bb.31:                               ;   in Loop: Header=BB49_27 Depth=3
	v_mov_b32_e32 v28, s16
	s_mov_b32 s49, -1
	s_mov_b32 s48, exec_lo
	ds_cmpstore_rtn_b32 v28, v11, v23, v28
	s_waitcnt lgkmcnt(0)
	v_cmpx_eq_u32_e64 s16, v28
	s_cbranch_execz .LBB49_33
; %bb.32:                               ;   in Loop: Header=BB49_27 Depth=3
	v_mad_u64_u32 v[28:29], null, v27, 28, v[11:12]
	s_xor_b32 s49, exec_lo, -1
	ds_add_f32 v28, v26 offset:512
	ds_add_f32 v28, v25 offset:516
.LBB49_33:                              ;   in Loop: Header=BB49_27 Depth=3
	s_or_b32 exec_lo, exec_lo, s48
	s_delay_alu instid0(SALU_CYCLE_1) | instskip(SKIP_1) | instid1(SALU_CYCLE_1)
	s_and_not1_b32 s46, s46, exec_lo
	s_and_b32 s48, s49, exec_lo
	s_or_b32 s46, s46, s48
.LBB49_34:                              ;   in Loop: Header=BB49_27 Depth=3
	s_or_b32 exec_lo, exec_lo, s47
	s_delay_alu instid0(SALU_CYCLE_1)
	s_and_b32 s46, s46, exec_lo
                                        ; implicit-def: $vgpr11
.LBB49_35:                              ;   in Loop: Header=BB49_27 Depth=3
	s_and_not1_saveexec_b32 s45, s45
	s_cbranch_execz .LBB49_26
; %bb.36:                               ;   in Loop: Header=BB49_27 Depth=3
	v_mad_u64_u32 v[28:29], null, v27, 28, v[11:12]
	s_and_not1_b32 s46, s46, exec_lo
	ds_add_f32 v28, v26 offset:512
	ds_add_f32 v28, v25 offset:516
	s_branch .LBB49_26
.LBB49_37:                              ;   in Loop: Header=BB49_25 Depth=2
	s_or_b32 exec_lo, exec_lo, s39
	s_waitcnt vmcnt(0)
	v_mul_f32_e64 v11, v6, -v21
	v_mul_f32_e32 v25, v22, v6
	v_mov_b32_e32 v27, v24
	s_mov_b32 s39, 0
	s_delay_alu instid0(VALU_DEP_3) | instskip(NEXT) | instid1(VALU_DEP_3)
	v_fmac_f32_e32 v11, v22, v5
	v_fmac_f32_e32 v25, v21, v5
	s_delay_alu instid0(VALU_DEP_2) | instskip(NEXT) | instid1(VALU_DEP_2)
	v_fmac_f32_e32 v11, v15, v3
	v_fmac_f32_e32 v25, v16, v3
	s_delay_alu instid0(VALU_DEP_2) | instskip(NEXT) | instid1(VALU_DEP_2)
	v_fma_f32 v26, -v16, v4, v11
	v_fmac_f32_e32 v25, v15, v4
	s_branch .LBB49_39
.LBB49_38:                              ;   in Loop: Header=BB49_39 Depth=3
	s_or_b32 exec_lo, exec_lo, s45
	s_xor_b32 s45, s46, -1
	s_delay_alu instid0(SALU_CYCLE_1) | instskip(NEXT) | instid1(SALU_CYCLE_1)
	s_and_b32 s45, exec_lo, s45
	s_or_b32 s39, s45, s39
	s_delay_alu instid0(SALU_CYCLE_1)
	s_and_not1_b32 exec_lo, exec_lo, s39
	s_cbranch_execz .LBB49_49
.LBB49_39:                              ;   Parent Loop BB49_22 Depth=1
                                        ;     Parent Loop BB49_25 Depth=2
                                        ; =>    This Inner Loop Header: Depth=3
	v_lshl_add_u32 v11, v27, 2, 0
	s_mov_b32 s45, exec_lo
                                        ; implicit-def: $sgpr46
	ds_load_b32 v28, v11
	s_waitcnt lgkmcnt(0)
	v_cmpx_ne_u32_e64 v28, v23
	s_xor_b32 s45, exec_lo, s45
	s_cbranch_execz .LBB49_47
; %bb.40:                               ;   in Loop: Header=BB49_39 Depth=3
	s_mov_b32 s47, exec_lo
                                        ; implicit-def: $sgpr46
	v_cmpx_ne_u32_e64 s16, v28
	s_xor_b32 s47, exec_lo, s47
; %bb.41:                               ;   in Loop: Header=BB49_39 Depth=3
	v_add_nc_u32_e32 v11, 1, v27
	s_mov_b32 s46, -1
	s_delay_alu instid0(VALU_DEP_1)
	v_and_b32_e32 v27, 0x7f, v11
                                        ; implicit-def: $vgpr11
; %bb.42:                               ;   in Loop: Header=BB49_39 Depth=3
	s_and_not1_saveexec_b32 s47, s47
	s_cbranch_execz .LBB49_46
; %bb.43:                               ;   in Loop: Header=BB49_39 Depth=3
	v_mov_b32_e32 v28, s16
	s_mov_b32 s49, -1
	s_mov_b32 s48, exec_lo
	ds_cmpstore_rtn_b32 v28, v11, v23, v28
	s_waitcnt lgkmcnt(0)
	v_cmpx_eq_u32_e64 s16, v28
	s_cbranch_execz .LBB49_45
; %bb.44:                               ;   in Loop: Header=BB49_39 Depth=3
	v_mad_u64_u32 v[28:29], null, v27, 28, v[11:12]
	s_xor_b32 s49, exec_lo, -1
	ds_add_f32 v28, v26 offset:520
	ds_add_f32 v28, v25 offset:524
.LBB49_45:                              ;   in Loop: Header=BB49_39 Depth=3
	s_or_b32 exec_lo, exec_lo, s48
	s_delay_alu instid0(SALU_CYCLE_1) | instskip(SKIP_1) | instid1(SALU_CYCLE_1)
	s_and_not1_b32 s46, s46, exec_lo
	s_and_b32 s48, s49, exec_lo
	s_or_b32 s46, s46, s48
.LBB49_46:                              ;   in Loop: Header=BB49_39 Depth=3
	s_or_b32 exec_lo, exec_lo, s47
	s_delay_alu instid0(SALU_CYCLE_1)
	s_and_b32 s46, s46, exec_lo
                                        ; implicit-def: $vgpr11
.LBB49_47:                              ;   in Loop: Header=BB49_39 Depth=3
	s_and_not1_saveexec_b32 s45, s45
	s_cbranch_execz .LBB49_38
; %bb.48:                               ;   in Loop: Header=BB49_39 Depth=3
	v_mad_u64_u32 v[28:29], null, v27, 28, v[11:12]
	s_and_not1_b32 s46, s46, exec_lo
	ds_add_f32 v28, v26 offset:520
	ds_add_f32 v28, v25 offset:524
	s_branch .LBB49_38
.LBB49_49:                              ;   in Loop: Header=BB49_25 Depth=2
	s_or_b32 exec_lo, exec_lo, s39
	v_mul_f32_e64 v11, v10, -v19
	s_mov_b32 s39, 0
	s_delay_alu instid0(VALU_DEP_1) | instskip(NEXT) | instid1(VALU_DEP_1)
	v_fmac_f32_e32 v11, v20, v9
	v_dual_mul_f32 v10, v20, v10 :: v_dual_fmac_f32 v11, v17, v7
	s_delay_alu instid0(VALU_DEP_1) | instskip(NEXT) | instid1(VALU_DEP_2)
	v_fmac_f32_e32 v10, v19, v9
	v_fma_f32 v9, -v18, v8, v11
	s_delay_alu instid0(VALU_DEP_2) | instskip(NEXT) | instid1(VALU_DEP_1)
	v_fmac_f32_e32 v10, v18, v7
	v_fmac_f32_e32 v10, v17, v8
	v_mov_b32_e32 v8, v24
	s_branch .LBB49_51
.LBB49_50:                              ;   in Loop: Header=BB49_51 Depth=3
	s_or_b32 exec_lo, exec_lo, s45
	s_xor_b32 s45, s46, -1
	s_delay_alu instid0(SALU_CYCLE_1) | instskip(NEXT) | instid1(SALU_CYCLE_1)
	s_and_b32 s45, exec_lo, s45
	s_or_b32 s39, s45, s39
	s_delay_alu instid0(SALU_CYCLE_1)
	s_and_not1_b32 exec_lo, exec_lo, s39
	s_cbranch_execz .LBB49_61
.LBB49_51:                              ;   Parent Loop BB49_22 Depth=1
                                        ;     Parent Loop BB49_25 Depth=2
                                        ; =>    This Inner Loop Header: Depth=3
	s_delay_alu instid0(VALU_DEP_1)
	v_lshl_add_u32 v7, v8, 2, 0
	s_mov_b32 s45, exec_lo
                                        ; implicit-def: $sgpr46
	ds_load_b32 v11, v7
	s_waitcnt lgkmcnt(0)
	v_cmpx_ne_u32_e64 v11, v23
	s_xor_b32 s45, exec_lo, s45
	s_cbranch_execz .LBB49_59
; %bb.52:                               ;   in Loop: Header=BB49_51 Depth=3
	s_mov_b32 s47, exec_lo
                                        ; implicit-def: $sgpr46
	v_cmpx_ne_u32_e64 s16, v11
	s_xor_b32 s47, exec_lo, s47
; %bb.53:                               ;   in Loop: Header=BB49_51 Depth=3
	v_add_nc_u32_e32 v7, 1, v8
	s_mov_b32 s46, -1
	s_delay_alu instid0(VALU_DEP_1)
	v_and_b32_e32 v8, 0x7f, v7
                                        ; implicit-def: $vgpr7
; %bb.54:                               ;   in Loop: Header=BB49_51 Depth=3
	s_and_not1_saveexec_b32 s47, s47
	s_cbranch_execz .LBB49_58
; %bb.55:                               ;   in Loop: Header=BB49_51 Depth=3
	v_mov_b32_e32 v11, s16
	s_mov_b32 s49, -1
	s_mov_b32 s48, exec_lo
	ds_cmpstore_rtn_b32 v11, v7, v23, v11
	s_waitcnt lgkmcnt(0)
	v_cmpx_eq_u32_e64 s16, v11
	s_cbranch_execz .LBB49_57
; %bb.56:                               ;   in Loop: Header=BB49_51 Depth=3
	v_mad_u64_u32 v[25:26], null, v8, 28, v[7:8]
	s_xor_b32 s49, exec_lo, -1
	ds_add_f32 v25, v9 offset:528
	ds_add_f32 v25, v10 offset:532
.LBB49_57:                              ;   in Loop: Header=BB49_51 Depth=3
	s_or_b32 exec_lo, exec_lo, s48
	s_delay_alu instid0(SALU_CYCLE_1) | instskip(SKIP_1) | instid1(SALU_CYCLE_1)
	s_and_not1_b32 s46, s46, exec_lo
	s_and_b32 s48, s49, exec_lo
	s_or_b32 s46, s46, s48
.LBB49_58:                              ;   in Loop: Header=BB49_51 Depth=3
	s_or_b32 exec_lo, exec_lo, s47
	s_delay_alu instid0(SALU_CYCLE_1)
	s_and_b32 s46, s46, exec_lo
                                        ; implicit-def: $vgpr7
.LBB49_59:                              ;   in Loop: Header=BB49_51 Depth=3
	s_and_not1_saveexec_b32 s45, s45
	s_cbranch_execz .LBB49_50
; %bb.60:                               ;   in Loop: Header=BB49_51 Depth=3
	v_mad_u64_u32 v[25:26], null, v8, 28, v[7:8]
	s_and_not1_b32 s46, s46, exec_lo
	ds_add_f32 v25, v9 offset:528
	ds_add_f32 v25, v10 offset:532
	s_branch .LBB49_50
.LBB49_61:                              ;   in Loop: Header=BB49_25 Depth=2
	s_or_b32 exec_lo, exec_lo, s39
	v_mul_f32_e64 v7, v6, -v19
	s_mov_b32 s39, 0
	s_delay_alu instid0(VALU_DEP_1) | instskip(NEXT) | instid1(VALU_DEP_1)
	v_fmac_f32_e32 v7, v20, v5
	v_dual_mul_f32 v6, v20, v6 :: v_dual_fmac_f32 v7, v17, v3
	s_delay_alu instid0(VALU_DEP_1) | instskip(NEXT) | instid1(VALU_DEP_2)
	v_fmac_f32_e32 v6, v19, v5
	v_fma_f32 v5, -v18, v4, v7
	s_delay_alu instid0(VALU_DEP_2) | instskip(NEXT) | instid1(VALU_DEP_1)
	v_fmac_f32_e32 v6, v18, v3
	v_fmac_f32_e32 v6, v17, v4
	s_branch .LBB49_63
.LBB49_62:                              ;   in Loop: Header=BB49_63 Depth=3
	s_or_b32 exec_lo, exec_lo, s45
	s_xor_b32 s45, s46, -1
	s_delay_alu instid0(SALU_CYCLE_1) | instskip(NEXT) | instid1(SALU_CYCLE_1)
	s_and_b32 s45, exec_lo, s45
	s_or_b32 s39, s45, s39
	s_delay_alu instid0(SALU_CYCLE_1)
	s_and_not1_b32 exec_lo, exec_lo, s39
	s_cbranch_execz .LBB49_24
.LBB49_63:                              ;   Parent Loop BB49_22 Depth=1
                                        ;     Parent Loop BB49_25 Depth=2
                                        ; =>    This Inner Loop Header: Depth=3
	v_lshl_add_u32 v3, v24, 2, 0
	s_mov_b32 s45, exec_lo
                                        ; implicit-def: $sgpr46
	ds_load_b32 v4, v3
	s_waitcnt lgkmcnt(0)
	v_cmpx_ne_u32_e64 v4, v23
	s_xor_b32 s45, exec_lo, s45
	s_cbranch_execz .LBB49_71
; %bb.64:                               ;   in Loop: Header=BB49_63 Depth=3
	s_mov_b32 s47, exec_lo
                                        ; implicit-def: $sgpr46
	v_cmpx_ne_u32_e64 s16, v4
	s_xor_b32 s47, exec_lo, s47
; %bb.65:                               ;   in Loop: Header=BB49_63 Depth=3
	v_add_nc_u32_e32 v3, 1, v24
	s_mov_b32 s46, -1
	s_delay_alu instid0(VALU_DEP_1)
	v_and_b32_e32 v24, 0x7f, v3
                                        ; implicit-def: $vgpr3
; %bb.66:                               ;   in Loop: Header=BB49_63 Depth=3
	s_and_not1_saveexec_b32 s47, s47
	s_cbranch_execz .LBB49_70
; %bb.67:                               ;   in Loop: Header=BB49_63 Depth=3
	v_mov_b32_e32 v4, s16
	s_mov_b32 s49, -1
	s_mov_b32 s48, exec_lo
	ds_cmpstore_rtn_b32 v4, v3, v23, v4
	s_waitcnt lgkmcnt(0)
	v_cmpx_eq_u32_e64 s16, v4
	s_cbranch_execz .LBB49_69
; %bb.68:                               ;   in Loop: Header=BB49_63 Depth=3
	v_mad_u64_u32 v[7:8], null, v24, 28, v[3:4]
	s_xor_b32 s49, exec_lo, -1
	ds_add_f32 v7, v5 offset:536
	ds_add_f32 v7, v6 offset:540
.LBB49_69:                              ;   in Loop: Header=BB49_63 Depth=3
	s_or_b32 exec_lo, exec_lo, s48
	s_delay_alu instid0(SALU_CYCLE_1) | instskip(SKIP_1) | instid1(SALU_CYCLE_1)
	s_and_not1_b32 s46, s46, exec_lo
	s_and_b32 s48, s49, exec_lo
	s_or_b32 s46, s46, s48
.LBB49_70:                              ;   in Loop: Header=BB49_63 Depth=3
	s_or_b32 exec_lo, exec_lo, s47
	s_delay_alu instid0(SALU_CYCLE_1)
	s_and_b32 s46, s46, exec_lo
                                        ; implicit-def: $vgpr3
.LBB49_71:                              ;   in Loop: Header=BB49_63 Depth=3
	s_and_not1_saveexec_b32 s45, s45
	s_cbranch_execz .LBB49_62
; %bb.72:                               ;   in Loop: Header=BB49_63 Depth=3
	v_mad_u64_u32 v[7:8], null, v24, 28, v[3:4]
	s_and_not1_b32 s46, s46, exec_lo
	ds_add_f32 v7, v5 offset:536
	ds_add_f32 v7, v6 offset:540
	s_branch .LBB49_62
.LBB49_73:
	s_or_b32 exec_lo, exec_lo, s17
.LBB49_74:
	s_delay_alu instid0(SALU_CYCLE_1)
	s_and_not1_b32 vcc_lo, exec_lo, s44
	s_waitcnt lgkmcnt(0)
	s_barrier
	buffer_gl0_inv
	s_cbranch_vccnz .LBB49_127
; %bb.75:
	s_lshl_b64 s[12:13], s[40:41], 2
	v_subrev_nc_u32_e32 v1, s31, v0
	s_add_u32 s12, s18, s12
	s_addc_u32 s13, s19, s13
	s_mov_b32 s3, exec_lo
	s_load_b64 s[12:13], s[12:13], 0x0
	s_waitcnt lgkmcnt(0)
	v_add_nc_u32_e32 v1, s12, v1
	s_sub_i32 s1, s13, s31
	s_delay_alu instid0(VALU_DEP_1) | instid1(SALU_CYCLE_1)
	v_cmpx_gt_i32_e64 s1, v1
	s_cbranch_execz .LBB49_126
; %bb.76:
	s_cmp_eq_u32 s0, 0
	s_mov_b32 s12, 0
	s_cselect_b32 s13, 1, 2
	s_cselect_b32 s14, 2, 1
	s_branch .LBB49_78
.LBB49_77:                              ;   in Loop: Header=BB49_78 Depth=1
	s_or_b32 exec_lo, exec_lo, s15
	v_add_nc_u32_e32 v1, 0x100, v1
	s_delay_alu instid0(VALU_DEP_1) | instskip(SKIP_1) | instid1(SALU_CYCLE_1)
	v_cmp_le_i32_e32 vcc_lo, s1, v1
	s_or_b32 s12, vcc_lo, s12
	s_and_not1_b32 exec_lo, exec_lo, s12
	s_cbranch_execz .LBB49_126
.LBB49_78:                              ; =>This Loop Header: Depth=1
                                        ;     Child Loop BB49_80 Depth 2
                                        ;     Child Loop BB49_92 Depth 2
	;; [unrolled: 1-line block ×4, first 2 shown]
	v_ashrrev_i32_e32 v2, 31, v1
	v_lshlrev_b32_e32 v3, 2, v1
	s_mov_b32 s15, 0
	s_delay_alu instid0(VALU_DEP_2) | instskip(NEXT) | instid1(VALU_DEP_2)
	v_lshlrev_b64 v[5:6], 2, v[1:2]
	v_ashrrev_i32_e32 v4, 31, v3
	v_or_b32_e32 v2, s13, v3
	s_delay_alu instid0(VALU_DEP_2) | instskip(NEXT) | instid1(VALU_DEP_4)
	v_lshlrev_b64 v[7:8], 3, v[3:4]
	v_add_co_u32 v5, vcc_lo, s4, v5
	v_add_co_ci_u32_e32 v6, vcc_lo, s5, v6, vcc_lo
	v_or_b32_e32 v4, s14, v3
	v_ashrrev_i32_e32 v3, 31, v2
	global_load_b32 v10, v[5:6], off
	v_add_co_u32 v6, vcc_lo, s6, v7
	v_ashrrev_i32_e32 v5, 31, v4
	v_add_co_ci_u32_e32 v7, vcc_lo, s7, v8, vcc_lo
	v_lshlrev_b64 v[2:3], 3, v[2:3]
	s_delay_alu instid0(VALU_DEP_3)
	v_lshlrev_b64 v[4:5], 3, v[4:5]
	global_load_b64 v[14:15], v[6:7], off
	v_add_co_u32 v8, vcc_lo, s6, v2
	v_add_co_ci_u32_e32 v9, vcc_lo, s7, v3, vcc_lo
	v_add_co_u32 v4, vcc_lo, s6, v4
	v_add_co_ci_u32_e32 v5, vcc_lo, s7, v5, vcc_lo
	s_clause 0x2
	global_load_b64 v[2:3], v[6:7], off offset:24
	global_load_b64 v[6:7], v[8:9], off
	global_load_b64 v[4:5], v[4:5], off
	s_waitcnt vmcnt(4)
	v_subrev_nc_u32_e32 v9, s31, v10
	s_delay_alu instid0(VALU_DEP_1) | instskip(SKIP_2) | instid1(VALU_DEP_2)
	v_lshl_add_u32 v8, v9, 3, v9
	s_waitcnt vmcnt(3)
	v_mul_f32_e64 v11, v15, -s42
	v_dual_mul_f32 v13, s33, v15 :: v_dual_and_b32 v10, 0x7f, v8
	s_delay_alu instid0(VALU_DEP_2) | instskip(NEXT) | instid1(VALU_DEP_2)
	v_fmac_f32_e32 v11, s33, v14
	v_dual_fmac_f32 v13, s42, v14 :: v_dual_mov_b32 v14, v10
	s_branch .LBB49_80
.LBB49_79:                              ;   in Loop: Header=BB49_80 Depth=2
	s_or_b32 exec_lo, exec_lo, s17
	s_xor_b32 s17, s18, -1
	s_delay_alu instid0(SALU_CYCLE_1) | instskip(NEXT) | instid1(SALU_CYCLE_1)
	s_and_b32 s17, exec_lo, s17
	s_or_b32 s15, s17, s15
	s_delay_alu instid0(SALU_CYCLE_1)
	s_and_not1_b32 exec_lo, exec_lo, s15
	s_cbranch_execz .LBB49_90
.LBB49_80:                              ;   Parent Loop BB49_78 Depth=1
                                        ; =>  This Inner Loop Header: Depth=2
	s_delay_alu instid0(VALU_DEP_1)
	v_lshl_add_u32 v8, v14, 2, 0
	s_mov_b32 s17, exec_lo
                                        ; implicit-def: $sgpr18
	ds_load_b32 v15, v8
	s_waitcnt lgkmcnt(0)
	v_cmpx_ne_u32_e64 v15, v9
	s_xor_b32 s17, exec_lo, s17
	s_cbranch_execz .LBB49_88
; %bb.81:                               ;   in Loop: Header=BB49_80 Depth=2
	s_mov_b32 s19, exec_lo
                                        ; implicit-def: $sgpr18
	v_cmpx_ne_u32_e64 s16, v15
	s_xor_b32 s19, exec_lo, s19
; %bb.82:                               ;   in Loop: Header=BB49_80 Depth=2
	v_add_nc_u32_e32 v8, 1, v14
	s_mov_b32 s18, -1
	s_delay_alu instid0(VALU_DEP_1)
	v_and_b32_e32 v14, 0x7f, v8
                                        ; implicit-def: $vgpr8
; %bb.83:                               ;   in Loop: Header=BB49_80 Depth=2
	s_and_not1_saveexec_b32 s19, s19
	s_cbranch_execz .LBB49_87
; %bb.84:                               ;   in Loop: Header=BB49_80 Depth=2
	v_mov_b32_e32 v15, s16
	s_mov_b32 s21, -1
	s_mov_b32 s20, exec_lo
	ds_cmpstore_rtn_b32 v15, v8, v9, v15
	s_waitcnt lgkmcnt(0)
	v_cmpx_eq_u32_e64 s16, v15
	s_cbranch_execz .LBB49_86
; %bb.85:                               ;   in Loop: Header=BB49_80 Depth=2
	v_mad_u64_u32 v[15:16], null, v14, 28, v[8:9]
	s_xor_b32 s21, exec_lo, -1
	ds_add_f32 v15, v11 offset:512
	ds_add_f32 v15, v13 offset:516
.LBB49_86:                              ;   in Loop: Header=BB49_80 Depth=2
	s_or_b32 exec_lo, exec_lo, s20
	s_delay_alu instid0(SALU_CYCLE_1) | instskip(SKIP_1) | instid1(SALU_CYCLE_1)
	s_and_not1_b32 s18, s18, exec_lo
	s_and_b32 s20, s21, exec_lo
	s_or_b32 s18, s18, s20
.LBB49_87:                              ;   in Loop: Header=BB49_80 Depth=2
	s_or_b32 exec_lo, exec_lo, s19
	s_delay_alu instid0(SALU_CYCLE_1)
	s_and_b32 s18, s18, exec_lo
                                        ; implicit-def: $vgpr8
.LBB49_88:                              ;   in Loop: Header=BB49_80 Depth=2
	s_and_not1_saveexec_b32 s17, s17
	s_cbranch_execz .LBB49_79
; %bb.89:                               ;   in Loop: Header=BB49_80 Depth=2
	v_mad_u64_u32 v[15:16], null, v14, 28, v[8:9]
	s_and_not1_b32 s18, s18, exec_lo
	ds_add_f32 v15, v11 offset:512
	ds_add_f32 v15, v13 offset:516
	s_branch .LBB49_79
.LBB49_90:                              ;   in Loop: Header=BB49_78 Depth=1
	s_or_b32 exec_lo, exec_lo, s15
	s_waitcnt vmcnt(1)
	v_mul_f32_e64 v8, v7, -s42
	v_mul_f32_e32 v7, s33, v7
	v_mov_b32_e32 v11, v10
	s_mov_b32 s15, 0
	s_delay_alu instid0(VALU_DEP_3) | instskip(NEXT) | instid1(VALU_DEP_3)
	v_fmac_f32_e32 v8, s33, v6
	v_fmac_f32_e32 v7, s42, v6
	s_branch .LBB49_92
.LBB49_91:                              ;   in Loop: Header=BB49_92 Depth=2
	s_or_b32 exec_lo, exec_lo, s17
	s_xor_b32 s17, s18, -1
	s_delay_alu instid0(SALU_CYCLE_1) | instskip(NEXT) | instid1(SALU_CYCLE_1)
	s_and_b32 s17, exec_lo, s17
	s_or_b32 s15, s17, s15
	s_delay_alu instid0(SALU_CYCLE_1)
	s_and_not1_b32 exec_lo, exec_lo, s15
	s_cbranch_execz .LBB49_102
.LBB49_92:                              ;   Parent Loop BB49_78 Depth=1
                                        ; =>  This Inner Loop Header: Depth=2
	v_lshl_add_u32 v6, v11, 2, 0
	s_mov_b32 s17, exec_lo
                                        ; implicit-def: $sgpr18
	ds_load_b32 v13, v6
	s_waitcnt lgkmcnt(0)
	v_cmpx_ne_u32_e64 v13, v9
	s_xor_b32 s17, exec_lo, s17
	s_cbranch_execz .LBB49_100
; %bb.93:                               ;   in Loop: Header=BB49_92 Depth=2
	s_mov_b32 s19, exec_lo
                                        ; implicit-def: $sgpr18
	v_cmpx_ne_u32_e64 s16, v13
	s_xor_b32 s19, exec_lo, s19
; %bb.94:                               ;   in Loop: Header=BB49_92 Depth=2
	v_add_nc_u32_e32 v6, 1, v11
	s_mov_b32 s18, -1
	s_delay_alu instid0(VALU_DEP_1)
	v_and_b32_e32 v11, 0x7f, v6
                                        ; implicit-def: $vgpr6
; %bb.95:                               ;   in Loop: Header=BB49_92 Depth=2
	s_and_not1_saveexec_b32 s19, s19
	s_cbranch_execz .LBB49_99
; %bb.96:                               ;   in Loop: Header=BB49_92 Depth=2
	v_mov_b32_e32 v13, s16
	s_mov_b32 s21, -1
	s_mov_b32 s20, exec_lo
	ds_cmpstore_rtn_b32 v13, v6, v9, v13
	s_waitcnt lgkmcnt(0)
	v_cmpx_eq_u32_e64 s16, v13
	s_cbranch_execz .LBB49_98
; %bb.97:                               ;   in Loop: Header=BB49_92 Depth=2
	v_mad_u64_u32 v[13:14], null, v11, 28, v[6:7]
	s_xor_b32 s21, exec_lo, -1
	ds_add_f32 v13, v8 offset:520
	ds_add_f32 v13, v7 offset:524
.LBB49_98:                              ;   in Loop: Header=BB49_92 Depth=2
	s_or_b32 exec_lo, exec_lo, s20
	s_delay_alu instid0(SALU_CYCLE_1) | instskip(SKIP_1) | instid1(SALU_CYCLE_1)
	s_and_not1_b32 s18, s18, exec_lo
	s_and_b32 s20, s21, exec_lo
	s_or_b32 s18, s18, s20
.LBB49_99:                              ;   in Loop: Header=BB49_92 Depth=2
	s_or_b32 exec_lo, exec_lo, s19
	s_delay_alu instid0(SALU_CYCLE_1)
	s_and_b32 s18, s18, exec_lo
                                        ; implicit-def: $vgpr6
.LBB49_100:                             ;   in Loop: Header=BB49_92 Depth=2
	s_and_not1_saveexec_b32 s17, s17
	s_cbranch_execz .LBB49_91
; %bb.101:                              ;   in Loop: Header=BB49_92 Depth=2
	v_mad_u64_u32 v[13:14], null, v11, 28, v[6:7]
	s_and_not1_b32 s18, s18, exec_lo
	ds_add_f32 v13, v8 offset:520
	ds_add_f32 v13, v7 offset:524
	s_branch .LBB49_91
.LBB49_102:                             ;   in Loop: Header=BB49_78 Depth=1
	s_or_b32 exec_lo, exec_lo, s15
	s_waitcnt vmcnt(0)
	v_mul_f32_e64 v6, v5, -s42
	v_mul_f32_e32 v5, s33, v5
	v_mov_b32_e32 v7, v10
	s_mov_b32 s15, 0
	s_delay_alu instid0(VALU_DEP_3) | instskip(NEXT) | instid1(VALU_DEP_3)
	v_fmac_f32_e32 v6, s33, v4
	v_fmac_f32_e32 v5, s42, v4
	s_branch .LBB49_104
.LBB49_103:                             ;   in Loop: Header=BB49_104 Depth=2
	s_or_b32 exec_lo, exec_lo, s17
	s_xor_b32 s17, s18, -1
	s_delay_alu instid0(SALU_CYCLE_1) | instskip(NEXT) | instid1(SALU_CYCLE_1)
	s_and_b32 s17, exec_lo, s17
	s_or_b32 s15, s17, s15
	s_delay_alu instid0(SALU_CYCLE_1)
	s_and_not1_b32 exec_lo, exec_lo, s15
	s_cbranch_execz .LBB49_114
.LBB49_104:                             ;   Parent Loop BB49_78 Depth=1
                                        ; =>  This Inner Loop Header: Depth=2
	v_lshl_add_u32 v4, v7, 2, 0
	s_mov_b32 s17, exec_lo
                                        ; implicit-def: $sgpr18
	ds_load_b32 v8, v4
	s_waitcnt lgkmcnt(0)
	v_cmpx_ne_u32_e64 v8, v9
	s_xor_b32 s17, exec_lo, s17
	s_cbranch_execz .LBB49_112
; %bb.105:                              ;   in Loop: Header=BB49_104 Depth=2
	s_mov_b32 s19, exec_lo
                                        ; implicit-def: $sgpr18
	v_cmpx_ne_u32_e64 s16, v8
	s_xor_b32 s19, exec_lo, s19
; %bb.106:                              ;   in Loop: Header=BB49_104 Depth=2
	v_add_nc_u32_e32 v4, 1, v7
	s_mov_b32 s18, -1
	s_delay_alu instid0(VALU_DEP_1)
	v_and_b32_e32 v7, 0x7f, v4
                                        ; implicit-def: $vgpr4
; %bb.107:                              ;   in Loop: Header=BB49_104 Depth=2
	s_and_not1_saveexec_b32 s19, s19
	s_cbranch_execz .LBB49_111
; %bb.108:                              ;   in Loop: Header=BB49_104 Depth=2
	v_mov_b32_e32 v8, s16
	s_mov_b32 s21, -1
	s_mov_b32 s20, exec_lo
	ds_cmpstore_rtn_b32 v8, v4, v9, v8
	s_waitcnt lgkmcnt(0)
	v_cmpx_eq_u32_e64 s16, v8
	s_cbranch_execz .LBB49_110
; %bb.109:                              ;   in Loop: Header=BB49_104 Depth=2
	v_mad_u64_u32 v[13:14], null, v7, 28, v[4:5]
	s_xor_b32 s21, exec_lo, -1
	ds_add_f32 v13, v6 offset:528
	ds_add_f32 v13, v5 offset:532
.LBB49_110:                             ;   in Loop: Header=BB49_104 Depth=2
	s_or_b32 exec_lo, exec_lo, s20
	s_delay_alu instid0(SALU_CYCLE_1) | instskip(SKIP_1) | instid1(SALU_CYCLE_1)
	s_and_not1_b32 s18, s18, exec_lo
	s_and_b32 s20, s21, exec_lo
	s_or_b32 s18, s18, s20
.LBB49_111:                             ;   in Loop: Header=BB49_104 Depth=2
	s_or_b32 exec_lo, exec_lo, s19
	s_delay_alu instid0(SALU_CYCLE_1)
	s_and_b32 s18, s18, exec_lo
                                        ; implicit-def: $vgpr4
.LBB49_112:                             ;   in Loop: Header=BB49_104 Depth=2
	s_and_not1_saveexec_b32 s17, s17
	s_cbranch_execz .LBB49_103
; %bb.113:                              ;   in Loop: Header=BB49_104 Depth=2
	v_mad_u64_u32 v[13:14], null, v7, 28, v[4:5]
	s_and_not1_b32 s18, s18, exec_lo
	ds_add_f32 v13, v6 offset:528
	ds_add_f32 v13, v5 offset:532
	s_branch .LBB49_103
.LBB49_114:                             ;   in Loop: Header=BB49_78 Depth=1
	s_or_b32 exec_lo, exec_lo, s15
	v_mul_f32_e64 v4, v3, -s42
	v_mul_f32_e32 v3, s33, v3
	s_mov_b32 s15, 0
	s_delay_alu instid0(VALU_DEP_2) | instskip(NEXT) | instid1(VALU_DEP_2)
	v_fmac_f32_e32 v4, s33, v2
	v_fmac_f32_e32 v3, s42, v2
	s_branch .LBB49_116
.LBB49_115:                             ;   in Loop: Header=BB49_116 Depth=2
	s_or_b32 exec_lo, exec_lo, s17
	s_xor_b32 s17, s18, -1
	s_delay_alu instid0(SALU_CYCLE_1) | instskip(NEXT) | instid1(SALU_CYCLE_1)
	s_and_b32 s17, exec_lo, s17
	s_or_b32 s15, s17, s15
	s_delay_alu instid0(SALU_CYCLE_1)
	s_and_not1_b32 exec_lo, exec_lo, s15
	s_cbranch_execz .LBB49_77
.LBB49_116:                             ;   Parent Loop BB49_78 Depth=1
                                        ; =>  This Inner Loop Header: Depth=2
	v_lshl_add_u32 v2, v10, 2, 0
	s_mov_b32 s17, exec_lo
                                        ; implicit-def: $sgpr18
	ds_load_b32 v5, v2
	s_waitcnt lgkmcnt(0)
	v_cmpx_ne_u32_e64 v5, v9
	s_xor_b32 s17, exec_lo, s17
	s_cbranch_execz .LBB49_124
; %bb.117:                              ;   in Loop: Header=BB49_116 Depth=2
	s_mov_b32 s19, exec_lo
                                        ; implicit-def: $sgpr18
	v_cmpx_ne_u32_e64 s16, v5
	s_xor_b32 s19, exec_lo, s19
; %bb.118:                              ;   in Loop: Header=BB49_116 Depth=2
	v_add_nc_u32_e32 v2, 1, v10
	s_mov_b32 s18, -1
	s_delay_alu instid0(VALU_DEP_1)
	v_and_b32_e32 v10, 0x7f, v2
                                        ; implicit-def: $vgpr2
; %bb.119:                              ;   in Loop: Header=BB49_116 Depth=2
	s_and_not1_saveexec_b32 s19, s19
	s_cbranch_execz .LBB49_123
; %bb.120:                              ;   in Loop: Header=BB49_116 Depth=2
	v_mov_b32_e32 v5, s16
	s_mov_b32 s21, -1
	s_mov_b32 s20, exec_lo
	ds_cmpstore_rtn_b32 v5, v2, v9, v5
	s_waitcnt lgkmcnt(0)
	v_cmpx_eq_u32_e64 s16, v5
	s_cbranch_execz .LBB49_122
; %bb.121:                              ;   in Loop: Header=BB49_116 Depth=2
	v_mad_u64_u32 v[5:6], null, v10, 28, v[2:3]
	s_xor_b32 s21, exec_lo, -1
	ds_add_f32 v5, v4 offset:536
	ds_add_f32 v5, v3 offset:540
.LBB49_122:                             ;   in Loop: Header=BB49_116 Depth=2
	s_or_b32 exec_lo, exec_lo, s20
	s_delay_alu instid0(SALU_CYCLE_1) | instskip(SKIP_1) | instid1(SALU_CYCLE_1)
	s_and_not1_b32 s18, s18, exec_lo
	s_and_b32 s20, s21, exec_lo
	s_or_b32 s18, s18, s20
.LBB49_123:                             ;   in Loop: Header=BB49_116 Depth=2
	s_or_b32 exec_lo, exec_lo, s19
	s_delay_alu instid0(SALU_CYCLE_1)
	s_and_b32 s18, s18, exec_lo
                                        ; implicit-def: $vgpr2
.LBB49_124:                             ;   in Loop: Header=BB49_116 Depth=2
	s_and_not1_saveexec_b32 s17, s17
	s_cbranch_execz .LBB49_115
; %bb.125:                              ;   in Loop: Header=BB49_116 Depth=2
	v_mad_u64_u32 v[5:6], null, v10, 28, v[2:3]
	s_and_not1_b32 s18, s18, exec_lo
	ds_add_f32 v5, v4 offset:536
	ds_add_f32 v5, v3 offset:540
	s_branch .LBB49_115
.LBB49_126:
	s_or_b32 exec_lo, exec_lo, s3
.LBB49_127:
	s_waitcnt lgkmcnt(0)
	s_barrier
	buffer_gl0_inv
	s_and_saveexec_b32 s1, s2
	s_cbranch_execz .LBB49_130
; %bb.128:
	ds_load_b32 v1, v12
	s_waitcnt lgkmcnt(0)
	v_cmp_gt_i32_e32 vcc_lo, s16, v1
	s_and_b32 exec_lo, exec_lo, vcc_lo
	s_cbranch_execz .LBB49_130
; %bb.129:
	s_lshl_b64 s[2:3], s[40:41], 2
	v_mov_b32_e32 v2, 0
	s_add_u32 s2, s8, s2
	s_addc_u32 s3, s9, s3
	s_load_b32 s1, s[2:3], 0x0
	ds_load_2addr_b32 v[3:4], v2 offset1:1
	ds_load_2addr_b32 v[5:6], v2 offset0:2 offset1:3
	ds_load_2addr_b32 v[7:8], v2 offset0:4 offset1:5
	;; [unrolled: 1-line block ×17, first 2 shown]
	s_waitcnt lgkmcnt(0)
	v_cmp_gt_i32_e32 vcc_lo, v1, v3
	v_cndmask_b32_e64 v3, 0, 1, vcc_lo
	v_cmp_gt_i32_e32 vcc_lo, v1, v5
	v_cndmask_b32_e64 v5, 0, 1, vcc_lo
	v_cmp_gt_i32_e32 vcc_lo, v1, v4
	s_sub_i32 s1, s1, s30
	s_cmp_eq_u32 s0, 0
	v_add_co_ci_u32_e32 v3, vcc_lo, s1, v3, vcc_lo
	v_cmp_gt_i32_e32 vcc_lo, v1, v7
	s_cselect_b32 s0, 2, 1
	s_cselect_b32 s1, 1, 2
	v_cndmask_b32_e64 v4, 0, 1, vcc_lo
	v_cmp_gt_i32_e32 vcc_lo, v1, v6
	v_add_co_ci_u32_e32 v3, vcc_lo, v3, v5, vcc_lo
	v_cmp_gt_i32_e32 vcc_lo, v1, v9
	v_cndmask_b32_e64 v5, 0, 1, vcc_lo
	v_cmp_gt_i32_e32 vcc_lo, v1, v8
	s_delay_alu instid0(VALU_DEP_4) | instskip(SKIP_3) | instid1(VALU_DEP_4)
	v_add_co_ci_u32_e32 v3, vcc_lo, v3, v4, vcc_lo
	v_cmp_gt_i32_e32 vcc_lo, v1, v11
	v_cndmask_b32_e64 v4, 0, 1, vcc_lo
	v_cmp_gt_i32_e32 vcc_lo, v1, v10
	v_add_co_ci_u32_e32 v3, vcc_lo, v3, v5, vcc_lo
	v_cmp_gt_i32_e32 vcc_lo, v1, v13
	v_cndmask_b32_e64 v5, 0, 1, vcc_lo
	v_cmp_gt_i32_e32 vcc_lo, v1, v12
	s_delay_alu instid0(VALU_DEP_4)
	v_add_co_ci_u32_e32 v3, vcc_lo, v3, v4, vcc_lo
	v_cmp_gt_i32_e32 vcc_lo, v1, v15
	v_cndmask_b32_e64 v4, 0, 1, vcc_lo
	v_cmp_gt_i32_e32 vcc_lo, v1, v14
	v_add_nc_u32_e32 v14, s30, v1
	v_add_co_ci_u32_e32 v3, vcc_lo, v3, v5, vcc_lo
	v_cmp_gt_i32_e32 vcc_lo, v1, v17
	v_cndmask_b32_e64 v5, 0, 1, vcc_lo
	v_cmp_gt_i32_e32 vcc_lo, v1, v16
	s_delay_alu instid0(VALU_DEP_4) | instskip(SKIP_3) | instid1(VALU_DEP_4)
	v_add_co_ci_u32_e32 v3, vcc_lo, v3, v4, vcc_lo
	v_cmp_gt_i32_e32 vcc_lo, v1, v19
	v_cndmask_b32_e64 v4, 0, 1, vcc_lo
	v_cmp_gt_i32_e32 vcc_lo, v1, v18
	v_add_co_ci_u32_e32 v3, vcc_lo, v3, v5, vcc_lo
	v_cmp_gt_i32_e32 vcc_lo, v1, v21
	v_cndmask_b32_e64 v5, 0, 1, vcc_lo
	v_cmp_gt_i32_e32 vcc_lo, v1, v20
	s_delay_alu instid0(VALU_DEP_4) | instskip(SKIP_3) | instid1(VALU_DEP_4)
	v_add_co_ci_u32_e32 v3, vcc_lo, v3, v4, vcc_lo
	v_cmp_gt_i32_e32 vcc_lo, v1, v23
	v_cndmask_b32_e64 v4, 0, 1, vcc_lo
	v_cmp_gt_i32_e32 vcc_lo, v1, v22
	;; [unrolled: 9-line block ×4, first 2 shown]
	v_add_co_ci_u32_e32 v5, vcc_lo, v3, v5, vcc_lo
	v_cmp_gt_i32_e32 vcc_lo, v1, v32
	ds_load_2addr_b32 v[3:4], v2 offset0:36 offset1:37
	v_add_co_ci_u32_e32 v7, vcc_lo, v5, v6, vcc_lo
	ds_load_2addr_b32 v[5:6], v2 offset0:38 offset1:39
	v_cmp_gt_i32_e32 vcc_lo, v1, v33
	v_cndmask_b32_e64 v8, 0, 1, vcc_lo
	v_cmp_gt_i32_e32 vcc_lo, v1, v35
	v_cndmask_b32_e64 v9, 0, 1, vcc_lo
	v_cmp_gt_i32_e32 vcc_lo, v1, v34
	s_delay_alu instid0(VALU_DEP_4) | instskip(SKIP_1) | instid1(VALU_DEP_2)
	v_add_co_ci_u32_e32 v7, vcc_lo, v7, v8, vcc_lo
	v_cmp_gt_i32_e32 vcc_lo, v1, v36
	v_add_co_ci_u32_e32 v9, vcc_lo, v7, v9, vcc_lo
	ds_load_2addr_b32 v[7:8], v2 offset0:40 offset1:41
	v_cmp_gt_i32_e32 vcc_lo, v1, v37
	v_cndmask_b32_e64 v10, 0, 1, vcc_lo
	v_cmp_gt_i32_e32 vcc_lo, v1, v38
	s_delay_alu instid0(VALU_DEP_2)
	v_add_co_ci_u32_e32 v11, vcc_lo, v9, v10, vcc_lo
	ds_load_2addr_b32 v[9:10], v2 offset0:42 offset1:43
	s_waitcnt lgkmcnt(3)
	v_cmp_gt_i32_e32 vcc_lo, v1, v3
	v_cndmask_b32_e64 v3, 0, 1, vcc_lo
	v_cmp_gt_i32_e32 vcc_lo, v1, v4
	s_delay_alu instid0(VALU_DEP_2)
	v_add_co_ci_u32_e32 v11, vcc_lo, v11, v3, vcc_lo
	s_waitcnt lgkmcnt(2)
	v_cmp_gt_i32_e32 vcc_lo, v1, v5
	ds_load_2addr_b32 v[3:4], v2 offset0:44 offset1:45
	v_cndmask_b32_e64 v5, 0, 1, vcc_lo
	v_cmp_gt_i32_e32 vcc_lo, v1, v6
	s_delay_alu instid0(VALU_DEP_2)
	v_add_co_ci_u32_e32 v11, vcc_lo, v11, v5, vcc_lo
	ds_load_2addr_b32 v[5:6], v2 offset0:46 offset1:47
	s_waitcnt lgkmcnt(3)
	v_cmp_gt_i32_e32 vcc_lo, v1, v7
	v_cndmask_b32_e64 v7, 0, 1, vcc_lo
	v_cmp_gt_i32_e32 vcc_lo, v1, v8
	s_delay_alu instid0(VALU_DEP_2)
	v_add_co_ci_u32_e32 v11, vcc_lo, v11, v7, vcc_lo
	ds_load_2addr_b32 v[7:8], v2 offset0:48 offset1:49
	s_waitcnt lgkmcnt(3)
	v_cmp_gt_i32_e32 vcc_lo, v1, v9
	v_cndmask_b32_e64 v9, 0, 1, vcc_lo
	v_cmp_gt_i32_e32 vcc_lo, v1, v10
	s_delay_alu instid0(VALU_DEP_2)
	v_add_co_ci_u32_e32 v11, vcc_lo, v11, v9, vcc_lo
	ds_load_2addr_b32 v[9:10], v2 offset0:50 offset1:51
	s_waitcnt lgkmcnt(3)
	v_cmp_gt_i32_e32 vcc_lo, v1, v3
	v_cndmask_b32_e64 v3, 0, 1, vcc_lo
	v_cmp_gt_i32_e32 vcc_lo, v1, v4
	s_delay_alu instid0(VALU_DEP_2)
	v_add_co_ci_u32_e32 v11, vcc_lo, v11, v3, vcc_lo
	s_waitcnt lgkmcnt(2)
	v_cmp_gt_i32_e32 vcc_lo, v1, v5
	ds_load_2addr_b32 v[3:4], v2 offset0:52 offset1:53
	v_cndmask_b32_e64 v5, 0, 1, vcc_lo
	v_cmp_gt_i32_e32 vcc_lo, v1, v6
	s_delay_alu instid0(VALU_DEP_2)
	v_add_co_ci_u32_e32 v11, vcc_lo, v11, v5, vcc_lo
	ds_load_2addr_b32 v[5:6], v2 offset0:54 offset1:55
	s_waitcnt lgkmcnt(3)
	v_cmp_gt_i32_e32 vcc_lo, v1, v7
	v_cndmask_b32_e64 v7, 0, 1, vcc_lo
	v_cmp_gt_i32_e32 vcc_lo, v1, v8
	s_delay_alu instid0(VALU_DEP_2)
	v_add_co_ci_u32_e32 v11, vcc_lo, v11, v7, vcc_lo
	ds_load_2addr_b32 v[7:8], v2 offset0:56 offset1:57
	s_waitcnt lgkmcnt(3)
	;; [unrolled: 28-line block ×10, first 2 shown]
	v_cmp_gt_i32_e32 vcc_lo, v1, v9
	v_cndmask_b32_e64 v9, 0, 1, vcc_lo
	v_cmp_gt_i32_e32 vcc_lo, v1, v10
	s_delay_alu instid0(VALU_DEP_2)
	v_add_co_ci_u32_e32 v11, vcc_lo, v11, v9, vcc_lo
	ds_load_2addr_b32 v[9:10], v2 offset0:122 offset1:123
	s_waitcnt lgkmcnt(3)
	v_cmp_gt_i32_e32 vcc_lo, v1, v3
	v_cndmask_b32_e64 v3, 0, 1, vcc_lo
	v_cmp_gt_i32_e32 vcc_lo, v1, v4
	s_delay_alu instid0(VALU_DEP_2)
	v_add_co_ci_u32_e32 v11, vcc_lo, v11, v3, vcc_lo
	s_waitcnt lgkmcnt(2)
	v_cmp_gt_i32_e32 vcc_lo, v1, v5
	ds_load_2addr_b32 v[3:4], v2 offset0:124 offset1:125
	v_cndmask_b32_e64 v5, 0, 1, vcc_lo
	v_cmp_gt_i32_e32 vcc_lo, v1, v6
	s_delay_alu instid0(VALU_DEP_2)
	v_add_co_ci_u32_e32 v11, vcc_lo, v11, v5, vcc_lo
	ds_load_2addr_b32 v[5:6], v2 offset0:126 offset1:127
	s_waitcnt lgkmcnt(3)
	v_cmp_gt_i32_e32 vcc_lo, v1, v7
	v_cndmask_b32_e64 v2, 0, 1, vcc_lo
	v_cmp_gt_i32_e32 vcc_lo, v1, v8
	s_delay_alu instid0(VALU_DEP_2) | instskip(SKIP_4) | instid1(VALU_DEP_2)
	v_add_co_ci_u32_e32 v2, vcc_lo, v11, v2, vcc_lo
	s_waitcnt lgkmcnt(2)
	v_cmp_gt_i32_e32 vcc_lo, v1, v9
	v_cndmask_b32_e64 v7, 0, 1, vcc_lo
	v_cmp_gt_i32_e32 vcc_lo, v1, v10
	v_add_co_ci_u32_e32 v2, vcc_lo, v2, v7, vcc_lo
	s_waitcnt lgkmcnt(1)
	v_cmp_gt_i32_e32 vcc_lo, v1, v3
	v_cndmask_b32_e64 v3, 0, 1, vcc_lo
	v_cmp_gt_i32_e32 vcc_lo, v1, v4
	v_lshlrev_b32_e32 v4, 2, v0
	v_lshlrev_b32_e32 v0, 5, v0
	s_delay_alu instid0(VALU_DEP_4) | instskip(SKIP_4) | instid1(VALU_DEP_2)
	v_add_co_ci_u32_e32 v2, vcc_lo, v2, v3, vcc_lo
	s_waitcnt lgkmcnt(0)
	v_cmp_gt_i32_e32 vcc_lo, v1, v5
	v_cndmask_b32_e64 v3, 0, 1, vcc_lo
	v_cmp_gt_i32_e32 vcc_lo, v1, v6
	v_add_co_ci_u32_e32 v10, vcc_lo, v2, v3, vcc_lo
	v_or_b32_e32 v2, s0, v4
	v_or_b32_e32 v3, s1, v4
	v_add_nc_u32_e32 v4, 0, v0
	v_add3_u32 v0, 0, 0x200, v0
	v_lshlrev_b32_e32 v12, 2, v10
	v_lshl_add_u32 v5, v2, 3, 0
	v_lshl_add_u32 v8, v3, 3, 0
	v_ashrrev_i32_e32 v11, 31, v10
	ds_load_2addr_b32 v[2:3], v4 offset0:128 offset1:129
	ds_load_2addr_b32 v[6:7], v5 offset0:128 offset1:129
	;; [unrolled: 1-line block ×4, first 2 shown]
	v_ashrrev_i32_e32 v13, 31, v12
	v_lshlrev_b64 v[10:11], 2, v[10:11]
	s_delay_alu instid0(VALU_DEP_2) | instskip(NEXT) | instid1(VALU_DEP_2)
	v_lshlrev_b64 v[0:1], 3, v[12:13]
	v_add_co_u32 v10, vcc_lo, s10, v10
	s_delay_alu instid0(VALU_DEP_3) | instskip(NEXT) | instid1(VALU_DEP_3)
	v_add_co_ci_u32_e32 v11, vcc_lo, s11, v11, vcc_lo
	v_add_co_u32 v0, vcc_lo, s34, v0
	s_delay_alu instid0(VALU_DEP_4)
	v_add_co_ci_u32_e32 v1, vcc_lo, s35, v1, vcc_lo
	global_store_b32 v[10:11], v14, off
	s_waitcnt lgkmcnt(1)
	global_store_b128 v[0:1], v[2:5], off
	s_waitcnt lgkmcnt(0)
	global_store_b128 v[0:1], v[6:9], off offset:16
.LBB49_130:
	s_nop 0
	s_sendmsg sendmsg(MSG_DEALLOC_VGPRS)
	s_endpgm
	.section	.rodata,"a",@progbits
	.p2align	6, 0x0
	.amdhsa_kernel _ZN9rocsparseL30bsrgemm_fill_block_per_row_2x2ILj256ELj16ELj128ELj137Eii21rocsparse_complex_numIfEEEv20rocsparse_direction_T4_S4_PKS4_S6_NS_24const_host_device_scalarIT5_EEPKT3_S6_PKS8_SC_S6_SE_S9_SC_S6_SE_SC_PS4_PS8_21rocsparse_index_base_SH_SH_SH_bbb
		.amdhsa_group_segment_fixed_size 0
		.amdhsa_private_segment_fixed_size 0
		.amdhsa_kernarg_size 164
		.amdhsa_user_sgpr_count 15
		.amdhsa_user_sgpr_dispatch_ptr 0
		.amdhsa_user_sgpr_queue_ptr 0
		.amdhsa_user_sgpr_kernarg_segment_ptr 1
		.amdhsa_user_sgpr_dispatch_id 0
		.amdhsa_user_sgpr_private_segment_size 0
		.amdhsa_wavefront_size32 1
		.amdhsa_uses_dynamic_stack 0
		.amdhsa_enable_private_segment 0
		.amdhsa_system_sgpr_workgroup_id_x 1
		.amdhsa_system_sgpr_workgroup_id_y 0
		.amdhsa_system_sgpr_workgroup_id_z 0
		.amdhsa_system_sgpr_workgroup_info 0
		.amdhsa_system_vgpr_workitem_id 0
		.amdhsa_next_free_vgpr 39
		.amdhsa_next_free_sgpr 50
		.amdhsa_reserve_vcc 1
		.amdhsa_float_round_mode_32 0
		.amdhsa_float_round_mode_16_64 0
		.amdhsa_float_denorm_mode_32 3
		.amdhsa_float_denorm_mode_16_64 3
		.amdhsa_dx10_clamp 1
		.amdhsa_ieee_mode 1
		.amdhsa_fp16_overflow 0
		.amdhsa_workgroup_processor_mode 1
		.amdhsa_memory_ordered 1
		.amdhsa_forward_progress 0
		.amdhsa_shared_vgpr_count 0
		.amdhsa_exception_fp_ieee_invalid_op 0
		.amdhsa_exception_fp_denorm_src 0
		.amdhsa_exception_fp_ieee_div_zero 0
		.amdhsa_exception_fp_ieee_overflow 0
		.amdhsa_exception_fp_ieee_underflow 0
		.amdhsa_exception_fp_ieee_inexact 0
		.amdhsa_exception_int_div_zero 0
	.end_amdhsa_kernel
	.section	.text._ZN9rocsparseL30bsrgemm_fill_block_per_row_2x2ILj256ELj16ELj128ELj137Eii21rocsparse_complex_numIfEEEv20rocsparse_direction_T4_S4_PKS4_S6_NS_24const_host_device_scalarIT5_EEPKT3_S6_PKS8_SC_S6_SE_S9_SC_S6_SE_SC_PS4_PS8_21rocsparse_index_base_SH_SH_SH_bbb,"axG",@progbits,_ZN9rocsparseL30bsrgemm_fill_block_per_row_2x2ILj256ELj16ELj128ELj137Eii21rocsparse_complex_numIfEEEv20rocsparse_direction_T4_S4_PKS4_S6_NS_24const_host_device_scalarIT5_EEPKT3_S6_PKS8_SC_S6_SE_S9_SC_S6_SE_SC_PS4_PS8_21rocsparse_index_base_SH_SH_SH_bbb,comdat
.Lfunc_end49:
	.size	_ZN9rocsparseL30bsrgemm_fill_block_per_row_2x2ILj256ELj16ELj128ELj137Eii21rocsparse_complex_numIfEEEv20rocsparse_direction_T4_S4_PKS4_S6_NS_24const_host_device_scalarIT5_EEPKT3_S6_PKS8_SC_S6_SE_S9_SC_S6_SE_SC_PS4_PS8_21rocsparse_index_base_SH_SH_SH_bbb, .Lfunc_end49-_ZN9rocsparseL30bsrgemm_fill_block_per_row_2x2ILj256ELj16ELj128ELj137Eii21rocsparse_complex_numIfEEEv20rocsparse_direction_T4_S4_PKS4_S6_NS_24const_host_device_scalarIT5_EEPKT3_S6_PKS8_SC_S6_SE_S9_SC_S6_SE_SC_PS4_PS8_21rocsparse_index_base_SH_SH_SH_bbb
                                        ; -- End function
	.section	.AMDGPU.csdata,"",@progbits
; Kernel info:
; codeLenInByte = 6496
; NumSgprs: 52
; NumVgprs: 39
; ScratchSize: 0
; MemoryBound: 0
; FloatMode: 240
; IeeeMode: 1
; LDSByteSize: 0 bytes/workgroup (compile time only)
; SGPRBlocks: 6
; VGPRBlocks: 4
; NumSGPRsForWavesPerEU: 52
; NumVGPRsForWavesPerEU: 39
; Occupancy: 16
; WaveLimiterHint : 1
; COMPUTE_PGM_RSRC2:SCRATCH_EN: 0
; COMPUTE_PGM_RSRC2:USER_SGPR: 15
; COMPUTE_PGM_RSRC2:TRAP_HANDLER: 0
; COMPUTE_PGM_RSRC2:TGID_X_EN: 1
; COMPUTE_PGM_RSRC2:TGID_Y_EN: 0
; COMPUTE_PGM_RSRC2:TGID_Z_EN: 0
; COMPUTE_PGM_RSRC2:TIDIG_COMP_CNT: 0
	.section	.text._ZN9rocsparseL30bsrgemm_fill_block_per_row_2x2ILj256ELj16ELj256ELj137Eii21rocsparse_complex_numIfEEEv20rocsparse_direction_T4_S4_PKS4_S6_NS_24const_host_device_scalarIT5_EEPKT3_S6_PKS8_SC_S6_SE_S9_SC_S6_SE_SC_PS4_PS8_21rocsparse_index_base_SH_SH_SH_bbb,"axG",@progbits,_ZN9rocsparseL30bsrgemm_fill_block_per_row_2x2ILj256ELj16ELj256ELj137Eii21rocsparse_complex_numIfEEEv20rocsparse_direction_T4_S4_PKS4_S6_NS_24const_host_device_scalarIT5_EEPKT3_S6_PKS8_SC_S6_SE_S9_SC_S6_SE_SC_PS4_PS8_21rocsparse_index_base_SH_SH_SH_bbb,comdat
	.globl	_ZN9rocsparseL30bsrgemm_fill_block_per_row_2x2ILj256ELj16ELj256ELj137Eii21rocsparse_complex_numIfEEEv20rocsparse_direction_T4_S4_PKS4_S6_NS_24const_host_device_scalarIT5_EEPKT3_S6_PKS8_SC_S6_SE_S9_SC_S6_SE_SC_PS4_PS8_21rocsparse_index_base_SH_SH_SH_bbb ; -- Begin function _ZN9rocsparseL30bsrgemm_fill_block_per_row_2x2ILj256ELj16ELj256ELj137Eii21rocsparse_complex_numIfEEEv20rocsparse_direction_T4_S4_PKS4_S6_NS_24const_host_device_scalarIT5_EEPKT3_S6_PKS8_SC_S6_SE_S9_SC_S6_SE_SC_PS4_PS8_21rocsparse_index_base_SH_SH_SH_bbb
	.p2align	8
	.type	_ZN9rocsparseL30bsrgemm_fill_block_per_row_2x2ILj256ELj16ELj256ELj137Eii21rocsparse_complex_numIfEEEv20rocsparse_direction_T4_S4_PKS4_S6_NS_24const_host_device_scalarIT5_EEPKT3_S6_PKS8_SC_S6_SE_S9_SC_S6_SE_SC_PS4_PS8_21rocsparse_index_base_SH_SH_SH_bbb,@function
_ZN9rocsparseL30bsrgemm_fill_block_per_row_2x2ILj256ELj16ELj256ELj137Eii21rocsparse_complex_numIfEEEv20rocsparse_direction_T4_S4_PKS4_S6_NS_24const_host_device_scalarIT5_EEPKT3_S6_PKS8_SC_S6_SE_S9_SC_S6_SE_SC_PS4_PS8_21rocsparse_index_base_SH_SH_SH_bbb: ; @_ZN9rocsparseL30bsrgemm_fill_block_per_row_2x2ILj256ELj16ELj256ELj137Eii21rocsparse_complex_numIfEEEv20rocsparse_direction_T4_S4_PKS4_S6_NS_24const_host_device_scalarIT5_EEPKT3_S6_PKS8_SC_S6_SE_S9_SC_S6_SE_SC_PS4_PS8_21rocsparse_index_base_SH_SH_SH_bbb
; %bb.0:
	s_mov_b32 s40, s15
	s_clause 0x6
	s_load_b32 s33, s[0:1], 0xa0
	s_load_b256 s[4:11], s[0:1], 0x68
	s_load_b256 s[12:19], s[0:1], 0x48
	s_load_b128 s[36:39], s[0:1], 0x10
	s_load_b256 s[20:27], s[0:1], 0x28
	s_load_b64 s[34:35], s[0:1], 0x88
	s_load_b128 s[28:31], s[0:1], 0x90
	s_mov_b32 s3, 0
	s_mov_b32 s43, 0
	s_waitcnt lgkmcnt(0)
	s_bitcmp1_b32 s33, 0
	s_cselect_b32 s41, -1, 0
	s_bitcmp1_b32 s33, 16
	s_cselect_b32 s2, -1, 0
	s_delay_alu instid0(SALU_CYCLE_1) | instskip(SKIP_2) | instid1(VALU_DEP_1)
	s_xor_b32 s42, s2, -1
	s_bitcmp0_b32 s33, 0
	v_cndmask_b32_e64 v1, 0, 1, s42
	v_cmp_ne_u32_e32 vcc_lo, 1, v1
	s_cbranch_scc1 .LBB50_5
; %bb.1:
	s_load_b64 s[2:3], s[0:1], 0x20
	s_and_b32 vcc_lo, exec_lo, vcc_lo
	s_waitcnt lgkmcnt(0)
	s_mov_b32 s43, s2
	s_cbranch_vccnz .LBB50_3
; %bb.2:
	s_load_b32 s43, s[2:3], 0x0
.LBB50_3:
	s_and_not1_b32 vcc_lo, exec_lo, s42
	s_cbranch_vccnz .LBB50_5
; %bb.4:
	s_load_b32 s3, s[2:3], 0x4
.LBB50_5:
	s_bitcmp1_b32 s33, 8
	s_mov_b32 s42, 0
	s_cselect_b32 s44, -1, 0
	s_bfe_u32 s2, s33, 0x10008
	s_mov_b32 s33, 0
	s_cmp_eq_u32 s2, 0
	s_cbranch_scc1 .LBB50_11
; %bb.6:
	v_cmp_ne_u32_e32 vcc_lo, 1, v1
	s_mov_b32 s33, s16
	s_cbranch_vccnz .LBB50_8
; %bb.7:
	s_load_b32 s33, s[16:17], 0x0
.LBB50_8:
	v_cmp_ne_u32_e32 vcc_lo, 1, v1
	s_cbranch_vccnz .LBB50_10
; %bb.9:
	s_load_b32 s17, s[16:17], 0x4
.LBB50_10:
	s_waitcnt lgkmcnt(0)
	s_mov_b32 s42, s17
.LBB50_11:
	s_load_b32 s16, s[0:1], 0x8
	v_cmp_gt_u32_e64 s2, 0x100, v0
	v_lshl_add_u32 v12, v0, 2, 0
	s_delay_alu instid0(VALU_DEP_2)
	s_and_saveexec_b32 s17, s2
	s_cbranch_execz .LBB50_13
; %bb.12:
	s_waitcnt lgkmcnt(0)
	v_mov_b32_e32 v1, s16
	ds_store_b32 v12, v1
.LBB50_13:
	s_or_b32 exec_lo, exec_lo, s17
	v_dual_mov_b32 v3, 0 :: v_dual_lshlrev_b32 v2, 3, v0
	v_or_b32_e32 v1, 0xffffff00, v0
	s_mov_b32 s17, 0
	s_delay_alu instid0(VALU_DEP_2)
	v_add3_u32 v2, v2, 0, 0x400
.LBB50_14:                              ; =>This Inner Loop Header: Depth=1
	s_delay_alu instid0(VALU_DEP_2) | instskip(SKIP_4) | instid1(SALU_CYCLE_1)
	v_add_nc_u32_e32 v1, 0x100, v1
	ds_store_2addr_b32 v2, v3, v3 offset1:1
	v_add_nc_u32_e32 v2, 0x800, v2
	v_cmp_lt_u32_e32 vcc_lo, 0x2ff, v1
	s_or_b32 s17, vcc_lo, s17
	s_and_not1_b32 exec_lo, exec_lo, s17
	s_cbranch_execnz .LBB50_14
; %bb.15:
	s_or_b32 exec_lo, exec_lo, s17
	s_cmp_lg_u64 s[38:39], 0
	s_waitcnt lgkmcnt(0)
	s_barrier
	buffer_gl0_inv
	s_cbranch_scc0 .LBB50_17
; %bb.16:
	s_load_b32 s17, s[36:37], 0x0
	s_mov_b32 s37, 0
	s_waitcnt lgkmcnt(0)
	s_add_i32 s36, s17, s40
	s_delay_alu instid0(SALU_CYCLE_1) | instskip(NEXT) | instid1(SALU_CYCLE_1)
	s_lshl_b64 s[36:37], s[36:37], 2
	s_add_u32 s36, s38, s36
	s_addc_u32 s37, s39, s37
	s_load_b32 s40, s[36:37], 0x0
.LBB50_17:
	s_load_b32 s0, s[0:1], 0x0
	s_and_not1_b32 vcc_lo, exec_lo, s41
	s_waitcnt lgkmcnt(0)
	s_ashr_i32 s41, s40, 31
	s_cbranch_vccnz .LBB50_73
; %bb.18:
	s_lshl_b64 s[36:37], s[40:41], 2
	v_lshrrev_b32_e32 v1, 4, v0
	s_add_u32 s20, s20, s36
	s_addc_u32 s21, s21, s37
	s_mov_b32 s17, exec_lo
	s_load_b64 s[20:21], s[20:21], 0x0
	v_subrev_nc_u32_e32 v1, s28, v1
	s_waitcnt lgkmcnt(0)
	s_delay_alu instid0(VALU_DEP_1)
	v_add_nc_u32_e32 v1, s20, v1
	s_sub_i32 s1, s21, s28
	s_delay_alu instid0(VALU_DEP_1) | instid1(SALU_CYCLE_1)
	v_cmpx_gt_i32_e64 s1, v1
	s_cbranch_execz .LBB50_72
; %bb.19:
	v_and_b32_e32 v2, 15, v0
	s_cmp_eq_u32 s0, 0
	s_mov_b32 s20, 0
	s_cselect_b32 s21, 2, 1
	s_cselect_b32 s36, 1, 2
	v_subrev_nc_u32_e32 v13, s29, v2
	s_branch .LBB50_21
.LBB50_20:                              ;   in Loop: Header=BB50_21 Depth=1
	s_or_b32 exec_lo, exec_lo, s37
	v_add_nc_u32_e32 v1, 16, v1
	s_delay_alu instid0(VALU_DEP_1) | instskip(SKIP_1) | instid1(SALU_CYCLE_1)
	v_cmp_le_i32_e32 vcc_lo, s1, v1
	s_or_b32 s20, vcc_lo, s20
	s_and_not1_b32 exec_lo, exec_lo, s20
	s_cbranch_execz .LBB50_72
.LBB50_21:                              ; =>This Loop Header: Depth=1
                                        ;     Child Loop BB50_24 Depth 2
                                        ;       Child Loop BB50_26 Depth 3
                                        ;       Child Loop BB50_38 Depth 3
	;; [unrolled: 1-line block ×4, first 2 shown]
	v_ashrrev_i32_e32 v2, 31, v1
	s_mov_b32 s37, exec_lo
	s_delay_alu instid0(VALU_DEP_1) | instskip(NEXT) | instid1(VALU_DEP_1)
	v_lshlrev_b64 v[2:3], 2, v[1:2]
	v_add_co_u32 v2, vcc_lo, s22, v2
	s_delay_alu instid0(VALU_DEP_2) | instskip(SKIP_3) | instid1(VALU_DEP_1)
	v_add_co_ci_u32_e32 v3, vcc_lo, s23, v3, vcc_lo
	global_load_b32 v2, v[2:3], off
	s_waitcnt vmcnt(0)
	v_subrev_nc_u32_e32 v2, s28, v2
	v_ashrrev_i32_e32 v3, 31, v2
	s_delay_alu instid0(VALU_DEP_1) | instskip(NEXT) | instid1(VALU_DEP_1)
	v_lshlrev_b64 v[2:3], 2, v[2:3]
	v_add_co_u32 v2, vcc_lo, s26, v2
	s_delay_alu instid0(VALU_DEP_2) | instskip(SKIP_4) | instid1(VALU_DEP_1)
	v_add_co_ci_u32_e32 v3, vcc_lo, s27, v3, vcc_lo
	global_load_b64 v[2:3], v[2:3], off
	s_waitcnt vmcnt(0)
	v_subrev_nc_u32_e32 v14, s29, v3
	v_add_nc_u32_e32 v2, v2, v13
	v_cmpx_lt_i32_e64 v2, v14
	s_cbranch_execz .LBB50_20
; %bb.22:                               ;   in Loop: Header=BB50_21 Depth=1
	v_lshlrev_b32_e32 v3, 2, v1
	s_mov_b32 s38, 0
	s_delay_alu instid0(VALU_DEP_1) | instskip(SKIP_2) | instid1(VALU_DEP_3)
	v_or_b32_e32 v5, s21, v3
	v_ashrrev_i32_e32 v4, 31, v3
	v_or_b32_e32 v7, s36, v3
	v_ashrrev_i32_e32 v6, 31, v5
	s_delay_alu instid0(VALU_DEP_3) | instskip(NEXT) | instid1(VALU_DEP_3)
	v_lshlrev_b64 v[3:4], 3, v[3:4]
	v_ashrrev_i32_e32 v8, 31, v7
	s_delay_alu instid0(VALU_DEP_3) | instskip(NEXT) | instid1(VALU_DEP_3)
	v_lshlrev_b64 v[5:6], 3, v[5:6]
	v_add_co_u32 v3, vcc_lo, s24, v3
	s_delay_alu instid0(VALU_DEP_3) | instskip(SKIP_1) | instid1(VALU_DEP_4)
	v_lshlrev_b64 v[7:8], 3, v[7:8]
	v_add_co_ci_u32_e32 v4, vcc_lo, s25, v4, vcc_lo
	v_add_co_u32 v5, vcc_lo, s24, v5
	v_add_co_ci_u32_e32 v6, vcc_lo, s25, v6, vcc_lo
	s_delay_alu instid0(VALU_DEP_4)
	v_add_co_u32 v7, vcc_lo, s24, v7
	global_load_b64 v[9:10], v[3:4], off
	v_add_co_ci_u32_e32 v8, vcc_lo, s25, v8, vcc_lo
	s_clause 0x2
	global_load_b64 v[5:6], v[5:6], off
	global_load_b64 v[7:8], v[7:8], off
	global_load_b64 v[3:4], v[3:4], off offset:24
	s_waitcnt vmcnt(3)
	v_mul_f32_e32 v16, s43, v10
	v_mul_f32_e64 v15, v10, -s3
	s_waitcnt vmcnt(2)
	v_mul_f32_e64 v17, v6, -s3
	v_mul_f32_e32 v18, s43, v6
	s_waitcnt vmcnt(0)
	v_dual_fmac_f32 v16, s3, v9 :: v_dual_mul_f32 v19, s43, v4
	v_fmac_f32_e32 v15, s43, v9
	v_mul_f32_e64 v20, v4, -s3
	v_dual_mul_f32 v21, s43, v8 :: v_dual_fmac_f32 v18, s3, v5
	v_mul_f32_e64 v22, v8, -s3
	s_delay_alu instid0(VALU_DEP_3) | instskip(SKIP_1) | instid1(VALU_DEP_4)
	v_dual_fmac_f32 v17, s43, v5 :: v_dual_fmac_f32 v20, s43, v3
	v_fmac_f32_e32 v19, s3, v3
	v_fmac_f32_e32 v21, s3, v7
	s_delay_alu instid0(VALU_DEP_4)
	v_fmac_f32_e32 v22, s43, v7
	s_branch .LBB50_24
.LBB50_23:                              ;   in Loop: Header=BB50_24 Depth=2
	s_or_b32 exec_lo, exec_lo, s39
	v_add_nc_u32_e32 v2, 16, v2
	s_delay_alu instid0(VALU_DEP_1) | instskip(SKIP_1) | instid1(SALU_CYCLE_1)
	v_cmp_ge_i32_e32 vcc_lo, v2, v14
	s_or_b32 s38, vcc_lo, s38
	s_and_not1_b32 exec_lo, exec_lo, s38
	s_cbranch_execz .LBB50_20
.LBB50_24:                              ;   Parent Loop BB50_21 Depth=1
                                        ; =>  This Loop Header: Depth=2
                                        ;       Child Loop BB50_26 Depth 3
                                        ;       Child Loop BB50_38 Depth 3
	;; [unrolled: 1-line block ×4, first 2 shown]
	v_lshlrev_b32_e32 v4, 2, v2
	v_ashrrev_i32_e32 v3, 31, v2
	s_mov_b32 s39, 0
	s_delay_alu instid0(VALU_DEP_2) | instskip(NEXT) | instid1(VALU_DEP_2)
	v_or_b32_e32 v6, s21, v4
	v_lshlrev_b64 v[8:9], 2, v[2:3]
	v_ashrrev_i32_e32 v5, 31, v4
	s_delay_alu instid0(VALU_DEP_3) | instskip(NEXT) | instid1(VALU_DEP_3)
	v_ashrrev_i32_e32 v7, 31, v6
	v_add_co_u32 v8, vcc_lo, s12, v8
	s_delay_alu instid0(VALU_DEP_4) | instskip(NEXT) | instid1(VALU_DEP_3)
	v_add_co_ci_u32_e32 v9, vcc_lo, s13, v9, vcc_lo
	v_lshlrev_b64 v[6:7], 3, v[6:7]
	v_lshlrev_b64 v[23:24], 3, v[4:5]
	s_delay_alu instid0(VALU_DEP_2) | instskip(NEXT) | instid1(VALU_DEP_3)
	v_add_co_u32 v6, vcc_lo, s14, v6
	v_add_co_ci_u32_e32 v7, vcc_lo, s15, v7, vcc_lo
	s_delay_alu instid0(VALU_DEP_3)
	v_add_co_u32 v5, vcc_lo, s14, v23
	global_load_b32 v11, v[8:9], off
	global_load_b64 v[9:10], v[6:7], off
	v_add_co_ci_u32_e32 v6, vcc_lo, s15, v24, vcc_lo
	global_load_b64 v[7:8], v[5:6], off
	s_waitcnt vmcnt(2)
	v_subrev_nc_u32_e32 v23, s29, v11
	s_waitcnt vmcnt(1)
	v_mul_f32_e64 v11, v10, -v21
	s_delay_alu instid0(VALU_DEP_2) | instskip(NEXT) | instid1(VALU_DEP_2)
	v_mul_lo_u32 v24, 0x89, v23
	v_fmac_f32_e32 v11, v22, v9
	v_or_b32_e32 v3, s36, v4
	v_mul_f32_e32 v25, v22, v10
	s_waitcnt vmcnt(0)
	s_delay_alu instid0(VALU_DEP_3) | instskip(NEXT) | instid1(VALU_DEP_3)
	v_fmac_f32_e32 v11, v15, v7
	v_ashrrev_i32_e32 v4, 31, v3
	s_delay_alu instid0(VALU_DEP_3) | instskip(NEXT) | instid1(VALU_DEP_3)
	v_dual_fmac_f32 v25, v21, v9 :: v_dual_and_b32 v24, 0xff, v24
	v_fma_f32 v26, -v16, v8, v11
	s_delay_alu instid0(VALU_DEP_3) | instskip(NEXT) | instid1(VALU_DEP_3)
	v_lshlrev_b64 v[3:4], 3, v[3:4]
	v_mov_b32_e32 v27, v24
	s_delay_alu instid0(VALU_DEP_4) | instskip(NEXT) | instid1(VALU_DEP_3)
	v_fmac_f32_e32 v25, v16, v7
	v_add_co_u32 v3, vcc_lo, s14, v3
	s_delay_alu instid0(VALU_DEP_4) | instskip(NEXT) | instid1(VALU_DEP_3)
	v_add_co_ci_u32_e32 v4, vcc_lo, s15, v4, vcc_lo
	v_fmac_f32_e32 v25, v15, v8
	s_clause 0x1
	global_load_b64 v[3:4], v[3:4], off
	global_load_b64 v[5:6], v[5:6], off offset:24
	s_branch .LBB50_26
.LBB50_25:                              ;   in Loop: Header=BB50_26 Depth=3
	s_or_b32 exec_lo, exec_lo, s45
	s_xor_b32 s45, s46, -1
	s_delay_alu instid0(SALU_CYCLE_1) | instskip(NEXT) | instid1(SALU_CYCLE_1)
	s_and_b32 s45, exec_lo, s45
	s_or_b32 s39, s45, s39
	s_delay_alu instid0(SALU_CYCLE_1)
	s_and_not1_b32 exec_lo, exec_lo, s39
	s_cbranch_execz .LBB50_36
.LBB50_26:                              ;   Parent Loop BB50_21 Depth=1
                                        ;     Parent Loop BB50_24 Depth=2
                                        ; =>    This Inner Loop Header: Depth=3
	v_lshl_add_u32 v11, v27, 2, 0
	s_mov_b32 s45, exec_lo
                                        ; implicit-def: $sgpr46
	ds_load_b32 v28, v11
	s_waitcnt lgkmcnt(0)
	v_cmpx_ne_u32_e64 v28, v23
	s_xor_b32 s45, exec_lo, s45
	s_cbranch_execz .LBB50_34
; %bb.27:                               ;   in Loop: Header=BB50_26 Depth=3
	s_mov_b32 s47, exec_lo
                                        ; implicit-def: $sgpr46
	v_cmpx_ne_u32_e64 s16, v28
	s_xor_b32 s47, exec_lo, s47
; %bb.28:                               ;   in Loop: Header=BB50_26 Depth=3
	v_add_nc_u32_e32 v11, 1, v27
	s_mov_b32 s46, -1
	s_delay_alu instid0(VALU_DEP_1)
	v_and_b32_e32 v27, 0xff, v11
                                        ; implicit-def: $vgpr11
; %bb.29:                               ;   in Loop: Header=BB50_26 Depth=3
	s_and_not1_saveexec_b32 s47, s47
	s_cbranch_execz .LBB50_33
; %bb.30:                               ;   in Loop: Header=BB50_26 Depth=3
	v_mov_b32_e32 v28, s16
	s_mov_b32 s49, -1
	s_mov_b32 s48, exec_lo
	ds_cmpstore_rtn_b32 v28, v11, v23, v28
	s_waitcnt lgkmcnt(0)
	v_cmpx_eq_u32_e64 s16, v28
	s_cbranch_execz .LBB50_32
; %bb.31:                               ;   in Loop: Header=BB50_26 Depth=3
	v_mad_u64_u32 v[28:29], null, v27, 28, v[11:12]
	s_xor_b32 s49, exec_lo, -1
	ds_add_f32 v28, v26 offset:1024
	ds_add_f32 v28, v25 offset:1028
.LBB50_32:                              ;   in Loop: Header=BB50_26 Depth=3
	s_or_b32 exec_lo, exec_lo, s48
	s_delay_alu instid0(SALU_CYCLE_1) | instskip(SKIP_1) | instid1(SALU_CYCLE_1)
	s_and_not1_b32 s46, s46, exec_lo
	s_and_b32 s48, s49, exec_lo
	s_or_b32 s46, s46, s48
.LBB50_33:                              ;   in Loop: Header=BB50_26 Depth=3
	s_or_b32 exec_lo, exec_lo, s47
	s_delay_alu instid0(SALU_CYCLE_1)
	s_and_b32 s46, s46, exec_lo
                                        ; implicit-def: $vgpr11
.LBB50_34:                              ;   in Loop: Header=BB50_26 Depth=3
	s_and_not1_saveexec_b32 s45, s45
	s_cbranch_execz .LBB50_25
; %bb.35:                               ;   in Loop: Header=BB50_26 Depth=3
	v_mad_u64_u32 v[28:29], null, v27, 28, v[11:12]
	s_and_not1_b32 s46, s46, exec_lo
	ds_add_f32 v28, v26 offset:1024
	ds_add_f32 v28, v25 offset:1028
	s_branch .LBB50_25
.LBB50_36:                              ;   in Loop: Header=BB50_24 Depth=2
	s_or_b32 exec_lo, exec_lo, s39
	s_waitcnt vmcnt(0)
	v_mul_f32_e64 v11, v6, -v21
	v_mul_f32_e32 v25, v22, v6
	v_mov_b32_e32 v27, v24
	s_mov_b32 s39, 0
	s_delay_alu instid0(VALU_DEP_3) | instskip(NEXT) | instid1(VALU_DEP_3)
	v_fmac_f32_e32 v11, v22, v5
	v_fmac_f32_e32 v25, v21, v5
	s_delay_alu instid0(VALU_DEP_2) | instskip(NEXT) | instid1(VALU_DEP_2)
	v_fmac_f32_e32 v11, v15, v3
	v_fmac_f32_e32 v25, v16, v3
	s_delay_alu instid0(VALU_DEP_2) | instskip(NEXT) | instid1(VALU_DEP_2)
	v_fma_f32 v26, -v16, v4, v11
	v_fmac_f32_e32 v25, v15, v4
	s_branch .LBB50_38
.LBB50_37:                              ;   in Loop: Header=BB50_38 Depth=3
	s_or_b32 exec_lo, exec_lo, s45
	s_xor_b32 s45, s46, -1
	s_delay_alu instid0(SALU_CYCLE_1) | instskip(NEXT) | instid1(SALU_CYCLE_1)
	s_and_b32 s45, exec_lo, s45
	s_or_b32 s39, s45, s39
	s_delay_alu instid0(SALU_CYCLE_1)
	s_and_not1_b32 exec_lo, exec_lo, s39
	s_cbranch_execz .LBB50_48
.LBB50_38:                              ;   Parent Loop BB50_21 Depth=1
                                        ;     Parent Loop BB50_24 Depth=2
                                        ; =>    This Inner Loop Header: Depth=3
	v_lshl_add_u32 v11, v27, 2, 0
	s_mov_b32 s45, exec_lo
                                        ; implicit-def: $sgpr46
	ds_load_b32 v28, v11
	s_waitcnt lgkmcnt(0)
	v_cmpx_ne_u32_e64 v28, v23
	s_xor_b32 s45, exec_lo, s45
	s_cbranch_execz .LBB50_46
; %bb.39:                               ;   in Loop: Header=BB50_38 Depth=3
	s_mov_b32 s47, exec_lo
                                        ; implicit-def: $sgpr46
	v_cmpx_ne_u32_e64 s16, v28
	s_xor_b32 s47, exec_lo, s47
; %bb.40:                               ;   in Loop: Header=BB50_38 Depth=3
	v_add_nc_u32_e32 v11, 1, v27
	s_mov_b32 s46, -1
	s_delay_alu instid0(VALU_DEP_1)
	v_and_b32_e32 v27, 0xff, v11
                                        ; implicit-def: $vgpr11
; %bb.41:                               ;   in Loop: Header=BB50_38 Depth=3
	s_and_not1_saveexec_b32 s47, s47
	s_cbranch_execz .LBB50_45
; %bb.42:                               ;   in Loop: Header=BB50_38 Depth=3
	v_mov_b32_e32 v28, s16
	s_mov_b32 s49, -1
	s_mov_b32 s48, exec_lo
	ds_cmpstore_rtn_b32 v28, v11, v23, v28
	s_waitcnt lgkmcnt(0)
	v_cmpx_eq_u32_e64 s16, v28
	s_cbranch_execz .LBB50_44
; %bb.43:                               ;   in Loop: Header=BB50_38 Depth=3
	v_mad_u64_u32 v[28:29], null, v27, 28, v[11:12]
	s_xor_b32 s49, exec_lo, -1
	ds_add_f32 v28, v26 offset:1032
	ds_add_f32 v28, v25 offset:1036
.LBB50_44:                              ;   in Loop: Header=BB50_38 Depth=3
	s_or_b32 exec_lo, exec_lo, s48
	s_delay_alu instid0(SALU_CYCLE_1) | instskip(SKIP_1) | instid1(SALU_CYCLE_1)
	s_and_not1_b32 s46, s46, exec_lo
	s_and_b32 s48, s49, exec_lo
	s_or_b32 s46, s46, s48
.LBB50_45:                              ;   in Loop: Header=BB50_38 Depth=3
	s_or_b32 exec_lo, exec_lo, s47
	s_delay_alu instid0(SALU_CYCLE_1)
	s_and_b32 s46, s46, exec_lo
                                        ; implicit-def: $vgpr11
.LBB50_46:                              ;   in Loop: Header=BB50_38 Depth=3
	s_and_not1_saveexec_b32 s45, s45
	s_cbranch_execz .LBB50_37
; %bb.47:                               ;   in Loop: Header=BB50_38 Depth=3
	v_mad_u64_u32 v[28:29], null, v27, 28, v[11:12]
	s_and_not1_b32 s46, s46, exec_lo
	ds_add_f32 v28, v26 offset:1032
	ds_add_f32 v28, v25 offset:1036
	s_branch .LBB50_37
.LBB50_48:                              ;   in Loop: Header=BB50_24 Depth=2
	s_or_b32 exec_lo, exec_lo, s39
	v_mul_f32_e64 v11, v10, -v19
	s_mov_b32 s39, 0
	s_delay_alu instid0(VALU_DEP_1) | instskip(NEXT) | instid1(VALU_DEP_1)
	v_fmac_f32_e32 v11, v20, v9
	v_dual_mul_f32 v10, v20, v10 :: v_dual_fmac_f32 v11, v17, v7
	s_delay_alu instid0(VALU_DEP_1) | instskip(NEXT) | instid1(VALU_DEP_2)
	v_fmac_f32_e32 v10, v19, v9
	v_fma_f32 v9, -v18, v8, v11
	s_delay_alu instid0(VALU_DEP_2) | instskip(NEXT) | instid1(VALU_DEP_1)
	v_fmac_f32_e32 v10, v18, v7
	v_fmac_f32_e32 v10, v17, v8
	v_mov_b32_e32 v8, v24
	s_branch .LBB50_50
.LBB50_49:                              ;   in Loop: Header=BB50_50 Depth=3
	s_or_b32 exec_lo, exec_lo, s45
	s_xor_b32 s45, s46, -1
	s_delay_alu instid0(SALU_CYCLE_1) | instskip(NEXT) | instid1(SALU_CYCLE_1)
	s_and_b32 s45, exec_lo, s45
	s_or_b32 s39, s45, s39
	s_delay_alu instid0(SALU_CYCLE_1)
	s_and_not1_b32 exec_lo, exec_lo, s39
	s_cbranch_execz .LBB50_60
.LBB50_50:                              ;   Parent Loop BB50_21 Depth=1
                                        ;     Parent Loop BB50_24 Depth=2
                                        ; =>    This Inner Loop Header: Depth=3
	s_delay_alu instid0(VALU_DEP_1)
	v_lshl_add_u32 v7, v8, 2, 0
	s_mov_b32 s45, exec_lo
                                        ; implicit-def: $sgpr46
	ds_load_b32 v11, v7
	s_waitcnt lgkmcnt(0)
	v_cmpx_ne_u32_e64 v11, v23
	s_xor_b32 s45, exec_lo, s45
	s_cbranch_execz .LBB50_58
; %bb.51:                               ;   in Loop: Header=BB50_50 Depth=3
	s_mov_b32 s47, exec_lo
                                        ; implicit-def: $sgpr46
	v_cmpx_ne_u32_e64 s16, v11
	s_xor_b32 s47, exec_lo, s47
; %bb.52:                               ;   in Loop: Header=BB50_50 Depth=3
	v_add_nc_u32_e32 v7, 1, v8
	s_mov_b32 s46, -1
	s_delay_alu instid0(VALU_DEP_1)
	v_and_b32_e32 v8, 0xff, v7
                                        ; implicit-def: $vgpr7
; %bb.53:                               ;   in Loop: Header=BB50_50 Depth=3
	s_and_not1_saveexec_b32 s47, s47
	s_cbranch_execz .LBB50_57
; %bb.54:                               ;   in Loop: Header=BB50_50 Depth=3
	v_mov_b32_e32 v11, s16
	s_mov_b32 s49, -1
	s_mov_b32 s48, exec_lo
	ds_cmpstore_rtn_b32 v11, v7, v23, v11
	s_waitcnt lgkmcnt(0)
	v_cmpx_eq_u32_e64 s16, v11
	s_cbranch_execz .LBB50_56
; %bb.55:                               ;   in Loop: Header=BB50_50 Depth=3
	v_mad_u64_u32 v[25:26], null, v8, 28, v[7:8]
	s_xor_b32 s49, exec_lo, -1
	ds_add_f32 v25, v9 offset:1040
	ds_add_f32 v25, v10 offset:1044
.LBB50_56:                              ;   in Loop: Header=BB50_50 Depth=3
	s_or_b32 exec_lo, exec_lo, s48
	s_delay_alu instid0(SALU_CYCLE_1) | instskip(SKIP_1) | instid1(SALU_CYCLE_1)
	s_and_not1_b32 s46, s46, exec_lo
	s_and_b32 s48, s49, exec_lo
	s_or_b32 s46, s46, s48
.LBB50_57:                              ;   in Loop: Header=BB50_50 Depth=3
	s_or_b32 exec_lo, exec_lo, s47
	s_delay_alu instid0(SALU_CYCLE_1)
	s_and_b32 s46, s46, exec_lo
                                        ; implicit-def: $vgpr7
.LBB50_58:                              ;   in Loop: Header=BB50_50 Depth=3
	s_and_not1_saveexec_b32 s45, s45
	s_cbranch_execz .LBB50_49
; %bb.59:                               ;   in Loop: Header=BB50_50 Depth=3
	v_mad_u64_u32 v[25:26], null, v8, 28, v[7:8]
	s_and_not1_b32 s46, s46, exec_lo
	ds_add_f32 v25, v9 offset:1040
	ds_add_f32 v25, v10 offset:1044
	s_branch .LBB50_49
.LBB50_60:                              ;   in Loop: Header=BB50_24 Depth=2
	s_or_b32 exec_lo, exec_lo, s39
	v_mul_f32_e64 v7, v6, -v19
	s_mov_b32 s39, 0
	s_delay_alu instid0(VALU_DEP_1) | instskip(NEXT) | instid1(VALU_DEP_1)
	v_fmac_f32_e32 v7, v20, v5
	v_dual_mul_f32 v6, v20, v6 :: v_dual_fmac_f32 v7, v17, v3
	s_delay_alu instid0(VALU_DEP_1) | instskip(NEXT) | instid1(VALU_DEP_2)
	v_fmac_f32_e32 v6, v19, v5
	v_fma_f32 v5, -v18, v4, v7
	s_delay_alu instid0(VALU_DEP_2) | instskip(NEXT) | instid1(VALU_DEP_1)
	v_fmac_f32_e32 v6, v18, v3
	v_fmac_f32_e32 v6, v17, v4
	s_branch .LBB50_62
.LBB50_61:                              ;   in Loop: Header=BB50_62 Depth=3
	s_or_b32 exec_lo, exec_lo, s45
	s_xor_b32 s45, s46, -1
	s_delay_alu instid0(SALU_CYCLE_1) | instskip(NEXT) | instid1(SALU_CYCLE_1)
	s_and_b32 s45, exec_lo, s45
	s_or_b32 s39, s45, s39
	s_delay_alu instid0(SALU_CYCLE_1)
	s_and_not1_b32 exec_lo, exec_lo, s39
	s_cbranch_execz .LBB50_23
.LBB50_62:                              ;   Parent Loop BB50_21 Depth=1
                                        ;     Parent Loop BB50_24 Depth=2
                                        ; =>    This Inner Loop Header: Depth=3
	v_lshl_add_u32 v3, v24, 2, 0
	s_mov_b32 s45, exec_lo
                                        ; implicit-def: $sgpr46
	ds_load_b32 v4, v3
	s_waitcnt lgkmcnt(0)
	v_cmpx_ne_u32_e64 v4, v23
	s_xor_b32 s45, exec_lo, s45
	s_cbranch_execz .LBB50_70
; %bb.63:                               ;   in Loop: Header=BB50_62 Depth=3
	s_mov_b32 s47, exec_lo
                                        ; implicit-def: $sgpr46
	v_cmpx_ne_u32_e64 s16, v4
	s_xor_b32 s47, exec_lo, s47
; %bb.64:                               ;   in Loop: Header=BB50_62 Depth=3
	v_add_nc_u32_e32 v3, 1, v24
	s_mov_b32 s46, -1
	s_delay_alu instid0(VALU_DEP_1)
	v_and_b32_e32 v24, 0xff, v3
                                        ; implicit-def: $vgpr3
; %bb.65:                               ;   in Loop: Header=BB50_62 Depth=3
	s_and_not1_saveexec_b32 s47, s47
	s_cbranch_execz .LBB50_69
; %bb.66:                               ;   in Loop: Header=BB50_62 Depth=3
	v_mov_b32_e32 v4, s16
	s_mov_b32 s49, -1
	s_mov_b32 s48, exec_lo
	ds_cmpstore_rtn_b32 v4, v3, v23, v4
	s_waitcnt lgkmcnt(0)
	v_cmpx_eq_u32_e64 s16, v4
	s_cbranch_execz .LBB50_68
; %bb.67:                               ;   in Loop: Header=BB50_62 Depth=3
	v_mad_u64_u32 v[7:8], null, v24, 28, v[3:4]
	s_xor_b32 s49, exec_lo, -1
	ds_add_f32 v7, v5 offset:1048
	ds_add_f32 v7, v6 offset:1052
.LBB50_68:                              ;   in Loop: Header=BB50_62 Depth=3
	s_or_b32 exec_lo, exec_lo, s48
	s_delay_alu instid0(SALU_CYCLE_1) | instskip(SKIP_1) | instid1(SALU_CYCLE_1)
	s_and_not1_b32 s46, s46, exec_lo
	s_and_b32 s48, s49, exec_lo
	s_or_b32 s46, s46, s48
.LBB50_69:                              ;   in Loop: Header=BB50_62 Depth=3
	s_or_b32 exec_lo, exec_lo, s47
	s_delay_alu instid0(SALU_CYCLE_1)
	s_and_b32 s46, s46, exec_lo
                                        ; implicit-def: $vgpr3
.LBB50_70:                              ;   in Loop: Header=BB50_62 Depth=3
	s_and_not1_saveexec_b32 s45, s45
	s_cbranch_execz .LBB50_61
; %bb.71:                               ;   in Loop: Header=BB50_62 Depth=3
	v_mad_u64_u32 v[7:8], null, v24, 28, v[3:4]
	s_and_not1_b32 s46, s46, exec_lo
	ds_add_f32 v7, v5 offset:1048
	ds_add_f32 v7, v6 offset:1052
	s_branch .LBB50_61
.LBB50_72:
	s_or_b32 exec_lo, exec_lo, s17
.LBB50_73:
	s_delay_alu instid0(SALU_CYCLE_1)
	s_and_not1_b32 vcc_lo, exec_lo, s44
	s_waitcnt lgkmcnt(0)
	s_barrier
	buffer_gl0_inv
	s_cbranch_vccnz .LBB50_126
; %bb.74:
	s_lshl_b64 s[12:13], s[40:41], 2
	v_subrev_nc_u32_e32 v1, s31, v0
	s_add_u32 s12, s18, s12
	s_addc_u32 s13, s19, s13
	s_mov_b32 s3, exec_lo
	s_load_b64 s[12:13], s[12:13], 0x0
	s_waitcnt lgkmcnt(0)
	v_add_nc_u32_e32 v1, s12, v1
	s_sub_i32 s1, s13, s31
	s_delay_alu instid0(VALU_DEP_1) | instid1(SALU_CYCLE_1)
	v_cmpx_gt_i32_e64 s1, v1
	s_cbranch_execz .LBB50_125
; %bb.75:
	s_cmp_eq_u32 s0, 0
	s_mov_b32 s12, 0
	s_cselect_b32 s13, 1, 2
	s_cselect_b32 s14, 2, 1
	s_branch .LBB50_77
.LBB50_76:                              ;   in Loop: Header=BB50_77 Depth=1
	s_or_b32 exec_lo, exec_lo, s15
	v_add_nc_u32_e32 v1, 0x100, v1
	s_delay_alu instid0(VALU_DEP_1) | instskip(SKIP_1) | instid1(SALU_CYCLE_1)
	v_cmp_le_i32_e32 vcc_lo, s1, v1
	s_or_b32 s12, vcc_lo, s12
	s_and_not1_b32 exec_lo, exec_lo, s12
	s_cbranch_execz .LBB50_125
.LBB50_77:                              ; =>This Loop Header: Depth=1
                                        ;     Child Loop BB50_79 Depth 2
                                        ;     Child Loop BB50_91 Depth 2
	;; [unrolled: 1-line block ×4, first 2 shown]
	v_ashrrev_i32_e32 v2, 31, v1
	v_lshlrev_b32_e32 v3, 2, v1
	s_mov_b32 s15, 0
	s_delay_alu instid0(VALU_DEP_2) | instskip(NEXT) | instid1(VALU_DEP_2)
	v_lshlrev_b64 v[5:6], 2, v[1:2]
	v_ashrrev_i32_e32 v4, 31, v3
	v_or_b32_e32 v7, s13, v3
	v_or_b32_e32 v2, s14, v3
	s_delay_alu instid0(VALU_DEP_3) | instskip(SKIP_3) | instid1(VALU_DEP_4)
	v_lshlrev_b64 v[9:10], 3, v[3:4]
	v_add_co_u32 v5, vcc_lo, s4, v5
	v_add_co_ci_u32_e32 v6, vcc_lo, s5, v6, vcc_lo
	v_ashrrev_i32_e32 v8, 31, v7
	v_add_co_u32 v4, vcc_lo, s6, v9
	global_load_b32 v11, v[5:6], off
	v_ashrrev_i32_e32 v3, 31, v2
	v_add_co_ci_u32_e32 v5, vcc_lo, s7, v10, vcc_lo
	v_lshlrev_b64 v[6:7], 3, v[7:8]
	s_delay_alu instid0(VALU_DEP_3)
	v_lshlrev_b64 v[2:3], 3, v[2:3]
	global_load_b64 v[14:15], v[4:5], off
	v_add_co_u32 v6, vcc_lo, s6, v6
	v_add_co_ci_u32_e32 v7, vcc_lo, s7, v7, vcc_lo
	v_add_co_u32 v8, vcc_lo, s6, v2
	v_add_co_ci_u32_e32 v9, vcc_lo, s7, v3, vcc_lo
	s_clause 0x2
	global_load_b64 v[2:3], v[4:5], off offset:24
	global_load_b64 v[6:7], v[6:7], off
	global_load_b64 v[4:5], v[8:9], off
	s_waitcnt vmcnt(4)
	v_subrev_nc_u32_e32 v9, s31, v11
	s_delay_alu instid0(VALU_DEP_1) | instskip(SKIP_3) | instid1(VALU_DEP_2)
	v_mul_lo_u32 v8, 0x89, v9
	s_waitcnt vmcnt(3)
	v_mul_f32_e64 v11, v15, -s42
	v_mul_f32_e32 v13, s33, v15
	v_dual_fmac_f32 v11, s33, v14 :: v_dual_and_b32 v10, 0xff, v8
	s_delay_alu instid0(VALU_DEP_1)
	v_dual_fmac_f32 v13, s42, v14 :: v_dual_mov_b32 v14, v10
	s_branch .LBB50_79
.LBB50_78:                              ;   in Loop: Header=BB50_79 Depth=2
	s_or_b32 exec_lo, exec_lo, s17
	s_xor_b32 s17, s18, -1
	s_delay_alu instid0(SALU_CYCLE_1) | instskip(NEXT) | instid1(SALU_CYCLE_1)
	s_and_b32 s17, exec_lo, s17
	s_or_b32 s15, s17, s15
	s_delay_alu instid0(SALU_CYCLE_1)
	s_and_not1_b32 exec_lo, exec_lo, s15
	s_cbranch_execz .LBB50_89
.LBB50_79:                              ;   Parent Loop BB50_77 Depth=1
                                        ; =>  This Inner Loop Header: Depth=2
	s_delay_alu instid0(VALU_DEP_1)
	v_lshl_add_u32 v8, v14, 2, 0
	s_mov_b32 s17, exec_lo
                                        ; implicit-def: $sgpr18
	ds_load_b32 v15, v8
	s_waitcnt lgkmcnt(0)
	v_cmpx_ne_u32_e64 v15, v9
	s_xor_b32 s17, exec_lo, s17
	s_cbranch_execz .LBB50_87
; %bb.80:                               ;   in Loop: Header=BB50_79 Depth=2
	s_mov_b32 s19, exec_lo
                                        ; implicit-def: $sgpr18
	v_cmpx_ne_u32_e64 s16, v15
	s_xor_b32 s19, exec_lo, s19
; %bb.81:                               ;   in Loop: Header=BB50_79 Depth=2
	v_add_nc_u32_e32 v8, 1, v14
	s_mov_b32 s18, -1
	s_delay_alu instid0(VALU_DEP_1)
	v_and_b32_e32 v14, 0xff, v8
                                        ; implicit-def: $vgpr8
; %bb.82:                               ;   in Loop: Header=BB50_79 Depth=2
	s_and_not1_saveexec_b32 s19, s19
	s_cbranch_execz .LBB50_86
; %bb.83:                               ;   in Loop: Header=BB50_79 Depth=2
	v_mov_b32_e32 v15, s16
	s_mov_b32 s21, -1
	s_mov_b32 s20, exec_lo
	ds_cmpstore_rtn_b32 v15, v8, v9, v15
	s_waitcnt lgkmcnt(0)
	v_cmpx_eq_u32_e64 s16, v15
	s_cbranch_execz .LBB50_85
; %bb.84:                               ;   in Loop: Header=BB50_79 Depth=2
	v_mad_u64_u32 v[15:16], null, v14, 28, v[8:9]
	s_xor_b32 s21, exec_lo, -1
	ds_add_f32 v15, v11 offset:1024
	ds_add_f32 v15, v13 offset:1028
.LBB50_85:                              ;   in Loop: Header=BB50_79 Depth=2
	s_or_b32 exec_lo, exec_lo, s20
	s_delay_alu instid0(SALU_CYCLE_1) | instskip(SKIP_1) | instid1(SALU_CYCLE_1)
	s_and_not1_b32 s18, s18, exec_lo
	s_and_b32 s20, s21, exec_lo
	s_or_b32 s18, s18, s20
.LBB50_86:                              ;   in Loop: Header=BB50_79 Depth=2
	s_or_b32 exec_lo, exec_lo, s19
	s_delay_alu instid0(SALU_CYCLE_1)
	s_and_b32 s18, s18, exec_lo
                                        ; implicit-def: $vgpr8
.LBB50_87:                              ;   in Loop: Header=BB50_79 Depth=2
	s_and_not1_saveexec_b32 s17, s17
	s_cbranch_execz .LBB50_78
; %bb.88:                               ;   in Loop: Header=BB50_79 Depth=2
	v_mad_u64_u32 v[15:16], null, v14, 28, v[8:9]
	s_and_not1_b32 s18, s18, exec_lo
	ds_add_f32 v15, v11 offset:1024
	ds_add_f32 v15, v13 offset:1028
	s_branch .LBB50_78
.LBB50_89:                              ;   in Loop: Header=BB50_77 Depth=1
	s_or_b32 exec_lo, exec_lo, s15
	s_waitcnt vmcnt(1)
	v_mul_f32_e64 v8, v7, -s42
	v_mul_f32_e32 v7, s33, v7
	v_mov_b32_e32 v11, v10
	s_mov_b32 s15, 0
	s_delay_alu instid0(VALU_DEP_3) | instskip(NEXT) | instid1(VALU_DEP_3)
	v_fmac_f32_e32 v8, s33, v6
	v_fmac_f32_e32 v7, s42, v6
	s_branch .LBB50_91
.LBB50_90:                              ;   in Loop: Header=BB50_91 Depth=2
	s_or_b32 exec_lo, exec_lo, s17
	s_xor_b32 s17, s18, -1
	s_delay_alu instid0(SALU_CYCLE_1) | instskip(NEXT) | instid1(SALU_CYCLE_1)
	s_and_b32 s17, exec_lo, s17
	s_or_b32 s15, s17, s15
	s_delay_alu instid0(SALU_CYCLE_1)
	s_and_not1_b32 exec_lo, exec_lo, s15
	s_cbranch_execz .LBB50_101
.LBB50_91:                              ;   Parent Loop BB50_77 Depth=1
                                        ; =>  This Inner Loop Header: Depth=2
	v_lshl_add_u32 v6, v11, 2, 0
	s_mov_b32 s17, exec_lo
                                        ; implicit-def: $sgpr18
	ds_load_b32 v13, v6
	s_waitcnt lgkmcnt(0)
	v_cmpx_ne_u32_e64 v13, v9
	s_xor_b32 s17, exec_lo, s17
	s_cbranch_execz .LBB50_99
; %bb.92:                               ;   in Loop: Header=BB50_91 Depth=2
	s_mov_b32 s19, exec_lo
                                        ; implicit-def: $sgpr18
	v_cmpx_ne_u32_e64 s16, v13
	s_xor_b32 s19, exec_lo, s19
; %bb.93:                               ;   in Loop: Header=BB50_91 Depth=2
	v_add_nc_u32_e32 v6, 1, v11
	s_mov_b32 s18, -1
	s_delay_alu instid0(VALU_DEP_1)
	v_and_b32_e32 v11, 0xff, v6
                                        ; implicit-def: $vgpr6
; %bb.94:                               ;   in Loop: Header=BB50_91 Depth=2
	s_and_not1_saveexec_b32 s19, s19
	s_cbranch_execz .LBB50_98
; %bb.95:                               ;   in Loop: Header=BB50_91 Depth=2
	v_mov_b32_e32 v13, s16
	s_mov_b32 s21, -1
	s_mov_b32 s20, exec_lo
	ds_cmpstore_rtn_b32 v13, v6, v9, v13
	s_waitcnt lgkmcnt(0)
	v_cmpx_eq_u32_e64 s16, v13
	s_cbranch_execz .LBB50_97
; %bb.96:                               ;   in Loop: Header=BB50_91 Depth=2
	v_mad_u64_u32 v[13:14], null, v11, 28, v[6:7]
	s_xor_b32 s21, exec_lo, -1
	ds_add_f32 v13, v8 offset:1032
	ds_add_f32 v13, v7 offset:1036
.LBB50_97:                              ;   in Loop: Header=BB50_91 Depth=2
	s_or_b32 exec_lo, exec_lo, s20
	s_delay_alu instid0(SALU_CYCLE_1) | instskip(SKIP_1) | instid1(SALU_CYCLE_1)
	s_and_not1_b32 s18, s18, exec_lo
	s_and_b32 s20, s21, exec_lo
	s_or_b32 s18, s18, s20
.LBB50_98:                              ;   in Loop: Header=BB50_91 Depth=2
	s_or_b32 exec_lo, exec_lo, s19
	s_delay_alu instid0(SALU_CYCLE_1)
	s_and_b32 s18, s18, exec_lo
                                        ; implicit-def: $vgpr6
.LBB50_99:                              ;   in Loop: Header=BB50_91 Depth=2
	s_and_not1_saveexec_b32 s17, s17
	s_cbranch_execz .LBB50_90
; %bb.100:                              ;   in Loop: Header=BB50_91 Depth=2
	v_mad_u64_u32 v[13:14], null, v11, 28, v[6:7]
	s_and_not1_b32 s18, s18, exec_lo
	ds_add_f32 v13, v8 offset:1032
	ds_add_f32 v13, v7 offset:1036
	s_branch .LBB50_90
.LBB50_101:                             ;   in Loop: Header=BB50_77 Depth=1
	s_or_b32 exec_lo, exec_lo, s15
	s_waitcnt vmcnt(0)
	v_mul_f32_e64 v6, v5, -s42
	v_mul_f32_e32 v5, s33, v5
	v_mov_b32_e32 v7, v10
	s_mov_b32 s15, 0
	s_delay_alu instid0(VALU_DEP_3) | instskip(NEXT) | instid1(VALU_DEP_3)
	v_fmac_f32_e32 v6, s33, v4
	v_fmac_f32_e32 v5, s42, v4
	s_branch .LBB50_103
.LBB50_102:                             ;   in Loop: Header=BB50_103 Depth=2
	s_or_b32 exec_lo, exec_lo, s17
	s_xor_b32 s17, s18, -1
	s_delay_alu instid0(SALU_CYCLE_1) | instskip(NEXT) | instid1(SALU_CYCLE_1)
	s_and_b32 s17, exec_lo, s17
	s_or_b32 s15, s17, s15
	s_delay_alu instid0(SALU_CYCLE_1)
	s_and_not1_b32 exec_lo, exec_lo, s15
	s_cbranch_execz .LBB50_113
.LBB50_103:                             ;   Parent Loop BB50_77 Depth=1
                                        ; =>  This Inner Loop Header: Depth=2
	v_lshl_add_u32 v4, v7, 2, 0
	s_mov_b32 s17, exec_lo
                                        ; implicit-def: $sgpr18
	ds_load_b32 v8, v4
	s_waitcnt lgkmcnt(0)
	v_cmpx_ne_u32_e64 v8, v9
	s_xor_b32 s17, exec_lo, s17
	s_cbranch_execz .LBB50_111
; %bb.104:                              ;   in Loop: Header=BB50_103 Depth=2
	s_mov_b32 s19, exec_lo
                                        ; implicit-def: $sgpr18
	v_cmpx_ne_u32_e64 s16, v8
	s_xor_b32 s19, exec_lo, s19
; %bb.105:                              ;   in Loop: Header=BB50_103 Depth=2
	v_add_nc_u32_e32 v4, 1, v7
	s_mov_b32 s18, -1
	s_delay_alu instid0(VALU_DEP_1)
	v_and_b32_e32 v7, 0xff, v4
                                        ; implicit-def: $vgpr4
; %bb.106:                              ;   in Loop: Header=BB50_103 Depth=2
	s_and_not1_saveexec_b32 s19, s19
	s_cbranch_execz .LBB50_110
; %bb.107:                              ;   in Loop: Header=BB50_103 Depth=2
	v_mov_b32_e32 v8, s16
	s_mov_b32 s21, -1
	s_mov_b32 s20, exec_lo
	ds_cmpstore_rtn_b32 v8, v4, v9, v8
	s_waitcnt lgkmcnt(0)
	v_cmpx_eq_u32_e64 s16, v8
	s_cbranch_execz .LBB50_109
; %bb.108:                              ;   in Loop: Header=BB50_103 Depth=2
	v_mad_u64_u32 v[13:14], null, v7, 28, v[4:5]
	s_xor_b32 s21, exec_lo, -1
	ds_add_f32 v13, v6 offset:1040
	ds_add_f32 v13, v5 offset:1044
.LBB50_109:                             ;   in Loop: Header=BB50_103 Depth=2
	s_or_b32 exec_lo, exec_lo, s20
	s_delay_alu instid0(SALU_CYCLE_1) | instskip(SKIP_1) | instid1(SALU_CYCLE_1)
	s_and_not1_b32 s18, s18, exec_lo
	s_and_b32 s20, s21, exec_lo
	s_or_b32 s18, s18, s20
.LBB50_110:                             ;   in Loop: Header=BB50_103 Depth=2
	s_or_b32 exec_lo, exec_lo, s19
	s_delay_alu instid0(SALU_CYCLE_1)
	s_and_b32 s18, s18, exec_lo
                                        ; implicit-def: $vgpr4
.LBB50_111:                             ;   in Loop: Header=BB50_103 Depth=2
	s_and_not1_saveexec_b32 s17, s17
	s_cbranch_execz .LBB50_102
; %bb.112:                              ;   in Loop: Header=BB50_103 Depth=2
	v_mad_u64_u32 v[13:14], null, v7, 28, v[4:5]
	s_and_not1_b32 s18, s18, exec_lo
	ds_add_f32 v13, v6 offset:1040
	ds_add_f32 v13, v5 offset:1044
	s_branch .LBB50_102
.LBB50_113:                             ;   in Loop: Header=BB50_77 Depth=1
	s_or_b32 exec_lo, exec_lo, s15
	v_mul_f32_e64 v4, v3, -s42
	v_mul_f32_e32 v3, s33, v3
	s_mov_b32 s15, 0
	s_delay_alu instid0(VALU_DEP_2) | instskip(NEXT) | instid1(VALU_DEP_2)
	v_fmac_f32_e32 v4, s33, v2
	v_fmac_f32_e32 v3, s42, v2
	s_branch .LBB50_115
.LBB50_114:                             ;   in Loop: Header=BB50_115 Depth=2
	s_or_b32 exec_lo, exec_lo, s17
	s_xor_b32 s17, s18, -1
	s_delay_alu instid0(SALU_CYCLE_1) | instskip(NEXT) | instid1(SALU_CYCLE_1)
	s_and_b32 s17, exec_lo, s17
	s_or_b32 s15, s17, s15
	s_delay_alu instid0(SALU_CYCLE_1)
	s_and_not1_b32 exec_lo, exec_lo, s15
	s_cbranch_execz .LBB50_76
.LBB50_115:                             ;   Parent Loop BB50_77 Depth=1
                                        ; =>  This Inner Loop Header: Depth=2
	v_lshl_add_u32 v2, v10, 2, 0
	s_mov_b32 s17, exec_lo
                                        ; implicit-def: $sgpr18
	ds_load_b32 v5, v2
	s_waitcnt lgkmcnt(0)
	v_cmpx_ne_u32_e64 v5, v9
	s_xor_b32 s17, exec_lo, s17
	s_cbranch_execz .LBB50_123
; %bb.116:                              ;   in Loop: Header=BB50_115 Depth=2
	s_mov_b32 s19, exec_lo
                                        ; implicit-def: $sgpr18
	v_cmpx_ne_u32_e64 s16, v5
	s_xor_b32 s19, exec_lo, s19
; %bb.117:                              ;   in Loop: Header=BB50_115 Depth=2
	v_add_nc_u32_e32 v2, 1, v10
	s_mov_b32 s18, -1
	s_delay_alu instid0(VALU_DEP_1)
	v_and_b32_e32 v10, 0xff, v2
                                        ; implicit-def: $vgpr2
; %bb.118:                              ;   in Loop: Header=BB50_115 Depth=2
	s_and_not1_saveexec_b32 s19, s19
	s_cbranch_execz .LBB50_122
; %bb.119:                              ;   in Loop: Header=BB50_115 Depth=2
	v_mov_b32_e32 v5, s16
	s_mov_b32 s21, -1
	s_mov_b32 s20, exec_lo
	ds_cmpstore_rtn_b32 v5, v2, v9, v5
	s_waitcnt lgkmcnt(0)
	v_cmpx_eq_u32_e64 s16, v5
	s_cbranch_execz .LBB50_121
; %bb.120:                              ;   in Loop: Header=BB50_115 Depth=2
	v_mad_u64_u32 v[5:6], null, v10, 28, v[2:3]
	s_xor_b32 s21, exec_lo, -1
	ds_add_f32 v5, v4 offset:1048
	ds_add_f32 v5, v3 offset:1052
.LBB50_121:                             ;   in Loop: Header=BB50_115 Depth=2
	s_or_b32 exec_lo, exec_lo, s20
	s_delay_alu instid0(SALU_CYCLE_1) | instskip(SKIP_1) | instid1(SALU_CYCLE_1)
	s_and_not1_b32 s18, s18, exec_lo
	s_and_b32 s20, s21, exec_lo
	s_or_b32 s18, s18, s20
.LBB50_122:                             ;   in Loop: Header=BB50_115 Depth=2
	s_or_b32 exec_lo, exec_lo, s19
	s_delay_alu instid0(SALU_CYCLE_1)
	s_and_b32 s18, s18, exec_lo
                                        ; implicit-def: $vgpr2
.LBB50_123:                             ;   in Loop: Header=BB50_115 Depth=2
	s_and_not1_saveexec_b32 s17, s17
	s_cbranch_execz .LBB50_114
; %bb.124:                              ;   in Loop: Header=BB50_115 Depth=2
	v_mad_u64_u32 v[5:6], null, v10, 28, v[2:3]
	s_and_not1_b32 s18, s18, exec_lo
	ds_add_f32 v5, v4 offset:1048
	ds_add_f32 v5, v3 offset:1052
	s_branch .LBB50_114
.LBB50_125:
	s_or_b32 exec_lo, exec_lo, s3
.LBB50_126:
	s_waitcnt lgkmcnt(0)
	s_barrier
	buffer_gl0_inv
	s_and_saveexec_b32 s1, s2
	s_cbranch_execz .LBB50_131
; %bb.127:
	ds_load_b32 v3, v12
	s_mov_b32 s1, 0
	s_waitcnt lgkmcnt(0)
	v_cmp_gt_i32_e32 vcc_lo, s16, v3
	s_and_b32 exec_lo, exec_lo, vcc_lo
	s_cbranch_execz .LBB50_131
; %bb.128:
	s_lshl_b64 s[2:3], s[40:41], 2
	s_delay_alu instid0(SALU_CYCLE_1) | instskip(SKIP_4) | instid1(SALU_CYCLE_1)
	s_add_u32 s2, s8, s2
	s_addc_u32 s3, s9, s3
	s_load_b32 s2, s[2:3], 0x0
	s_waitcnt lgkmcnt(0)
	s_sub_i32 s2, s2, s30
	v_mov_b32_e32 v1, s2
.LBB50_129:                             ; =>This Inner Loop Header: Depth=1
	s_add_i32 s2, s1, 0
	s_add_i32 s1, s1, 64
	v_mov_b32_e32 v2, s2
	s_cmpk_lg_i32 s1, 0x400
	ds_load_2addr_b32 v[4:5], v2 offset1:1
	ds_load_2addr_b32 v[6:7], v2 offset0:2 offset1:3
	ds_load_2addr_b32 v[8:9], v2 offset0:4 offset1:5
	;; [unrolled: 1-line block ×7, first 2 shown]
	s_waitcnt lgkmcnt(7)
	v_cmp_gt_i32_e32 vcc_lo, v3, v4
	v_cndmask_b32_e64 v2, 0, 1, vcc_lo
	s_waitcnt lgkmcnt(6)
	v_cmp_gt_i32_e32 vcc_lo, v3, v6
	v_cndmask_b32_e64 v4, 0, 1, vcc_lo
	v_cmp_gt_i32_e32 vcc_lo, v3, v5
	v_add_co_ci_u32_e32 v1, vcc_lo, v1, v2, vcc_lo
	s_waitcnt lgkmcnt(5)
	v_cmp_gt_i32_e32 vcc_lo, v3, v8
	v_cndmask_b32_e64 v2, 0, 1, vcc_lo
	v_cmp_gt_i32_e32 vcc_lo, v3, v7
	v_add_co_ci_u32_e32 v1, vcc_lo, v1, v4, vcc_lo
	;; [unrolled: 5-line block ×7, first 2 shown]
	v_cmp_gt_i32_e32 vcc_lo, v3, v19
	s_delay_alu instid0(VALU_DEP_2)
	v_add_co_ci_u32_e32 v1, vcc_lo, v1, v4, vcc_lo
	s_cbranch_scc1 .LBB50_129
; %bb.130:
	v_lshlrev_b32_e32 v2, 2, v0
	s_cmp_eq_u32 s0, 0
	v_lshlrev_b32_e32 v0, 5, v0
	s_cselect_b32 s0, 2, 1
	s_cselect_b32 s1, 1, 2
	v_or_b32_e32 v4, s0, v2
	v_or_b32_e32 v2, s1, v2
	v_add3_u32 v6, 0, v0, 0x400
	v_add3_u32 v0, 0, 0x400, v0
	v_lshlrev_b32_e32 v12, 2, v1
	v_lshlrev_b32_e32 v4, 3, v4
	;; [unrolled: 1-line block ×3, first 2 shown]
	v_ashrrev_i32_e32 v2, 31, v1
	v_add_nc_u32_e32 v14, s30, v3
	v_ashrrev_i32_e32 v13, 31, v12
	v_add3_u32 v7, 0, v4, 0x400
	v_add3_u32 v10, 0, v5, 0x400
	ds_load_2addr_b32 v[4:5], v6 offset1:1
	ds_load_2addr_b32 v[8:9], v7 offset1:1
	;; [unrolled: 1-line block ×3, first 2 shown]
	ds_load_2addr_b32 v[10:11], v0 offset0:6 offset1:7
	v_lshlrev_b64 v[0:1], 2, v[1:2]
	v_lshlrev_b64 v[2:3], 3, v[12:13]
	s_delay_alu instid0(VALU_DEP_2) | instskip(NEXT) | instid1(VALU_DEP_3)
	v_add_co_u32 v0, vcc_lo, s10, v0
	v_add_co_ci_u32_e32 v1, vcc_lo, s11, v1, vcc_lo
	s_delay_alu instid0(VALU_DEP_3) | instskip(NEXT) | instid1(VALU_DEP_4)
	v_add_co_u32 v2, vcc_lo, s34, v2
	v_add_co_ci_u32_e32 v3, vcc_lo, s35, v3, vcc_lo
	global_store_b32 v[0:1], v14, off
	s_waitcnt lgkmcnt(1)
	global_store_b128 v[2:3], v[4:7], off
	s_waitcnt lgkmcnt(0)
	global_store_b128 v[2:3], v[8:11], off offset:16
.LBB50_131:
	s_nop 0
	s_sendmsg sendmsg(MSG_DEALLOC_VGPRS)
	s_endpgm
	.section	.rodata,"a",@progbits
	.p2align	6, 0x0
	.amdhsa_kernel _ZN9rocsparseL30bsrgemm_fill_block_per_row_2x2ILj256ELj16ELj256ELj137Eii21rocsparse_complex_numIfEEEv20rocsparse_direction_T4_S4_PKS4_S6_NS_24const_host_device_scalarIT5_EEPKT3_S6_PKS8_SC_S6_SE_S9_SC_S6_SE_SC_PS4_PS8_21rocsparse_index_base_SH_SH_SH_bbb
		.amdhsa_group_segment_fixed_size 0
		.amdhsa_private_segment_fixed_size 0
		.amdhsa_kernarg_size 164
		.amdhsa_user_sgpr_count 15
		.amdhsa_user_sgpr_dispatch_ptr 0
		.amdhsa_user_sgpr_queue_ptr 0
		.amdhsa_user_sgpr_kernarg_segment_ptr 1
		.amdhsa_user_sgpr_dispatch_id 0
		.amdhsa_user_sgpr_private_segment_size 0
		.amdhsa_wavefront_size32 1
		.amdhsa_uses_dynamic_stack 0
		.amdhsa_enable_private_segment 0
		.amdhsa_system_sgpr_workgroup_id_x 1
		.amdhsa_system_sgpr_workgroup_id_y 0
		.amdhsa_system_sgpr_workgroup_id_z 0
		.amdhsa_system_sgpr_workgroup_info 0
		.amdhsa_system_vgpr_workitem_id 0
		.amdhsa_next_free_vgpr 30
		.amdhsa_next_free_sgpr 50
		.amdhsa_reserve_vcc 1
		.amdhsa_float_round_mode_32 0
		.amdhsa_float_round_mode_16_64 0
		.amdhsa_float_denorm_mode_32 3
		.amdhsa_float_denorm_mode_16_64 3
		.amdhsa_dx10_clamp 1
		.amdhsa_ieee_mode 1
		.amdhsa_fp16_overflow 0
		.amdhsa_workgroup_processor_mode 1
		.amdhsa_memory_ordered 1
		.amdhsa_forward_progress 0
		.amdhsa_shared_vgpr_count 0
		.amdhsa_exception_fp_ieee_invalid_op 0
		.amdhsa_exception_fp_denorm_src 0
		.amdhsa_exception_fp_ieee_div_zero 0
		.amdhsa_exception_fp_ieee_overflow 0
		.amdhsa_exception_fp_ieee_underflow 0
		.amdhsa_exception_fp_ieee_inexact 0
		.amdhsa_exception_int_div_zero 0
	.end_amdhsa_kernel
	.section	.text._ZN9rocsparseL30bsrgemm_fill_block_per_row_2x2ILj256ELj16ELj256ELj137Eii21rocsparse_complex_numIfEEEv20rocsparse_direction_T4_S4_PKS4_S6_NS_24const_host_device_scalarIT5_EEPKT3_S6_PKS8_SC_S6_SE_S9_SC_S6_SE_SC_PS4_PS8_21rocsparse_index_base_SH_SH_SH_bbb,"axG",@progbits,_ZN9rocsparseL30bsrgemm_fill_block_per_row_2x2ILj256ELj16ELj256ELj137Eii21rocsparse_complex_numIfEEEv20rocsparse_direction_T4_S4_PKS4_S6_NS_24const_host_device_scalarIT5_EEPKT3_S6_PKS8_SC_S6_SE_S9_SC_S6_SE_SC_PS4_PS8_21rocsparse_index_base_SH_SH_SH_bbb,comdat
.Lfunc_end50:
	.size	_ZN9rocsparseL30bsrgemm_fill_block_per_row_2x2ILj256ELj16ELj256ELj137Eii21rocsparse_complex_numIfEEEv20rocsparse_direction_T4_S4_PKS4_S6_NS_24const_host_device_scalarIT5_EEPKT3_S6_PKS8_SC_S6_SE_S9_SC_S6_SE_SC_PS4_PS8_21rocsparse_index_base_SH_SH_SH_bbb, .Lfunc_end50-_ZN9rocsparseL30bsrgemm_fill_block_per_row_2x2ILj256ELj16ELj256ELj137Eii21rocsparse_complex_numIfEEEv20rocsparse_direction_T4_S4_PKS4_S6_NS_24const_host_device_scalarIT5_EEPKT3_S6_PKS8_SC_S6_SE_S9_SC_S6_SE_SC_PS4_PS8_21rocsparse_index_base_SH_SH_SH_bbb
                                        ; -- End function
	.section	.AMDGPU.csdata,"",@progbits
; Kernel info:
; codeLenInByte = 4604
; NumSgprs: 52
; NumVgprs: 30
; ScratchSize: 0
; MemoryBound: 0
; FloatMode: 240
; IeeeMode: 1
; LDSByteSize: 0 bytes/workgroup (compile time only)
; SGPRBlocks: 6
; VGPRBlocks: 3
; NumSGPRsForWavesPerEU: 52
; NumVGPRsForWavesPerEU: 30
; Occupancy: 16
; WaveLimiterHint : 1
; COMPUTE_PGM_RSRC2:SCRATCH_EN: 0
; COMPUTE_PGM_RSRC2:USER_SGPR: 15
; COMPUTE_PGM_RSRC2:TRAP_HANDLER: 0
; COMPUTE_PGM_RSRC2:TGID_X_EN: 1
; COMPUTE_PGM_RSRC2:TGID_Y_EN: 0
; COMPUTE_PGM_RSRC2:TGID_Z_EN: 0
; COMPUTE_PGM_RSRC2:TIDIG_COMP_CNT: 0
	.section	.text._ZN9rocsparseL30bsrgemm_fill_block_per_row_2x2ILj256ELj16ELj512ELj137Eii21rocsparse_complex_numIfEEEv20rocsparse_direction_T4_S4_PKS4_S6_NS_24const_host_device_scalarIT5_EEPKT3_S6_PKS8_SC_S6_SE_S9_SC_S6_SE_SC_PS4_PS8_21rocsparse_index_base_SH_SH_SH_bbb,"axG",@progbits,_ZN9rocsparseL30bsrgemm_fill_block_per_row_2x2ILj256ELj16ELj512ELj137Eii21rocsparse_complex_numIfEEEv20rocsparse_direction_T4_S4_PKS4_S6_NS_24const_host_device_scalarIT5_EEPKT3_S6_PKS8_SC_S6_SE_S9_SC_S6_SE_SC_PS4_PS8_21rocsparse_index_base_SH_SH_SH_bbb,comdat
	.globl	_ZN9rocsparseL30bsrgemm_fill_block_per_row_2x2ILj256ELj16ELj512ELj137Eii21rocsparse_complex_numIfEEEv20rocsparse_direction_T4_S4_PKS4_S6_NS_24const_host_device_scalarIT5_EEPKT3_S6_PKS8_SC_S6_SE_S9_SC_S6_SE_SC_PS4_PS8_21rocsparse_index_base_SH_SH_SH_bbb ; -- Begin function _ZN9rocsparseL30bsrgemm_fill_block_per_row_2x2ILj256ELj16ELj512ELj137Eii21rocsparse_complex_numIfEEEv20rocsparse_direction_T4_S4_PKS4_S6_NS_24const_host_device_scalarIT5_EEPKT3_S6_PKS8_SC_S6_SE_S9_SC_S6_SE_SC_PS4_PS8_21rocsparse_index_base_SH_SH_SH_bbb
	.p2align	8
	.type	_ZN9rocsparseL30bsrgemm_fill_block_per_row_2x2ILj256ELj16ELj512ELj137Eii21rocsparse_complex_numIfEEEv20rocsparse_direction_T4_S4_PKS4_S6_NS_24const_host_device_scalarIT5_EEPKT3_S6_PKS8_SC_S6_SE_S9_SC_S6_SE_SC_PS4_PS8_21rocsparse_index_base_SH_SH_SH_bbb,@function
_ZN9rocsparseL30bsrgemm_fill_block_per_row_2x2ILj256ELj16ELj512ELj137Eii21rocsparse_complex_numIfEEEv20rocsparse_direction_T4_S4_PKS4_S6_NS_24const_host_device_scalarIT5_EEPKT3_S6_PKS8_SC_S6_SE_S9_SC_S6_SE_SC_PS4_PS8_21rocsparse_index_base_SH_SH_SH_bbb: ; @_ZN9rocsparseL30bsrgemm_fill_block_per_row_2x2ILj256ELj16ELj512ELj137Eii21rocsparse_complex_numIfEEEv20rocsparse_direction_T4_S4_PKS4_S6_NS_24const_host_device_scalarIT5_EEPKT3_S6_PKS8_SC_S6_SE_S9_SC_S6_SE_SC_PS4_PS8_21rocsparse_index_base_SH_SH_SH_bbb
; %bb.0:
	s_mov_b32 s40, s15
	s_clause 0x6
	s_load_b32 s33, s[0:1], 0xa0
	s_load_b256 s[4:11], s[0:1], 0x68
	s_load_b256 s[12:19], s[0:1], 0x48
	s_load_b128 s[36:39], s[0:1], 0x10
	s_load_b256 s[20:27], s[0:1], 0x28
	s_load_b64 s[34:35], s[0:1], 0x88
	s_load_b128 s[28:31], s[0:1], 0x90
	s_mov_b32 s3, 0
	s_mov_b32 s43, 0
	s_waitcnt lgkmcnt(0)
	s_bitcmp1_b32 s33, 0
	s_cselect_b32 s41, -1, 0
	s_bitcmp1_b32 s33, 16
	s_cselect_b32 s2, -1, 0
	s_delay_alu instid0(SALU_CYCLE_1) | instskip(SKIP_2) | instid1(VALU_DEP_1)
	s_xor_b32 s42, s2, -1
	s_bitcmp0_b32 s33, 0
	v_cndmask_b32_e64 v1, 0, 1, s42
	v_cmp_ne_u32_e32 vcc_lo, 1, v1
	s_cbranch_scc1 .LBB51_5
; %bb.1:
	s_load_b64 s[2:3], s[0:1], 0x20
	s_and_b32 vcc_lo, exec_lo, vcc_lo
	s_waitcnt lgkmcnt(0)
	s_mov_b32 s43, s2
	s_cbranch_vccnz .LBB51_3
; %bb.2:
	s_load_b32 s43, s[2:3], 0x0
.LBB51_3:
	s_and_not1_b32 vcc_lo, exec_lo, s42
	s_cbranch_vccnz .LBB51_5
; %bb.4:
	s_load_b32 s3, s[2:3], 0x4
.LBB51_5:
	s_bitcmp1_b32 s33, 8
	s_mov_b32 s42, 0
	s_cselect_b32 s44, -1, 0
	s_bfe_u32 s2, s33, 0x10008
	s_mov_b32 s33, 0
	s_cmp_eq_u32 s2, 0
	s_cbranch_scc1 .LBB51_11
; %bb.6:
	v_cmp_ne_u32_e32 vcc_lo, 1, v1
	s_mov_b32 s33, s16
	s_cbranch_vccnz .LBB51_8
; %bb.7:
	s_load_b32 s33, s[16:17], 0x0
.LBB51_8:
	v_cmp_ne_u32_e32 vcc_lo, 1, v1
	s_cbranch_vccnz .LBB51_10
; %bb.9:
	s_load_b32 s17, s[16:17], 0x4
.LBB51_10:
	s_waitcnt lgkmcnt(0)
	s_mov_b32 s42, s17
.LBB51_11:
	s_load_b32 s16, s[0:1], 0x8
	v_cmp_gt_u32_e64 s2, 0x200, v0
	v_or_b32_e32 v1, 0xffffff00, v0
	s_mov_b32 s17, exec_lo
	v_cmpx_lt_u32_e32 0x1ff, v0
	s_xor_b32 s17, exec_lo, s17
; %bb.12:
	v_or_b32_e32 v1, 0xffffff00, v0
; %bb.13:
	s_and_not1_saveexec_b32 s17, s17
	s_cbranch_execz .LBB51_17
; %bb.14:
	v_lshl_add_u32 v2, v0, 2, 0
	s_waitcnt lgkmcnt(0)
	v_dual_mov_b32 v3, s16 :: v_dual_mov_b32 v4, v1
	s_mov_b32 s45, 0
.LBB51_15:                              ; =>This Inner Loop Header: Depth=1
	s_delay_alu instid0(VALU_DEP_1) | instskip(NEXT) | instid1(VALU_DEP_1)
	v_add_co_u32 v4, s46, 0x100, v4
	s_xor_b32 s46, s46, -1
	ds_store_b32 v2, v3
	v_add_nc_u32_e32 v2, 0x400, v2
	s_and_b32 s46, exec_lo, s46
	s_delay_alu instid0(SALU_CYCLE_1) | instskip(NEXT) | instid1(SALU_CYCLE_1)
	s_or_b32 s45, s46, s45
	s_and_not1_b32 exec_lo, exec_lo, s45
	s_cbranch_execnz .LBB51_15
; %bb.16:
	s_or_b32 exec_lo, exec_lo, s45
.LBB51_17:
	s_delay_alu instid0(SALU_CYCLE_1) | instskip(SKIP_2) | instid1(VALU_DEP_1)
	s_or_b32 exec_lo, exec_lo, s17
	v_dual_mov_b32 v3, 0 :: v_dual_lshlrev_b32 v2, 3, v0
	s_mov_b32 s17, 0
	v_add3_u32 v2, v2, 0, 0x800
.LBB51_18:                              ; =>This Inner Loop Header: Depth=1
	v_add_nc_u32_e32 v1, 0x100, v1
	ds_store_2addr_b32 v2, v3, v3 offset1:1
	v_add_nc_u32_e32 v2, 0x800, v2
	v_cmp_lt_u32_e32 vcc_lo, 0x6ff, v1
	s_or_b32 s17, vcc_lo, s17
	s_delay_alu instid0(SALU_CYCLE_1)
	s_and_not1_b32 exec_lo, exec_lo, s17
	s_cbranch_execnz .LBB51_18
; %bb.19:
	s_or_b32 exec_lo, exec_lo, s17
	s_cmp_lg_u64 s[38:39], 0
	s_waitcnt lgkmcnt(0)
	s_barrier
	buffer_gl0_inv
	s_cbranch_scc0 .LBB51_21
; %bb.20:
	s_load_b32 s17, s[36:37], 0x0
	s_mov_b32 s37, 0
	s_waitcnt lgkmcnt(0)
	s_add_i32 s36, s17, s40
	s_delay_alu instid0(SALU_CYCLE_1) | instskip(NEXT) | instid1(SALU_CYCLE_1)
	s_lshl_b64 s[36:37], s[36:37], 2
	s_add_u32 s36, s38, s36
	s_addc_u32 s37, s39, s37
	s_load_b32 s40, s[36:37], 0x0
.LBB51_21:
	s_load_b32 s0, s[0:1], 0x0
	s_and_not1_b32 vcc_lo, exec_lo, s41
	s_waitcnt lgkmcnt(0)
	s_ashr_i32 s41, s40, 31
	s_cbranch_vccnz .LBB51_77
; %bb.22:
	s_lshl_b64 s[36:37], s[40:41], 2
	v_lshrrev_b32_e32 v1, 4, v0
	s_add_u32 s20, s20, s36
	s_addc_u32 s21, s21, s37
	s_mov_b32 s17, exec_lo
	s_load_b64 s[20:21], s[20:21], 0x0
	v_subrev_nc_u32_e32 v1, s28, v1
	s_waitcnt lgkmcnt(0)
	s_delay_alu instid0(VALU_DEP_1)
	v_add_nc_u32_e32 v1, s20, v1
	s_sub_i32 s1, s21, s28
	s_delay_alu instid0(VALU_DEP_1) | instid1(SALU_CYCLE_1)
	v_cmpx_gt_i32_e64 s1, v1
	s_cbranch_execz .LBB51_76
; %bb.23:
	v_and_b32_e32 v2, 15, v0
	s_cmp_eq_u32 s0, 0
	s_mov_b32 s20, 0
	s_cselect_b32 s21, 2, 1
	s_cselect_b32 s36, 1, 2
	v_subrev_nc_u32_e32 v12, s29, v2
	s_branch .LBB51_25
.LBB51_24:                              ;   in Loop: Header=BB51_25 Depth=1
	s_or_b32 exec_lo, exec_lo, s37
	v_add_nc_u32_e32 v1, 16, v1
	s_delay_alu instid0(VALU_DEP_1) | instskip(SKIP_1) | instid1(SALU_CYCLE_1)
	v_cmp_le_i32_e32 vcc_lo, s1, v1
	s_or_b32 s20, vcc_lo, s20
	s_and_not1_b32 exec_lo, exec_lo, s20
	s_cbranch_execz .LBB51_76
.LBB51_25:                              ; =>This Loop Header: Depth=1
                                        ;     Child Loop BB51_28 Depth 2
                                        ;       Child Loop BB51_30 Depth 3
                                        ;       Child Loop BB51_42 Depth 3
	;; [unrolled: 1-line block ×4, first 2 shown]
	v_ashrrev_i32_e32 v2, 31, v1
	s_mov_b32 s37, exec_lo
	s_delay_alu instid0(VALU_DEP_1) | instskip(NEXT) | instid1(VALU_DEP_1)
	v_lshlrev_b64 v[2:3], 2, v[1:2]
	v_add_co_u32 v2, vcc_lo, s22, v2
	s_delay_alu instid0(VALU_DEP_2) | instskip(SKIP_3) | instid1(VALU_DEP_1)
	v_add_co_ci_u32_e32 v3, vcc_lo, s23, v3, vcc_lo
	global_load_b32 v2, v[2:3], off
	s_waitcnt vmcnt(0)
	v_subrev_nc_u32_e32 v2, s28, v2
	v_ashrrev_i32_e32 v3, 31, v2
	s_delay_alu instid0(VALU_DEP_1) | instskip(NEXT) | instid1(VALU_DEP_1)
	v_lshlrev_b64 v[2:3], 2, v[2:3]
	v_add_co_u32 v2, vcc_lo, s26, v2
	s_delay_alu instid0(VALU_DEP_2) | instskip(SKIP_4) | instid1(VALU_DEP_1)
	v_add_co_ci_u32_e32 v3, vcc_lo, s27, v3, vcc_lo
	global_load_b64 v[2:3], v[2:3], off
	s_waitcnt vmcnt(0)
	v_subrev_nc_u32_e32 v13, s29, v3
	v_add_nc_u32_e32 v2, v2, v12
	v_cmpx_lt_i32_e64 v2, v13
	s_cbranch_execz .LBB51_24
; %bb.26:                               ;   in Loop: Header=BB51_25 Depth=1
	v_lshlrev_b32_e32 v3, 2, v1
	s_mov_b32 s38, 0
	s_delay_alu instid0(VALU_DEP_1) | instskip(SKIP_2) | instid1(VALU_DEP_3)
	v_or_b32_e32 v5, s21, v3
	v_ashrrev_i32_e32 v4, 31, v3
	v_or_b32_e32 v7, s36, v3
	v_ashrrev_i32_e32 v6, 31, v5
	s_delay_alu instid0(VALU_DEP_3) | instskip(NEXT) | instid1(VALU_DEP_3)
	v_lshlrev_b64 v[3:4], 3, v[3:4]
	v_ashrrev_i32_e32 v8, 31, v7
	s_delay_alu instid0(VALU_DEP_3) | instskip(NEXT) | instid1(VALU_DEP_3)
	v_lshlrev_b64 v[5:6], 3, v[5:6]
	v_add_co_u32 v3, vcc_lo, s24, v3
	s_delay_alu instid0(VALU_DEP_3) | instskip(SKIP_1) | instid1(VALU_DEP_4)
	v_lshlrev_b64 v[7:8], 3, v[7:8]
	v_add_co_ci_u32_e32 v4, vcc_lo, s25, v4, vcc_lo
	v_add_co_u32 v5, vcc_lo, s24, v5
	v_add_co_ci_u32_e32 v6, vcc_lo, s25, v6, vcc_lo
	s_delay_alu instid0(VALU_DEP_4)
	v_add_co_u32 v7, vcc_lo, s24, v7
	global_load_b64 v[9:10], v[3:4], off
	v_add_co_ci_u32_e32 v8, vcc_lo, s25, v8, vcc_lo
	s_clause 0x2
	global_load_b64 v[5:6], v[5:6], off
	global_load_b64 v[7:8], v[7:8], off
	global_load_b64 v[3:4], v[3:4], off offset:24
	s_waitcnt vmcnt(3)
	v_mul_f32_e64 v14, v10, -s3
	v_mul_f32_e32 v15, s43, v10
	s_waitcnt vmcnt(2)
	v_mul_f32_e64 v16, v6, -s3
	s_delay_alu instid0(VALU_DEP_3)
	v_dual_mul_f32 v17, s43, v6 :: v_dual_fmac_f32 v14, s43, v9
	s_waitcnt vmcnt(1)
	v_dual_fmac_f32 v15, s3, v9 :: v_dual_mul_f32 v20, s43, v8
	s_waitcnt vmcnt(0)
	v_mul_f32_e32 v18, s43, v4
	v_mul_f32_e64 v19, v4, -s3
	v_mul_f32_e64 v21, v8, -s3
	v_fmac_f32_e32 v16, s43, v5
	s_delay_alu instid0(VALU_DEP_4) | instskip(NEXT) | instid1(VALU_DEP_4)
	v_dual_fmac_f32 v17, s3, v5 :: v_dual_fmac_f32 v18, s3, v3
	v_fmac_f32_e32 v19, s43, v3
	v_fmac_f32_e32 v20, s3, v7
	v_fmac_f32_e32 v21, s43, v7
	s_branch .LBB51_28
.LBB51_27:                              ;   in Loop: Header=BB51_28 Depth=2
	s_or_b32 exec_lo, exec_lo, s39
	v_add_nc_u32_e32 v2, 16, v2
	s_delay_alu instid0(VALU_DEP_1) | instskip(SKIP_1) | instid1(SALU_CYCLE_1)
	v_cmp_ge_i32_e32 vcc_lo, v2, v13
	s_or_b32 s38, vcc_lo, s38
	s_and_not1_b32 exec_lo, exec_lo, s38
	s_cbranch_execz .LBB51_24
.LBB51_28:                              ;   Parent Loop BB51_25 Depth=1
                                        ; =>  This Loop Header: Depth=2
                                        ;       Child Loop BB51_30 Depth 3
                                        ;       Child Loop BB51_42 Depth 3
	;; [unrolled: 1-line block ×4, first 2 shown]
	v_lshlrev_b32_e32 v4, 2, v2
	v_ashrrev_i32_e32 v3, 31, v2
	s_mov_b32 s39, 0
	s_delay_alu instid0(VALU_DEP_2) | instskip(NEXT) | instid1(VALU_DEP_2)
	v_or_b32_e32 v6, s21, v4
	v_lshlrev_b64 v[8:9], 2, v[2:3]
	v_ashrrev_i32_e32 v5, 31, v4
	s_delay_alu instid0(VALU_DEP_3) | instskip(NEXT) | instid1(VALU_DEP_3)
	v_ashrrev_i32_e32 v7, 31, v6
	v_add_co_u32 v8, vcc_lo, s12, v8
	s_delay_alu instid0(VALU_DEP_4) | instskip(NEXT) | instid1(VALU_DEP_3)
	v_add_co_ci_u32_e32 v9, vcc_lo, s13, v9, vcc_lo
	v_lshlrev_b64 v[6:7], 3, v[6:7]
	v_lshlrev_b64 v[22:23], 3, v[4:5]
	s_delay_alu instid0(VALU_DEP_2) | instskip(NEXT) | instid1(VALU_DEP_3)
	v_add_co_u32 v6, vcc_lo, s14, v6
	v_add_co_ci_u32_e32 v7, vcc_lo, s15, v7, vcc_lo
	s_delay_alu instid0(VALU_DEP_3)
	v_add_co_u32 v5, vcc_lo, s14, v22
	global_load_b32 v11, v[8:9], off
	global_load_b64 v[9:10], v[6:7], off
	v_add_co_ci_u32_e32 v6, vcc_lo, s15, v23, vcc_lo
	global_load_b64 v[7:8], v[5:6], off
	s_waitcnt vmcnt(2)
	v_subrev_nc_u32_e32 v22, s29, v11
	s_waitcnt vmcnt(1)
	v_mul_f32_e64 v11, v10, -v20
	s_delay_alu instid0(VALU_DEP_2) | instskip(NEXT) | instid1(VALU_DEP_2)
	v_mul_lo_u32 v23, 0x89, v22
	v_fmac_f32_e32 v11, v21, v9
	v_or_b32_e32 v3, s36, v4
	s_waitcnt vmcnt(0)
	s_delay_alu instid0(VALU_DEP_2) | instskip(NEXT) | instid1(VALU_DEP_2)
	v_dual_mul_f32 v24, v21, v10 :: v_dual_fmac_f32 v11, v14, v7
	v_ashrrev_i32_e32 v4, 31, v3
	s_delay_alu instid0(VALU_DEP_2) | instskip(NEXT) | instid1(VALU_DEP_3)
	v_dual_fmac_f32 v24, v20, v9 :: v_dual_and_b32 v23, 0x1ff, v23
	v_fma_f32 v25, -v15, v8, v11
	s_delay_alu instid0(VALU_DEP_3) | instskip(NEXT) | instid1(VALU_DEP_3)
	v_lshlrev_b64 v[3:4], 3, v[3:4]
	v_fmac_f32_e32 v24, v15, v7
	s_delay_alu instid0(VALU_DEP_4) | instskip(NEXT) | instid1(VALU_DEP_2)
	v_mov_b32_e32 v26, v23
	v_fmac_f32_e32 v24, v14, v8
	s_delay_alu instid0(VALU_DEP_4)
	v_add_co_u32 v3, vcc_lo, s14, v3
	v_add_co_ci_u32_e32 v4, vcc_lo, s15, v4, vcc_lo
	s_clause 0x1
	global_load_b64 v[3:4], v[3:4], off
	global_load_b64 v[5:6], v[5:6], off offset:24
	s_branch .LBB51_30
.LBB51_29:                              ;   in Loop: Header=BB51_30 Depth=3
	s_or_b32 exec_lo, exec_lo, s45
	s_xor_b32 s45, s46, -1
	s_delay_alu instid0(SALU_CYCLE_1) | instskip(NEXT) | instid1(SALU_CYCLE_1)
	s_and_b32 s45, exec_lo, s45
	s_or_b32 s39, s45, s39
	s_delay_alu instid0(SALU_CYCLE_1)
	s_and_not1_b32 exec_lo, exec_lo, s39
	s_cbranch_execz .LBB51_40
.LBB51_30:                              ;   Parent Loop BB51_25 Depth=1
                                        ;     Parent Loop BB51_28 Depth=2
                                        ; =>    This Inner Loop Header: Depth=3
	v_lshl_add_u32 v11, v26, 2, 0
	s_mov_b32 s45, exec_lo
                                        ; implicit-def: $sgpr46
	ds_load_b32 v27, v11
	s_waitcnt lgkmcnt(0)
	v_cmpx_ne_u32_e64 v27, v22
	s_xor_b32 s45, exec_lo, s45
	s_cbranch_execz .LBB51_38
; %bb.31:                               ;   in Loop: Header=BB51_30 Depth=3
	s_mov_b32 s47, exec_lo
                                        ; implicit-def: $sgpr46
	v_cmpx_ne_u32_e64 s16, v27
	s_xor_b32 s47, exec_lo, s47
; %bb.32:                               ;   in Loop: Header=BB51_30 Depth=3
	v_add_nc_u32_e32 v11, 1, v26
	s_mov_b32 s46, -1
	s_delay_alu instid0(VALU_DEP_1)
	v_and_b32_e32 v26, 0x1ff, v11
                                        ; implicit-def: $vgpr11
; %bb.33:                               ;   in Loop: Header=BB51_30 Depth=3
	s_and_not1_saveexec_b32 s47, s47
	s_cbranch_execz .LBB51_37
; %bb.34:                               ;   in Loop: Header=BB51_30 Depth=3
	v_mov_b32_e32 v27, s16
	s_mov_b32 s49, -1
	s_mov_b32 s48, exec_lo
	ds_cmpstore_rtn_b32 v27, v11, v22, v27
	s_waitcnt lgkmcnt(0)
	v_cmpx_eq_u32_e64 s16, v27
	s_cbranch_execz .LBB51_36
; %bb.35:                               ;   in Loop: Header=BB51_30 Depth=3
	v_mad_u64_u32 v[27:28], null, v26, 28, v[11:12]
	s_xor_b32 s49, exec_lo, -1
	ds_add_f32 v27, v25 offset:2048
	ds_add_f32 v27, v24 offset:2052
.LBB51_36:                              ;   in Loop: Header=BB51_30 Depth=3
	s_or_b32 exec_lo, exec_lo, s48
	s_delay_alu instid0(SALU_CYCLE_1) | instskip(SKIP_1) | instid1(SALU_CYCLE_1)
	s_and_not1_b32 s46, s46, exec_lo
	s_and_b32 s48, s49, exec_lo
	s_or_b32 s46, s46, s48
.LBB51_37:                              ;   in Loop: Header=BB51_30 Depth=3
	s_or_b32 exec_lo, exec_lo, s47
	s_delay_alu instid0(SALU_CYCLE_1)
	s_and_b32 s46, s46, exec_lo
                                        ; implicit-def: $vgpr11
.LBB51_38:                              ;   in Loop: Header=BB51_30 Depth=3
	s_and_not1_saveexec_b32 s45, s45
	s_cbranch_execz .LBB51_29
; %bb.39:                               ;   in Loop: Header=BB51_30 Depth=3
	v_mad_u64_u32 v[27:28], null, v26, 28, v[11:12]
	s_and_not1_b32 s46, s46, exec_lo
	ds_add_f32 v27, v25 offset:2048
	ds_add_f32 v27, v24 offset:2052
	s_branch .LBB51_29
.LBB51_40:                              ;   in Loop: Header=BB51_28 Depth=2
	s_or_b32 exec_lo, exec_lo, s39
	s_waitcnt vmcnt(0)
	v_mul_f32_e64 v11, v6, -v20
	v_mov_b32_e32 v26, v23
	s_mov_b32 s39, 0
	s_delay_alu instid0(VALU_DEP_2) | instskip(NEXT) | instid1(VALU_DEP_1)
	v_fmac_f32_e32 v11, v21, v5
	v_dual_mul_f32 v24, v21, v6 :: v_dual_fmac_f32 v11, v14, v3
	s_delay_alu instid0(VALU_DEP_1) | instskip(NEXT) | instid1(VALU_DEP_2)
	v_fmac_f32_e32 v24, v20, v5
	v_fma_f32 v25, -v15, v4, v11
	s_delay_alu instid0(VALU_DEP_2) | instskip(NEXT) | instid1(VALU_DEP_1)
	v_fmac_f32_e32 v24, v15, v3
	v_fmac_f32_e32 v24, v14, v4
	s_branch .LBB51_42
.LBB51_41:                              ;   in Loop: Header=BB51_42 Depth=3
	s_or_b32 exec_lo, exec_lo, s45
	s_xor_b32 s45, s46, -1
	s_delay_alu instid0(SALU_CYCLE_1) | instskip(NEXT) | instid1(SALU_CYCLE_1)
	s_and_b32 s45, exec_lo, s45
	s_or_b32 s39, s45, s39
	s_delay_alu instid0(SALU_CYCLE_1)
	s_and_not1_b32 exec_lo, exec_lo, s39
	s_cbranch_execz .LBB51_52
.LBB51_42:                              ;   Parent Loop BB51_25 Depth=1
                                        ;     Parent Loop BB51_28 Depth=2
                                        ; =>    This Inner Loop Header: Depth=3
	v_lshl_add_u32 v11, v26, 2, 0
	s_mov_b32 s45, exec_lo
                                        ; implicit-def: $sgpr46
	ds_load_b32 v27, v11
	s_waitcnt lgkmcnt(0)
	v_cmpx_ne_u32_e64 v27, v22
	s_xor_b32 s45, exec_lo, s45
	s_cbranch_execz .LBB51_50
; %bb.43:                               ;   in Loop: Header=BB51_42 Depth=3
	s_mov_b32 s47, exec_lo
                                        ; implicit-def: $sgpr46
	v_cmpx_ne_u32_e64 s16, v27
	s_xor_b32 s47, exec_lo, s47
; %bb.44:                               ;   in Loop: Header=BB51_42 Depth=3
	v_add_nc_u32_e32 v11, 1, v26
	s_mov_b32 s46, -1
	s_delay_alu instid0(VALU_DEP_1)
	v_and_b32_e32 v26, 0x1ff, v11
                                        ; implicit-def: $vgpr11
; %bb.45:                               ;   in Loop: Header=BB51_42 Depth=3
	s_and_not1_saveexec_b32 s47, s47
	s_cbranch_execz .LBB51_49
; %bb.46:                               ;   in Loop: Header=BB51_42 Depth=3
	v_mov_b32_e32 v27, s16
	s_mov_b32 s49, -1
	s_mov_b32 s48, exec_lo
	ds_cmpstore_rtn_b32 v27, v11, v22, v27
	s_waitcnt lgkmcnt(0)
	v_cmpx_eq_u32_e64 s16, v27
	s_cbranch_execz .LBB51_48
; %bb.47:                               ;   in Loop: Header=BB51_42 Depth=3
	v_mad_u64_u32 v[27:28], null, v26, 28, v[11:12]
	s_xor_b32 s49, exec_lo, -1
	ds_add_f32 v27, v25 offset:2056
	ds_add_f32 v27, v24 offset:2060
.LBB51_48:                              ;   in Loop: Header=BB51_42 Depth=3
	s_or_b32 exec_lo, exec_lo, s48
	s_delay_alu instid0(SALU_CYCLE_1) | instskip(SKIP_1) | instid1(SALU_CYCLE_1)
	s_and_not1_b32 s46, s46, exec_lo
	s_and_b32 s48, s49, exec_lo
	s_or_b32 s46, s46, s48
.LBB51_49:                              ;   in Loop: Header=BB51_42 Depth=3
	s_or_b32 exec_lo, exec_lo, s47
	s_delay_alu instid0(SALU_CYCLE_1)
	s_and_b32 s46, s46, exec_lo
                                        ; implicit-def: $vgpr11
.LBB51_50:                              ;   in Loop: Header=BB51_42 Depth=3
	s_and_not1_saveexec_b32 s45, s45
	s_cbranch_execz .LBB51_41
; %bb.51:                               ;   in Loop: Header=BB51_42 Depth=3
	v_mad_u64_u32 v[27:28], null, v26, 28, v[11:12]
	s_and_not1_b32 s46, s46, exec_lo
	ds_add_f32 v27, v25 offset:2056
	ds_add_f32 v27, v24 offset:2060
	s_branch .LBB51_41
.LBB51_52:                              ;   in Loop: Header=BB51_28 Depth=2
	s_or_b32 exec_lo, exec_lo, s39
	v_mul_f32_e64 v11, v10, -v18
	s_mov_b32 s39, 0
	s_delay_alu instid0(VALU_DEP_1) | instskip(NEXT) | instid1(VALU_DEP_1)
	v_fmac_f32_e32 v11, v19, v9
	v_dual_mul_f32 v10, v19, v10 :: v_dual_fmac_f32 v11, v16, v7
	s_delay_alu instid0(VALU_DEP_1) | instskip(NEXT) | instid1(VALU_DEP_2)
	v_fmac_f32_e32 v10, v18, v9
	v_fma_f32 v9, -v17, v8, v11
	s_delay_alu instid0(VALU_DEP_2) | instskip(NEXT) | instid1(VALU_DEP_1)
	v_fmac_f32_e32 v10, v17, v7
	v_fmac_f32_e32 v10, v16, v8
	v_mov_b32_e32 v8, v23
	s_branch .LBB51_54
.LBB51_53:                              ;   in Loop: Header=BB51_54 Depth=3
	s_or_b32 exec_lo, exec_lo, s45
	s_xor_b32 s45, s46, -1
	s_delay_alu instid0(SALU_CYCLE_1) | instskip(NEXT) | instid1(SALU_CYCLE_1)
	s_and_b32 s45, exec_lo, s45
	s_or_b32 s39, s45, s39
	s_delay_alu instid0(SALU_CYCLE_1)
	s_and_not1_b32 exec_lo, exec_lo, s39
	s_cbranch_execz .LBB51_64
.LBB51_54:                              ;   Parent Loop BB51_25 Depth=1
                                        ;     Parent Loop BB51_28 Depth=2
                                        ; =>    This Inner Loop Header: Depth=3
	s_delay_alu instid0(VALU_DEP_1)
	v_lshl_add_u32 v7, v8, 2, 0
	s_mov_b32 s45, exec_lo
                                        ; implicit-def: $sgpr46
	ds_load_b32 v11, v7
	s_waitcnt lgkmcnt(0)
	v_cmpx_ne_u32_e64 v11, v22
	s_xor_b32 s45, exec_lo, s45
	s_cbranch_execz .LBB51_62
; %bb.55:                               ;   in Loop: Header=BB51_54 Depth=3
	s_mov_b32 s47, exec_lo
                                        ; implicit-def: $sgpr46
	v_cmpx_ne_u32_e64 s16, v11
	s_xor_b32 s47, exec_lo, s47
; %bb.56:                               ;   in Loop: Header=BB51_54 Depth=3
	v_add_nc_u32_e32 v7, 1, v8
	s_mov_b32 s46, -1
	s_delay_alu instid0(VALU_DEP_1)
	v_and_b32_e32 v8, 0x1ff, v7
                                        ; implicit-def: $vgpr7
; %bb.57:                               ;   in Loop: Header=BB51_54 Depth=3
	s_and_not1_saveexec_b32 s47, s47
	s_cbranch_execz .LBB51_61
; %bb.58:                               ;   in Loop: Header=BB51_54 Depth=3
	v_mov_b32_e32 v11, s16
	s_mov_b32 s49, -1
	s_mov_b32 s48, exec_lo
	ds_cmpstore_rtn_b32 v11, v7, v22, v11
	s_waitcnt lgkmcnt(0)
	v_cmpx_eq_u32_e64 s16, v11
	s_cbranch_execz .LBB51_60
; %bb.59:                               ;   in Loop: Header=BB51_54 Depth=3
	v_mad_u64_u32 v[24:25], null, v8, 28, v[7:8]
	s_xor_b32 s49, exec_lo, -1
	ds_add_f32 v24, v9 offset:2064
	ds_add_f32 v24, v10 offset:2068
.LBB51_60:                              ;   in Loop: Header=BB51_54 Depth=3
	s_or_b32 exec_lo, exec_lo, s48
	s_delay_alu instid0(SALU_CYCLE_1) | instskip(SKIP_1) | instid1(SALU_CYCLE_1)
	s_and_not1_b32 s46, s46, exec_lo
	s_and_b32 s48, s49, exec_lo
	s_or_b32 s46, s46, s48
.LBB51_61:                              ;   in Loop: Header=BB51_54 Depth=3
	s_or_b32 exec_lo, exec_lo, s47
	s_delay_alu instid0(SALU_CYCLE_1)
	s_and_b32 s46, s46, exec_lo
                                        ; implicit-def: $vgpr7
.LBB51_62:                              ;   in Loop: Header=BB51_54 Depth=3
	s_and_not1_saveexec_b32 s45, s45
	s_cbranch_execz .LBB51_53
; %bb.63:                               ;   in Loop: Header=BB51_54 Depth=3
	v_mad_u64_u32 v[24:25], null, v8, 28, v[7:8]
	s_and_not1_b32 s46, s46, exec_lo
	ds_add_f32 v24, v9 offset:2064
	ds_add_f32 v24, v10 offset:2068
	s_branch .LBB51_53
.LBB51_64:                              ;   in Loop: Header=BB51_28 Depth=2
	s_or_b32 exec_lo, exec_lo, s39
	v_mul_f32_e64 v7, v6, -v18
	s_mov_b32 s39, 0
	s_delay_alu instid0(VALU_DEP_1) | instskip(NEXT) | instid1(VALU_DEP_1)
	v_fmac_f32_e32 v7, v19, v5
	v_dual_mul_f32 v6, v19, v6 :: v_dual_fmac_f32 v7, v16, v3
	s_delay_alu instid0(VALU_DEP_1) | instskip(NEXT) | instid1(VALU_DEP_2)
	v_fmac_f32_e32 v6, v18, v5
	v_fma_f32 v5, -v17, v4, v7
	s_delay_alu instid0(VALU_DEP_2) | instskip(NEXT) | instid1(VALU_DEP_1)
	v_fmac_f32_e32 v6, v17, v3
	v_fmac_f32_e32 v6, v16, v4
	s_branch .LBB51_66
.LBB51_65:                              ;   in Loop: Header=BB51_66 Depth=3
	s_or_b32 exec_lo, exec_lo, s45
	s_xor_b32 s45, s46, -1
	s_delay_alu instid0(SALU_CYCLE_1) | instskip(NEXT) | instid1(SALU_CYCLE_1)
	s_and_b32 s45, exec_lo, s45
	s_or_b32 s39, s45, s39
	s_delay_alu instid0(SALU_CYCLE_1)
	s_and_not1_b32 exec_lo, exec_lo, s39
	s_cbranch_execz .LBB51_27
.LBB51_66:                              ;   Parent Loop BB51_25 Depth=1
                                        ;     Parent Loop BB51_28 Depth=2
                                        ; =>    This Inner Loop Header: Depth=3
	v_lshl_add_u32 v3, v23, 2, 0
	s_mov_b32 s45, exec_lo
                                        ; implicit-def: $sgpr46
	ds_load_b32 v4, v3
	s_waitcnt lgkmcnt(0)
	v_cmpx_ne_u32_e64 v4, v22
	s_xor_b32 s45, exec_lo, s45
	s_cbranch_execz .LBB51_74
; %bb.67:                               ;   in Loop: Header=BB51_66 Depth=3
	s_mov_b32 s47, exec_lo
                                        ; implicit-def: $sgpr46
	v_cmpx_ne_u32_e64 s16, v4
	s_xor_b32 s47, exec_lo, s47
; %bb.68:                               ;   in Loop: Header=BB51_66 Depth=3
	v_add_nc_u32_e32 v3, 1, v23
	s_mov_b32 s46, -1
	s_delay_alu instid0(VALU_DEP_1)
	v_and_b32_e32 v23, 0x1ff, v3
                                        ; implicit-def: $vgpr3
; %bb.69:                               ;   in Loop: Header=BB51_66 Depth=3
	s_and_not1_saveexec_b32 s47, s47
	s_cbranch_execz .LBB51_73
; %bb.70:                               ;   in Loop: Header=BB51_66 Depth=3
	v_mov_b32_e32 v4, s16
	s_mov_b32 s49, -1
	s_mov_b32 s48, exec_lo
	ds_cmpstore_rtn_b32 v4, v3, v22, v4
	s_waitcnt lgkmcnt(0)
	v_cmpx_eq_u32_e64 s16, v4
	s_cbranch_execz .LBB51_72
; %bb.71:                               ;   in Loop: Header=BB51_66 Depth=3
	v_mad_u64_u32 v[7:8], null, v23, 28, v[3:4]
	s_xor_b32 s49, exec_lo, -1
	ds_add_f32 v7, v5 offset:2072
	ds_add_f32 v7, v6 offset:2076
.LBB51_72:                              ;   in Loop: Header=BB51_66 Depth=3
	s_or_b32 exec_lo, exec_lo, s48
	s_delay_alu instid0(SALU_CYCLE_1) | instskip(SKIP_1) | instid1(SALU_CYCLE_1)
	s_and_not1_b32 s46, s46, exec_lo
	s_and_b32 s48, s49, exec_lo
	s_or_b32 s46, s46, s48
.LBB51_73:                              ;   in Loop: Header=BB51_66 Depth=3
	s_or_b32 exec_lo, exec_lo, s47
	s_delay_alu instid0(SALU_CYCLE_1)
	s_and_b32 s46, s46, exec_lo
                                        ; implicit-def: $vgpr3
.LBB51_74:                              ;   in Loop: Header=BB51_66 Depth=3
	s_and_not1_saveexec_b32 s45, s45
	s_cbranch_execz .LBB51_65
; %bb.75:                               ;   in Loop: Header=BB51_66 Depth=3
	v_mad_u64_u32 v[7:8], null, v23, 28, v[3:4]
	s_and_not1_b32 s46, s46, exec_lo
	ds_add_f32 v7, v5 offset:2072
	ds_add_f32 v7, v6 offset:2076
	s_branch .LBB51_65
.LBB51_76:
	s_or_b32 exec_lo, exec_lo, s17
.LBB51_77:
	s_delay_alu instid0(SALU_CYCLE_1)
	s_and_not1_b32 vcc_lo, exec_lo, s44
	s_waitcnt lgkmcnt(0)
	s_barrier
	buffer_gl0_inv
	s_cbranch_vccnz .LBB51_130
; %bb.78:
	s_lshl_b64 s[12:13], s[40:41], 2
	v_subrev_nc_u32_e32 v1, s31, v0
	s_add_u32 s12, s18, s12
	s_addc_u32 s13, s19, s13
	s_mov_b32 s3, exec_lo
	s_load_b64 s[12:13], s[12:13], 0x0
	s_waitcnt lgkmcnt(0)
	v_add_nc_u32_e32 v1, s12, v1
	s_sub_i32 s1, s13, s31
	s_delay_alu instid0(VALU_DEP_1) | instid1(SALU_CYCLE_1)
	v_cmpx_gt_i32_e64 s1, v1
	s_cbranch_execz .LBB51_129
; %bb.79:
	s_cmp_eq_u32 s0, 0
	s_mov_b32 s12, 0
	s_cselect_b32 s13, 1, 2
	s_cselect_b32 s14, 2, 1
	s_branch .LBB51_81
.LBB51_80:                              ;   in Loop: Header=BB51_81 Depth=1
	s_or_b32 exec_lo, exec_lo, s15
	v_add_nc_u32_e32 v1, 0x100, v1
	s_delay_alu instid0(VALU_DEP_1) | instskip(SKIP_1) | instid1(SALU_CYCLE_1)
	v_cmp_le_i32_e32 vcc_lo, s1, v1
	s_or_b32 s12, vcc_lo, s12
	s_and_not1_b32 exec_lo, exec_lo, s12
	s_cbranch_execz .LBB51_129
.LBB51_81:                              ; =>This Loop Header: Depth=1
                                        ;     Child Loop BB51_83 Depth 2
                                        ;     Child Loop BB51_95 Depth 2
	;; [unrolled: 1-line block ×4, first 2 shown]
	v_ashrrev_i32_e32 v2, 31, v1
	v_lshlrev_b32_e32 v3, 2, v1
	s_mov_b32 s15, 0
	s_delay_alu instid0(VALU_DEP_2) | instskip(NEXT) | instid1(VALU_DEP_2)
	v_lshlrev_b64 v[5:6], 2, v[1:2]
	v_ashrrev_i32_e32 v4, 31, v3
	s_delay_alu instid0(VALU_DEP_1) | instskip(NEXT) | instid1(VALU_DEP_3)
	v_lshlrev_b64 v[9:10], 3, v[3:4]
	v_add_co_u32 v5, vcc_lo, s4, v5
	s_delay_alu instid0(VALU_DEP_4) | instskip(NEXT) | instid1(VALU_DEP_3)
	v_add_co_ci_u32_e32 v6, vcc_lo, s5, v6, vcc_lo
	v_add_co_u32 v4, vcc_lo, s6, v9
	global_load_b32 v11, v[5:6], off
	v_add_co_ci_u32_e32 v5, vcc_lo, s7, v10, vcc_lo
	global_load_b64 v[13:14], v[4:5], off
	s_waitcnt vmcnt(0)
	v_mul_f32_e32 v12, s33, v14
	v_or_b32_e32 v7, s13, v3
	v_or_b32_e32 v2, s14, v3
	s_delay_alu instid0(VALU_DEP_2) | instskip(NEXT) | instid1(VALU_DEP_2)
	v_ashrrev_i32_e32 v8, 31, v7
	v_ashrrev_i32_e32 v3, 31, v2
	s_delay_alu instid0(VALU_DEP_2) | instskip(NEXT) | instid1(VALU_DEP_2)
	v_lshlrev_b64 v[6:7], 3, v[7:8]
	v_lshlrev_b64 v[2:3], 3, v[2:3]
	s_delay_alu instid0(VALU_DEP_2) | instskip(NEXT) | instid1(VALU_DEP_3)
	v_add_co_u32 v6, vcc_lo, s6, v6
	v_add_co_ci_u32_e32 v7, vcc_lo, s7, v7, vcc_lo
	s_delay_alu instid0(VALU_DEP_3) | instskip(NEXT) | instid1(VALU_DEP_4)
	v_add_co_u32 v8, vcc_lo, s6, v2
	v_add_co_ci_u32_e32 v9, vcc_lo, s7, v3, vcc_lo
	s_clause 0x2
	global_load_b64 v[2:3], v[4:5], off offset:24
	global_load_b64 v[6:7], v[6:7], off
	global_load_b64 v[4:5], v[8:9], off
	v_subrev_nc_u32_e32 v9, s31, v11
	v_mul_f32_e64 v11, v14, -s42
	s_delay_alu instid0(VALU_DEP_2) | instskip(NEXT) | instid1(VALU_DEP_1)
	v_mul_lo_u32 v8, 0x89, v9
	v_dual_fmac_f32 v11, s33, v13 :: v_dual_and_b32 v10, 0x1ff, v8
	s_delay_alu instid0(VALU_DEP_1)
	v_dual_fmac_f32 v12, s42, v13 :: v_dual_mov_b32 v13, v10
	s_branch .LBB51_83
.LBB51_82:                              ;   in Loop: Header=BB51_83 Depth=2
	s_or_b32 exec_lo, exec_lo, s17
	s_xor_b32 s17, s18, -1
	s_delay_alu instid0(SALU_CYCLE_1) | instskip(NEXT) | instid1(SALU_CYCLE_1)
	s_and_b32 s17, exec_lo, s17
	s_or_b32 s15, s17, s15
	s_delay_alu instid0(SALU_CYCLE_1)
	s_and_not1_b32 exec_lo, exec_lo, s15
	s_cbranch_execz .LBB51_93
.LBB51_83:                              ;   Parent Loop BB51_81 Depth=1
                                        ; =>  This Inner Loop Header: Depth=2
	s_delay_alu instid0(VALU_DEP_1)
	v_lshl_add_u32 v8, v13, 2, 0
	s_mov_b32 s17, exec_lo
                                        ; implicit-def: $sgpr18
	ds_load_b32 v14, v8
	s_waitcnt lgkmcnt(0)
	v_cmpx_ne_u32_e64 v14, v9
	s_xor_b32 s17, exec_lo, s17
	s_cbranch_execz .LBB51_91
; %bb.84:                               ;   in Loop: Header=BB51_83 Depth=2
	s_mov_b32 s19, exec_lo
                                        ; implicit-def: $sgpr18
	v_cmpx_ne_u32_e64 s16, v14
	s_xor_b32 s19, exec_lo, s19
; %bb.85:                               ;   in Loop: Header=BB51_83 Depth=2
	v_add_nc_u32_e32 v8, 1, v13
	s_mov_b32 s18, -1
	s_delay_alu instid0(VALU_DEP_1)
	v_and_b32_e32 v13, 0x1ff, v8
                                        ; implicit-def: $vgpr8
; %bb.86:                               ;   in Loop: Header=BB51_83 Depth=2
	s_and_not1_saveexec_b32 s19, s19
	s_cbranch_execz .LBB51_90
; %bb.87:                               ;   in Loop: Header=BB51_83 Depth=2
	v_mov_b32_e32 v14, s16
	s_mov_b32 s21, -1
	s_mov_b32 s20, exec_lo
	ds_cmpstore_rtn_b32 v14, v8, v9, v14
	s_waitcnt lgkmcnt(0)
	v_cmpx_eq_u32_e64 s16, v14
	s_cbranch_execz .LBB51_89
; %bb.88:                               ;   in Loop: Header=BB51_83 Depth=2
	v_mad_u64_u32 v[14:15], null, v13, 28, v[8:9]
	s_xor_b32 s21, exec_lo, -1
	ds_add_f32 v14, v11 offset:2048
	ds_add_f32 v14, v12 offset:2052
.LBB51_89:                              ;   in Loop: Header=BB51_83 Depth=2
	s_or_b32 exec_lo, exec_lo, s20
	s_delay_alu instid0(SALU_CYCLE_1) | instskip(SKIP_1) | instid1(SALU_CYCLE_1)
	s_and_not1_b32 s18, s18, exec_lo
	s_and_b32 s20, s21, exec_lo
	s_or_b32 s18, s18, s20
.LBB51_90:                              ;   in Loop: Header=BB51_83 Depth=2
	s_or_b32 exec_lo, exec_lo, s19
	s_delay_alu instid0(SALU_CYCLE_1)
	s_and_b32 s18, s18, exec_lo
                                        ; implicit-def: $vgpr8
.LBB51_91:                              ;   in Loop: Header=BB51_83 Depth=2
	s_and_not1_saveexec_b32 s17, s17
	s_cbranch_execz .LBB51_82
; %bb.92:                               ;   in Loop: Header=BB51_83 Depth=2
	v_mad_u64_u32 v[14:15], null, v13, 28, v[8:9]
	s_and_not1_b32 s18, s18, exec_lo
	ds_add_f32 v14, v11 offset:2048
	ds_add_f32 v14, v12 offset:2052
	s_branch .LBB51_82
.LBB51_93:                              ;   in Loop: Header=BB51_81 Depth=1
	s_or_b32 exec_lo, exec_lo, s15
	s_waitcnt vmcnt(1)
	v_mul_f32_e64 v8, v7, -s42
	v_mul_f32_e32 v7, s33, v7
	v_mov_b32_e32 v11, v10
	s_mov_b32 s15, 0
	s_delay_alu instid0(VALU_DEP_3) | instskip(NEXT) | instid1(VALU_DEP_3)
	v_fmac_f32_e32 v8, s33, v6
	v_fmac_f32_e32 v7, s42, v6
	s_branch .LBB51_95
.LBB51_94:                              ;   in Loop: Header=BB51_95 Depth=2
	s_or_b32 exec_lo, exec_lo, s17
	s_xor_b32 s17, s18, -1
	s_delay_alu instid0(SALU_CYCLE_1) | instskip(NEXT) | instid1(SALU_CYCLE_1)
	s_and_b32 s17, exec_lo, s17
	s_or_b32 s15, s17, s15
	s_delay_alu instid0(SALU_CYCLE_1)
	s_and_not1_b32 exec_lo, exec_lo, s15
	s_cbranch_execz .LBB51_105
.LBB51_95:                              ;   Parent Loop BB51_81 Depth=1
                                        ; =>  This Inner Loop Header: Depth=2
	v_lshl_add_u32 v6, v11, 2, 0
	s_mov_b32 s17, exec_lo
                                        ; implicit-def: $sgpr18
	ds_load_b32 v12, v6
	s_waitcnt lgkmcnt(0)
	v_cmpx_ne_u32_e64 v12, v9
	s_xor_b32 s17, exec_lo, s17
	s_cbranch_execz .LBB51_103
; %bb.96:                               ;   in Loop: Header=BB51_95 Depth=2
	s_mov_b32 s19, exec_lo
                                        ; implicit-def: $sgpr18
	v_cmpx_ne_u32_e64 s16, v12
	s_xor_b32 s19, exec_lo, s19
; %bb.97:                               ;   in Loop: Header=BB51_95 Depth=2
	v_add_nc_u32_e32 v6, 1, v11
	s_mov_b32 s18, -1
	s_delay_alu instid0(VALU_DEP_1)
	v_and_b32_e32 v11, 0x1ff, v6
                                        ; implicit-def: $vgpr6
; %bb.98:                               ;   in Loop: Header=BB51_95 Depth=2
	s_and_not1_saveexec_b32 s19, s19
	s_cbranch_execz .LBB51_102
; %bb.99:                               ;   in Loop: Header=BB51_95 Depth=2
	v_mov_b32_e32 v12, s16
	s_mov_b32 s21, -1
	s_mov_b32 s20, exec_lo
	ds_cmpstore_rtn_b32 v12, v6, v9, v12
	s_waitcnt lgkmcnt(0)
	v_cmpx_eq_u32_e64 s16, v12
	s_cbranch_execz .LBB51_101
; %bb.100:                              ;   in Loop: Header=BB51_95 Depth=2
	v_mad_u64_u32 v[12:13], null, v11, 28, v[6:7]
	s_xor_b32 s21, exec_lo, -1
	ds_add_f32 v12, v8 offset:2056
	ds_add_f32 v12, v7 offset:2060
.LBB51_101:                             ;   in Loop: Header=BB51_95 Depth=2
	s_or_b32 exec_lo, exec_lo, s20
	s_delay_alu instid0(SALU_CYCLE_1) | instskip(SKIP_1) | instid1(SALU_CYCLE_1)
	s_and_not1_b32 s18, s18, exec_lo
	s_and_b32 s20, s21, exec_lo
	s_or_b32 s18, s18, s20
.LBB51_102:                             ;   in Loop: Header=BB51_95 Depth=2
	s_or_b32 exec_lo, exec_lo, s19
	s_delay_alu instid0(SALU_CYCLE_1)
	s_and_b32 s18, s18, exec_lo
                                        ; implicit-def: $vgpr6
.LBB51_103:                             ;   in Loop: Header=BB51_95 Depth=2
	s_and_not1_saveexec_b32 s17, s17
	s_cbranch_execz .LBB51_94
; %bb.104:                              ;   in Loop: Header=BB51_95 Depth=2
	v_mad_u64_u32 v[12:13], null, v11, 28, v[6:7]
	s_and_not1_b32 s18, s18, exec_lo
	ds_add_f32 v12, v8 offset:2056
	ds_add_f32 v12, v7 offset:2060
	s_branch .LBB51_94
.LBB51_105:                             ;   in Loop: Header=BB51_81 Depth=1
	s_or_b32 exec_lo, exec_lo, s15
	s_waitcnt vmcnt(0)
	v_mul_f32_e64 v6, v5, -s42
	v_mul_f32_e32 v5, s33, v5
	v_mov_b32_e32 v7, v10
	s_mov_b32 s15, 0
	s_delay_alu instid0(VALU_DEP_3) | instskip(NEXT) | instid1(VALU_DEP_3)
	v_fmac_f32_e32 v6, s33, v4
	v_fmac_f32_e32 v5, s42, v4
	s_branch .LBB51_107
.LBB51_106:                             ;   in Loop: Header=BB51_107 Depth=2
	s_or_b32 exec_lo, exec_lo, s17
	s_xor_b32 s17, s18, -1
	s_delay_alu instid0(SALU_CYCLE_1) | instskip(NEXT) | instid1(SALU_CYCLE_1)
	s_and_b32 s17, exec_lo, s17
	s_or_b32 s15, s17, s15
	s_delay_alu instid0(SALU_CYCLE_1)
	s_and_not1_b32 exec_lo, exec_lo, s15
	s_cbranch_execz .LBB51_117
.LBB51_107:                             ;   Parent Loop BB51_81 Depth=1
                                        ; =>  This Inner Loop Header: Depth=2
	v_lshl_add_u32 v4, v7, 2, 0
	s_mov_b32 s17, exec_lo
                                        ; implicit-def: $sgpr18
	ds_load_b32 v8, v4
	s_waitcnt lgkmcnt(0)
	v_cmpx_ne_u32_e64 v8, v9
	s_xor_b32 s17, exec_lo, s17
	s_cbranch_execz .LBB51_115
; %bb.108:                              ;   in Loop: Header=BB51_107 Depth=2
	s_mov_b32 s19, exec_lo
                                        ; implicit-def: $sgpr18
	v_cmpx_ne_u32_e64 s16, v8
	s_xor_b32 s19, exec_lo, s19
; %bb.109:                              ;   in Loop: Header=BB51_107 Depth=2
	v_add_nc_u32_e32 v4, 1, v7
	s_mov_b32 s18, -1
	s_delay_alu instid0(VALU_DEP_1)
	v_and_b32_e32 v7, 0x1ff, v4
                                        ; implicit-def: $vgpr4
; %bb.110:                              ;   in Loop: Header=BB51_107 Depth=2
	s_and_not1_saveexec_b32 s19, s19
	s_cbranch_execz .LBB51_114
; %bb.111:                              ;   in Loop: Header=BB51_107 Depth=2
	v_mov_b32_e32 v8, s16
	s_mov_b32 s21, -1
	s_mov_b32 s20, exec_lo
	ds_cmpstore_rtn_b32 v8, v4, v9, v8
	s_waitcnt lgkmcnt(0)
	v_cmpx_eq_u32_e64 s16, v8
	s_cbranch_execz .LBB51_113
; %bb.112:                              ;   in Loop: Header=BB51_107 Depth=2
	v_mad_u64_u32 v[11:12], null, v7, 28, v[4:5]
	s_xor_b32 s21, exec_lo, -1
	ds_add_f32 v11, v6 offset:2064
	ds_add_f32 v11, v5 offset:2068
.LBB51_113:                             ;   in Loop: Header=BB51_107 Depth=2
	s_or_b32 exec_lo, exec_lo, s20
	s_delay_alu instid0(SALU_CYCLE_1) | instskip(SKIP_1) | instid1(SALU_CYCLE_1)
	s_and_not1_b32 s18, s18, exec_lo
	s_and_b32 s20, s21, exec_lo
	s_or_b32 s18, s18, s20
.LBB51_114:                             ;   in Loop: Header=BB51_107 Depth=2
	s_or_b32 exec_lo, exec_lo, s19
	s_delay_alu instid0(SALU_CYCLE_1)
	s_and_b32 s18, s18, exec_lo
                                        ; implicit-def: $vgpr4
.LBB51_115:                             ;   in Loop: Header=BB51_107 Depth=2
	s_and_not1_saveexec_b32 s17, s17
	s_cbranch_execz .LBB51_106
; %bb.116:                              ;   in Loop: Header=BB51_107 Depth=2
	v_mad_u64_u32 v[11:12], null, v7, 28, v[4:5]
	s_and_not1_b32 s18, s18, exec_lo
	ds_add_f32 v11, v6 offset:2064
	ds_add_f32 v11, v5 offset:2068
	s_branch .LBB51_106
.LBB51_117:                             ;   in Loop: Header=BB51_81 Depth=1
	s_or_b32 exec_lo, exec_lo, s15
	v_mul_f32_e64 v4, v3, -s42
	v_mul_f32_e32 v3, s33, v3
	s_mov_b32 s15, 0
	s_delay_alu instid0(VALU_DEP_2) | instskip(NEXT) | instid1(VALU_DEP_2)
	v_fmac_f32_e32 v4, s33, v2
	v_fmac_f32_e32 v3, s42, v2
	s_branch .LBB51_119
.LBB51_118:                             ;   in Loop: Header=BB51_119 Depth=2
	s_or_b32 exec_lo, exec_lo, s17
	s_xor_b32 s17, s18, -1
	s_delay_alu instid0(SALU_CYCLE_1) | instskip(NEXT) | instid1(SALU_CYCLE_1)
	s_and_b32 s17, exec_lo, s17
	s_or_b32 s15, s17, s15
	s_delay_alu instid0(SALU_CYCLE_1)
	s_and_not1_b32 exec_lo, exec_lo, s15
	s_cbranch_execz .LBB51_80
.LBB51_119:                             ;   Parent Loop BB51_81 Depth=1
                                        ; =>  This Inner Loop Header: Depth=2
	v_lshl_add_u32 v2, v10, 2, 0
	s_mov_b32 s17, exec_lo
                                        ; implicit-def: $sgpr18
	ds_load_b32 v5, v2
	s_waitcnt lgkmcnt(0)
	v_cmpx_ne_u32_e64 v5, v9
	s_xor_b32 s17, exec_lo, s17
	s_cbranch_execz .LBB51_127
; %bb.120:                              ;   in Loop: Header=BB51_119 Depth=2
	s_mov_b32 s19, exec_lo
                                        ; implicit-def: $sgpr18
	v_cmpx_ne_u32_e64 s16, v5
	s_xor_b32 s19, exec_lo, s19
; %bb.121:                              ;   in Loop: Header=BB51_119 Depth=2
	v_add_nc_u32_e32 v2, 1, v10
	s_mov_b32 s18, -1
	s_delay_alu instid0(VALU_DEP_1)
	v_and_b32_e32 v10, 0x1ff, v2
                                        ; implicit-def: $vgpr2
; %bb.122:                              ;   in Loop: Header=BB51_119 Depth=2
	s_and_not1_saveexec_b32 s19, s19
	s_cbranch_execz .LBB51_126
; %bb.123:                              ;   in Loop: Header=BB51_119 Depth=2
	v_mov_b32_e32 v5, s16
	s_mov_b32 s21, -1
	s_mov_b32 s20, exec_lo
	ds_cmpstore_rtn_b32 v5, v2, v9, v5
	s_waitcnt lgkmcnt(0)
	v_cmpx_eq_u32_e64 s16, v5
	s_cbranch_execz .LBB51_125
; %bb.124:                              ;   in Loop: Header=BB51_119 Depth=2
	v_mad_u64_u32 v[5:6], null, v10, 28, v[2:3]
	s_xor_b32 s21, exec_lo, -1
	ds_add_f32 v5, v4 offset:2072
	ds_add_f32 v5, v3 offset:2076
.LBB51_125:                             ;   in Loop: Header=BB51_119 Depth=2
	s_or_b32 exec_lo, exec_lo, s20
	s_delay_alu instid0(SALU_CYCLE_1) | instskip(SKIP_1) | instid1(SALU_CYCLE_1)
	s_and_not1_b32 s18, s18, exec_lo
	s_and_b32 s20, s21, exec_lo
	s_or_b32 s18, s18, s20
.LBB51_126:                             ;   in Loop: Header=BB51_119 Depth=2
	s_or_b32 exec_lo, exec_lo, s19
	s_delay_alu instid0(SALU_CYCLE_1)
	s_and_b32 s18, s18, exec_lo
                                        ; implicit-def: $vgpr2
.LBB51_127:                             ;   in Loop: Header=BB51_119 Depth=2
	s_and_not1_saveexec_b32 s17, s17
	s_cbranch_execz .LBB51_118
; %bb.128:                              ;   in Loop: Header=BB51_119 Depth=2
	v_mad_u64_u32 v[5:6], null, v10, 28, v[2:3]
	s_and_not1_b32 s18, s18, exec_lo
	ds_add_f32 v5, v4 offset:2072
	ds_add_f32 v5, v3 offset:2076
	s_branch .LBB51_118
.LBB51_129:
	s_or_b32 exec_lo, exec_lo, s3
.LBB51_130:
	s_waitcnt lgkmcnt(0)
	s_barrier
	buffer_gl0_inv
	s_and_saveexec_b32 s1, s2
	s_cbranch_execz .LBB51_137
; %bb.131:
	s_lshl_b64 s[2:3], s[40:41], 2
	s_delay_alu instid0(SALU_CYCLE_1)
	s_add_u32 s2, s8, s2
	s_addc_u32 s3, s9, s3
	s_load_b32 s1, s[2:3], 0x0
	s_waitcnt lgkmcnt(0)
	s_sub_i32 s1, s1, s30
	s_cmp_eq_u32 s0, 0
	s_mov_b32 s0, 0
	s_cselect_b32 s2, 1, 2
	s_cselect_b32 s3, 2, 1
	s_add_i32 s4, 0, 0x800
	s_branch .LBB51_133
.LBB51_132:                             ;   in Loop: Header=BB51_133 Depth=1
	s_or_b32 exec_lo, exec_lo, s5
	v_add_nc_u32_e32 v1, 0x100, v0
	v_cmp_lt_u32_e32 vcc_lo, 0xff, v0
	s_delay_alu instid0(VALU_DEP_2) | instskip(SKIP_1) | instid1(SALU_CYCLE_1)
	v_mov_b32_e32 v0, v1
	s_or_b32 s0, vcc_lo, s0
	s_and_not1_b32 exec_lo, exec_lo, s0
	s_cbranch_execz .LBB51_137
.LBB51_133:                             ; =>This Loop Header: Depth=1
                                        ;     Child Loop BB51_135 Depth 2
	s_delay_alu instid0(VALU_DEP_1)
	v_lshl_add_u32 v1, v0, 2, 0
	s_mov_b32 s5, exec_lo
	ds_load_b32 v3, v1
	s_waitcnt lgkmcnt(0)
	v_cmpx_gt_i32_e64 s16, v3
	s_cbranch_execz .LBB51_132
; %bb.134:                              ;   in Loop: Header=BB51_133 Depth=1
	v_mov_b32_e32 v1, s1
	s_mov_b32 s6, 0
.LBB51_135:                             ;   Parent Loop BB51_133 Depth=1
                                        ; =>  This Inner Loop Header: Depth=2
	s_delay_alu instid0(SALU_CYCLE_1)
	s_add_i32 s7, s6, 0
	s_add_i32 s6, s6, 64
	v_mov_b32_e32 v2, s7
	s_cmpk_lg_i32 s6, 0x800
	ds_load_2addr_b32 v[4:5], v2 offset1:1
	ds_load_2addr_b32 v[6:7], v2 offset0:2 offset1:3
	ds_load_2addr_b32 v[8:9], v2 offset0:4 offset1:5
	;; [unrolled: 1-line block ×7, first 2 shown]
	s_waitcnt lgkmcnt(7)
	v_cmp_gt_i32_e32 vcc_lo, v3, v4
	v_cndmask_b32_e64 v2, 0, 1, vcc_lo
	s_waitcnt lgkmcnt(6)
	v_cmp_gt_i32_e32 vcc_lo, v3, v6
	v_cndmask_b32_e64 v4, 0, 1, vcc_lo
	v_cmp_gt_i32_e32 vcc_lo, v3, v5
	v_add_co_ci_u32_e32 v1, vcc_lo, v1, v2, vcc_lo
	s_waitcnt lgkmcnt(5)
	v_cmp_gt_i32_e32 vcc_lo, v3, v8
	v_cndmask_b32_e64 v2, 0, 1, vcc_lo
	v_cmp_gt_i32_e32 vcc_lo, v3, v7
	v_add_co_ci_u32_e32 v1, vcc_lo, v1, v4, vcc_lo
	;; [unrolled: 5-line block ×7, first 2 shown]
	v_cmp_gt_i32_e32 vcc_lo, v3, v19
	s_delay_alu instid0(VALU_DEP_2)
	v_add_co_ci_u32_e32 v1, vcc_lo, v1, v4, vcc_lo
	s_cbranch_scc1 .LBB51_135
; %bb.136:                              ;   in Loop: Header=BB51_133 Depth=1
	v_lshlrev_b32_e32 v2, 2, v0
	v_lshl_add_u32 v10, v0, 5, s4
	s_delay_alu instid0(VALU_DEP_3) | instskip(SKIP_1) | instid1(VALU_DEP_4)
	v_lshlrev_b32_e32 v12, 2, v1
	v_add_nc_u32_e32 v3, s30, v3
	v_or_b32_e32 v4, s3, v2
	v_or_b32_e32 v2, s2, v2
	s_delay_alu instid0(VALU_DEP_4) | instskip(NEXT) | instid1(VALU_DEP_3)
	v_ashrrev_i32_e32 v13, 31, v12
	v_lshl_add_u32 v6, v4, 3, s4
	s_delay_alu instid0(VALU_DEP_3) | instskip(SKIP_1) | instid1(VALU_DEP_4)
	v_lshl_add_u32 v7, v2, 3, s4
	v_ashrrev_i32_e32 v2, 31, v1
	v_lshlrev_b64 v[12:13], 3, v[12:13]
	ds_load_2addr_b32 v[4:5], v10 offset1:1
	ds_load_2addr_b32 v[8:9], v6 offset1:1
	;; [unrolled: 1-line block ×3, first 2 shown]
	ds_load_2addr_b32 v[10:11], v10 offset0:6 offset1:7
	v_lshlrev_b64 v[1:2], 2, v[1:2]
	s_delay_alu instid0(VALU_DEP_1) | instskip(NEXT) | instid1(VALU_DEP_2)
	v_add_co_u32 v1, vcc_lo, s10, v1
	v_add_co_ci_u32_e32 v2, vcc_lo, s11, v2, vcc_lo
	v_add_co_u32 v12, vcc_lo, s34, v12
	v_add_co_ci_u32_e32 v13, vcc_lo, s35, v13, vcc_lo
	global_store_b32 v[1:2], v3, off
	s_waitcnt lgkmcnt(1)
	global_store_b128 v[12:13], v[4:7], off
	s_waitcnt lgkmcnt(0)
	global_store_b128 v[12:13], v[8:11], off offset:16
	s_branch .LBB51_132
.LBB51_137:
	s_nop 0
	s_sendmsg sendmsg(MSG_DEALLOC_VGPRS)
	s_endpgm
	.section	.rodata,"a",@progbits
	.p2align	6, 0x0
	.amdhsa_kernel _ZN9rocsparseL30bsrgemm_fill_block_per_row_2x2ILj256ELj16ELj512ELj137Eii21rocsparse_complex_numIfEEEv20rocsparse_direction_T4_S4_PKS4_S6_NS_24const_host_device_scalarIT5_EEPKT3_S6_PKS8_SC_S6_SE_S9_SC_S6_SE_SC_PS4_PS8_21rocsparse_index_base_SH_SH_SH_bbb
		.amdhsa_group_segment_fixed_size 0
		.amdhsa_private_segment_fixed_size 0
		.amdhsa_kernarg_size 164
		.amdhsa_user_sgpr_count 15
		.amdhsa_user_sgpr_dispatch_ptr 0
		.amdhsa_user_sgpr_queue_ptr 0
		.amdhsa_user_sgpr_kernarg_segment_ptr 1
		.amdhsa_user_sgpr_dispatch_id 0
		.amdhsa_user_sgpr_private_segment_size 0
		.amdhsa_wavefront_size32 1
		.amdhsa_uses_dynamic_stack 0
		.amdhsa_enable_private_segment 0
		.amdhsa_system_sgpr_workgroup_id_x 1
		.amdhsa_system_sgpr_workgroup_id_y 0
		.amdhsa_system_sgpr_workgroup_id_z 0
		.amdhsa_system_sgpr_workgroup_info 0
		.amdhsa_system_vgpr_workitem_id 0
		.amdhsa_next_free_vgpr 29
		.amdhsa_next_free_sgpr 50
		.amdhsa_reserve_vcc 1
		.amdhsa_float_round_mode_32 0
		.amdhsa_float_round_mode_16_64 0
		.amdhsa_float_denorm_mode_32 3
		.amdhsa_float_denorm_mode_16_64 3
		.amdhsa_dx10_clamp 1
		.amdhsa_ieee_mode 1
		.amdhsa_fp16_overflow 0
		.amdhsa_workgroup_processor_mode 1
		.amdhsa_memory_ordered 1
		.amdhsa_forward_progress 0
		.amdhsa_shared_vgpr_count 0
		.amdhsa_exception_fp_ieee_invalid_op 0
		.amdhsa_exception_fp_denorm_src 0
		.amdhsa_exception_fp_ieee_div_zero 0
		.amdhsa_exception_fp_ieee_overflow 0
		.amdhsa_exception_fp_ieee_underflow 0
		.amdhsa_exception_fp_ieee_inexact 0
		.amdhsa_exception_int_div_zero 0
	.end_amdhsa_kernel
	.section	.text._ZN9rocsparseL30bsrgemm_fill_block_per_row_2x2ILj256ELj16ELj512ELj137Eii21rocsparse_complex_numIfEEEv20rocsparse_direction_T4_S4_PKS4_S6_NS_24const_host_device_scalarIT5_EEPKT3_S6_PKS8_SC_S6_SE_S9_SC_S6_SE_SC_PS4_PS8_21rocsparse_index_base_SH_SH_SH_bbb,"axG",@progbits,_ZN9rocsparseL30bsrgemm_fill_block_per_row_2x2ILj256ELj16ELj512ELj137Eii21rocsparse_complex_numIfEEEv20rocsparse_direction_T4_S4_PKS4_S6_NS_24const_host_device_scalarIT5_EEPKT3_S6_PKS8_SC_S6_SE_S9_SC_S6_SE_SC_PS4_PS8_21rocsparse_index_base_SH_SH_SH_bbb,comdat
.Lfunc_end51:
	.size	_ZN9rocsparseL30bsrgemm_fill_block_per_row_2x2ILj256ELj16ELj512ELj137Eii21rocsparse_complex_numIfEEEv20rocsparse_direction_T4_S4_PKS4_S6_NS_24const_host_device_scalarIT5_EEPKT3_S6_PKS8_SC_S6_SE_S9_SC_S6_SE_SC_PS4_PS8_21rocsparse_index_base_SH_SH_SH_bbb, .Lfunc_end51-_ZN9rocsparseL30bsrgemm_fill_block_per_row_2x2ILj256ELj16ELj512ELj137Eii21rocsparse_complex_numIfEEEv20rocsparse_direction_T4_S4_PKS4_S6_NS_24const_host_device_scalarIT5_EEPKT3_S6_PKS8_SC_S6_SE_S9_SC_S6_SE_SC_PS4_PS8_21rocsparse_index_base_SH_SH_SH_bbb
                                        ; -- End function
	.section	.AMDGPU.csdata,"",@progbits
; Kernel info:
; codeLenInByte = 4752
; NumSgprs: 52
; NumVgprs: 29
; ScratchSize: 0
; MemoryBound: 0
; FloatMode: 240
; IeeeMode: 1
; LDSByteSize: 0 bytes/workgroup (compile time only)
; SGPRBlocks: 6
; VGPRBlocks: 3
; NumSGPRsForWavesPerEU: 52
; NumVGPRsForWavesPerEU: 29
; Occupancy: 16
; WaveLimiterHint : 1
; COMPUTE_PGM_RSRC2:SCRATCH_EN: 0
; COMPUTE_PGM_RSRC2:USER_SGPR: 15
; COMPUTE_PGM_RSRC2:TRAP_HANDLER: 0
; COMPUTE_PGM_RSRC2:TGID_X_EN: 1
; COMPUTE_PGM_RSRC2:TGID_Y_EN: 0
; COMPUTE_PGM_RSRC2:TGID_Z_EN: 0
; COMPUTE_PGM_RSRC2:TIDIG_COMP_CNT: 0
	.section	.text._ZN9rocsparseL38bsrgemm_block_per_row_atomic_multipassILj256ELj256ELj2Eii21rocsparse_complex_numIfEEEv20rocsparse_direction_T3_S4_PKS4_S6_NS_24const_host_device_scalarIT4_EEPKT2_S6_PKS8_SC_S6_SE_S9_SC_S6_SE_SC_PS4_PS8_PSA_21rocsparse_index_base_SI_SI_SI_bbb,"axG",@progbits,_ZN9rocsparseL38bsrgemm_block_per_row_atomic_multipassILj256ELj256ELj2Eii21rocsparse_complex_numIfEEEv20rocsparse_direction_T3_S4_PKS4_S6_NS_24const_host_device_scalarIT4_EEPKT2_S6_PKS8_SC_S6_SE_S9_SC_S6_SE_SC_PS4_PS8_PSA_21rocsparse_index_base_SI_SI_SI_bbb,comdat
	.globl	_ZN9rocsparseL38bsrgemm_block_per_row_atomic_multipassILj256ELj256ELj2Eii21rocsparse_complex_numIfEEEv20rocsparse_direction_T3_S4_PKS4_S6_NS_24const_host_device_scalarIT4_EEPKT2_S6_PKS8_SC_S6_SE_S9_SC_S6_SE_SC_PS4_PS8_PSA_21rocsparse_index_base_SI_SI_SI_bbb ; -- Begin function _ZN9rocsparseL38bsrgemm_block_per_row_atomic_multipassILj256ELj256ELj2Eii21rocsparse_complex_numIfEEEv20rocsparse_direction_T3_S4_PKS4_S6_NS_24const_host_device_scalarIT4_EEPKT2_S6_PKS8_SC_S6_SE_S9_SC_S6_SE_SC_PS4_PS8_PSA_21rocsparse_index_base_SI_SI_SI_bbb
	.p2align	8
	.type	_ZN9rocsparseL38bsrgemm_block_per_row_atomic_multipassILj256ELj256ELj2Eii21rocsparse_complex_numIfEEEv20rocsparse_direction_T3_S4_PKS4_S6_NS_24const_host_device_scalarIT4_EEPKT2_S6_PKS8_SC_S6_SE_S9_SC_S6_SE_SC_PS4_PS8_PSA_21rocsparse_index_base_SI_SI_SI_bbb,@function
_ZN9rocsparseL38bsrgemm_block_per_row_atomic_multipassILj256ELj256ELj2Eii21rocsparse_complex_numIfEEEv20rocsparse_direction_T3_S4_PKS4_S6_NS_24const_host_device_scalarIT4_EEPKT2_S6_PKS8_SC_S6_SE_S9_SC_S6_SE_SC_PS4_PS8_PSA_21rocsparse_index_base_SI_SI_SI_bbb: ; @_ZN9rocsparseL38bsrgemm_block_per_row_atomic_multipassILj256ELj256ELj2Eii21rocsparse_complex_numIfEEEv20rocsparse_direction_T3_S4_PKS4_S6_NS_24const_host_device_scalarIT4_EEPKT2_S6_PKS8_SC_S6_SE_S9_SC_S6_SE_SC_PS4_PS8_PSA_21rocsparse_index_base_SI_SI_SI_bbb
; %bb.0:
	s_clause 0x5
	s_load_b32 s3, s[0:1], 0xa8
	s_load_b256 s[16:23], s[0:1], 0x88
	s_load_b256 s[24:31], s[0:1], 0x68
	;; [unrolled: 1-line block ×3, first 2 shown]
	s_load_b128 s[4:7], s[0:1], 0x10
	s_load_b256 s[44:51], s[0:1], 0x28
	s_mov_b32 s2, s15
	s_mov_b32 s35, 0
	;; [unrolled: 1-line block ×3, first 2 shown]
	s_waitcnt lgkmcnt(0)
	s_bitcmp1_b32 s3, 0
	s_cselect_b32 s13, -1, 0
	s_bitcmp1_b32 s3, 16
	s_cselect_b32 s8, -1, 0
	s_delay_alu instid0(SALU_CYCLE_1) | instskip(SKIP_2) | instid1(VALU_DEP_1)
	s_xor_b32 s8, s8, -1
	s_bitcmp0_b32 s3, 0
	v_cndmask_b32_e64 v1, 0, 1, s8
	v_cmp_ne_u32_e32 vcc_lo, 1, v1
	s_cbranch_scc1 .LBB52_5
; %bb.1:
	s_load_b64 s[34:35], s[0:1], 0x20
	s_and_b32 vcc_lo, exec_lo, vcc_lo
	s_waitcnt lgkmcnt(0)
	s_mov_b32 s33, s34
	s_cbranch_vccnz .LBB52_3
; %bb.2:
	s_load_b32 s33, s[34:35], 0x0
.LBB52_3:
	s_and_not1_b32 vcc_lo, exec_lo, s8
	s_cbranch_vccnz .LBB52_5
; %bb.4:
	s_load_b32 s35, s[34:35], 0x4
.LBB52_5:
	s_bitcmp1_b32 s3, 8
	s_mov_b32 s57, 0
	s_cselect_b32 s34, -1, 0
	s_bfe_u32 s3, s3, 0x10008
	s_mov_b32 s56, 0
	s_cmp_eq_u32 s3, 0
	s_cbranch_scc1 .LBB52_11
; %bb.6:
	v_cmp_ne_u32_e32 vcc_lo, 1, v1
	s_mov_b32 s56, s40
	s_cbranch_vccnz .LBB52_8
; %bb.7:
	s_load_b32 s56, s[40:41], 0x0
.LBB52_8:
	v_cmp_ne_u32_e32 vcc_lo, 1, v1
	s_cbranch_vccnz .LBB52_10
; %bb.9:
	s_load_b32 s41, s[40:41], 0x4
.LBB52_10:
	s_waitcnt lgkmcnt(0)
	s_mov_b32 s57, s41
.LBB52_11:
	s_cmp_eq_u64 s[6:7], 0
	s_cbranch_scc1 .LBB52_13
; %bb.12:
	s_load_b32 s3, s[4:5], 0x0
	s_waitcnt lgkmcnt(0)
	s_add_i32 s2, s3, s2
	s_mov_b32 s3, 0
	s_delay_alu instid0(SALU_CYCLE_1) | instskip(NEXT) | instid1(SALU_CYCLE_1)
	s_lshl_b64 s[2:3], s[2:3], 2
	s_add_u32 s2, s6, s2
	s_addc_u32 s3, s7, s3
	s_load_b32 s2, s[2:3], 0x0
.LBB52_13:
	s_mov_b32 s40, 0
	s_and_not1_b32 vcc_lo, exec_lo, s13
	s_mov_b32 s41, 0
	s_cbranch_vccz .LBB52_16
; %bb.14:
	s_and_not1_b32 vcc_lo, exec_lo, s13
	s_cbranch_vccz .LBB52_17
.LBB52_15:
	s_load_b128 s[52:55], s[0:1], 0x0
	s_waitcnt lgkmcnt(0)
	s_cmp_lt_i32 s53, 1
	s_cbranch_scc0 .LBB52_18
	s_branch .LBB52_105
.LBB52_16:
	s_waitcnt lgkmcnt(0)
	s_ashr_i32 s3, s2, 31
	s_delay_alu instid0(SALU_CYCLE_1) | instskip(NEXT) | instid1(SALU_CYCLE_1)
	s_lshl_b64 s[4:5], s[2:3], 2
	s_add_u32 s4, s44, s4
	s_addc_u32 s5, s45, s5
	s_load_b32 s3, s[4:5], 0x0
	s_waitcnt lgkmcnt(0)
	s_sub_i32 s41, s3, s20
	s_and_not1_b32 vcc_lo, exec_lo, s13
	s_cbranch_vccnz .LBB52_15
.LBB52_17:
	s_waitcnt lgkmcnt(0)
	s_ashr_i32 s3, s2, 31
	s_delay_alu instid0(SALU_CYCLE_1) | instskip(NEXT) | instid1(SALU_CYCLE_1)
	s_lshl_b64 s[4:5], s[2:3], 2
	s_add_u32 s4, s44, s4
	s_addc_u32 s5, s45, s5
	s_load_b32 s3, s[4:5], 0x4
	s_waitcnt lgkmcnt(0)
	s_sub_i32 s40, s3, s20
	s_load_b128 s[52:55], s[0:1], 0x0
	s_waitcnt lgkmcnt(0)
	s_cmp_lt_i32 s53, 1
	s_cbranch_scc1 .LBB52_105
.LBB52_18:
	s_ashr_i32 s3, s2, 31
	v_bfe_u32 v2, v0, 1, 1
	s_lshl_b64 s[8:9], s[2:3], 2
	v_lshrrev_b32_e32 v12, 2, v0
	s_add_u32 s0, s28, s8
	s_addc_u32 s1, s29, s9
	v_add_co_u32 v5, s44, v0, -1
	s_load_b32 s5, s[0:1], 0x0
	v_lshlrev_b32_e32 v4, 2, v0
	v_lshlrev_b32_e32 v7, 3, v2
	s_delay_alu instid0(VALU_DEP_3)
	v_lshl_add_u32 v18, v5, 2, 0x2800
	v_lshlrev_b32_e32 v5, 5, v12
	v_cmp_gt_u32_e64 s0, 0x100, v0
	v_cmp_eq_u32_e64 s1, 0, v0
	v_cmp_ne_u32_e64 s2, 0, v0
	v_cmp_lt_u32_e64 s3, 1, v0
	v_or3_b32 v26, v5, v7, 0x2000
	v_mov_b32_e32 v5, 0
	v_lshlrev_b32_e32 v13, 3, v0
	v_or_b32_e32 v17, 0x2800, v4
	v_add_nc_u32_e32 v19, 0x27f8, v4
	v_dual_mov_b32 v31, 1 :: v_dual_add_nc_u32 v20, 0x27f0, v4
	v_add_nc_u32_e32 v21, 0x27e0, v4
	v_add_nc_u32_e32 v22, 0x27c0, v4
	;; [unrolled: 1-line block ×4, first 2 shown]
	s_waitcnt lgkmcnt(0)
	s_sub_i32 s14, s5, s22
	s_delay_alu instid0(SALU_CYCLE_1) | instskip(SKIP_3) | instid1(VALU_DEP_2)
	v_dual_mov_b32 v30, s14 :: v_dual_and_b32 v1, 1, v0
	s_cmp_lt_i32 s41, s40
	v_add_nc_u32_e32 v25, 0x2600, v4
	s_cselect_b32 s15, -1, 0
	v_max_i32_e32 v6, v1, v2
	s_cmp_eq_u32 s52, 0
	v_subrev_nc_u32_e32 v16, s23, v12
	s_cselect_b32 vcc_lo, -1, 0
	v_dual_cndmask_b32 v4, v2, v1 :: v_dual_and_b32 v3, 3, v0
	v_and_b32_e32 v14, 2, v0
	v_cmp_gt_i32_e64 s5, s54, v6
	v_cmp_le_i32_e64 s6, s54, v6
	v_and_b32_e32 v6, 0xfc, v0
	s_cmp_lg_u32 s52, 0
	v_cmp_eq_u32_e64 s4, 3, v3
	v_cndmask_b32_e32 v3, v1, v2, vcc_lo
	s_cselect_b32 s45, -1, 0
	s_cmp_gt_i32 s54, 0
	v_or3_b32 v8, v6, v14, v1
	s_cselect_b32 s52, -1, 0
	s_add_u32 s28, s42, s8
	s_addc_u32 s29, s43, s9
	s_and_b32 s42, s13, s15
	s_movk_i32 s13, 0x7f0
	v_cmp_lt_u32_e64 s7, 3, v0
	v_cmp_lt_u32_e64 s8, 7, v0
	;; [unrolled: 1-line block ×6, first 2 shown]
	v_or_b32_e32 v0, 0xffffff00, v0
	v_dual_mov_b32 v33, 0x100 :: v_dual_lshlrev_b32 v28, 3, v8
	v_or_b32_e32 v29, 0x2800, v6
	v_mov_b32_e32 v6, v5
	v_or_b32_e32 v15, 0x2000, v13
	v_and_or_b32 v27, v13, s13, 0x2000
	v_mov_b32_e32 v32, v5
	s_mul_i32 s55, s54, s54
	s_add_u32 s43, s50, 4
	s_addc_u32 s58, s51, 0
	s_lshl_b32 s59, s55, 6
	s_branch .LBB52_20
.LBB52_19:                              ;   in Loop: Header=BB52_20 Depth=1
	s_set_inst_prefetch_distance 0x2
	s_or_b32 exec_lo, exec_lo, s13
	s_waitcnt_vscnt null, 0x0
	s_barrier
	buffer_gl0_inv
	ds_load_b32 v32, v5 offset:11264
	v_add_nc_u32_e32 v30, v9, v30
	s_waitcnt lgkmcnt(0)
	s_barrier
	buffer_gl0_inv
	v_cmp_le_i32_e32 vcc_lo, s53, v32
	v_add_nc_u32_e32 v33, 0x100, v32
	s_cbranch_vccnz .LBB52_105
.LBB52_20:                              ; =>This Loop Header: Depth=1
                                        ;     Child Loop BB52_23 Depth 2
                                        ;     Child Loop BB52_29 Depth 2
                                        ;       Child Loop BB52_43 Depth 3
                                        ;         Child Loop BB52_52 Depth 4
                                        ;         Child Loop BB52_57 Depth 4
                                        ;     Child Loop BB52_68 Depth 2
                                        ;     Child Loop BB52_77 Depth 2
	;; [unrolled: 1-line block ×3, first 2 shown]
	s_and_saveexec_b32 s13, s0
	s_cbranch_execz .LBB52_22
; %bb.21:                               ;   in Loop: Header=BB52_20 Depth=1
	ds_store_b32 v17, v5
.LBB52_22:                              ;   in Loop: Header=BB52_20 Depth=1
	s_or_b32 exec_lo, exec_lo, s13
	v_dual_mov_b32 v7, v13 :: v_dual_mov_b32 v8, v0
	s_mov_b32 s13, 0
.LBB52_23:                              ;   Parent Loop BB52_20 Depth=1
                                        ; =>  This Inner Loop Header: Depth=2
	s_delay_alu instid0(VALU_DEP_1) | instskip(SKIP_4) | instid1(SALU_CYCLE_1)
	v_add_nc_u32_e32 v8, 0x100, v8
	ds_store_b64 v7, v[5:6]
	v_add_nc_u32_e32 v7, 0x800, v7
	v_cmp_lt_u32_e32 vcc_lo, 0x2ff, v8
	s_or_b32 s13, vcc_lo, s13
	s_and_not1_b32 exec_lo, exec_lo, s13
	s_cbranch_execnz .LBB52_23
; %bb.24:                               ;   in Loop: Header=BB52_20 Depth=1
	s_or_b32 exec_lo, exec_lo, s13
	s_and_saveexec_b32 s13, s1
	s_cbranch_execz .LBB52_26
; %bb.25:                               ;   in Loop: Header=BB52_20 Depth=1
	v_mov_b32_e32 v7, s53
	ds_store_b32 v5, v7 offset:11264
.LBB52_26:                              ;   in Loop: Header=BB52_20 Depth=1
	s_or_b32 exec_lo, exec_lo, s13
	v_mov_b32_e32 v34, s53
	s_and_not1_b32 vcc_lo, exec_lo, s42
	s_waitcnt lgkmcnt(0)
	s_barrier
	buffer_gl0_inv
	s_cbranch_vccnz .LBB52_63
; %bb.27:                               ;   in Loop: Header=BB52_20 Depth=1
	v_cmp_ne_u32_e64 s13, 0, v32
	v_mov_b32_e32 v34, s53
	s_mov_b32 s60, s41
	s_branch .LBB52_29
.LBB52_28:                              ;   in Loop: Header=BB52_29 Depth=2
	s_or_b32 exec_lo, exec_lo, s15
	s_add_i32 s60, s60, 64
	s_delay_alu instid0(SALU_CYCLE_1)
	s_cmp_lt_i32 s60, s40
	s_cbranch_scc0 .LBB52_63
.LBB52_29:                              ;   Parent Loop BB52_20 Depth=1
                                        ; =>  This Loop Header: Depth=2
                                        ;       Child Loop BB52_43 Depth 3
                                        ;         Child Loop BB52_52 Depth 4
                                        ;         Child Loop BB52_57 Depth 4
	v_add_nc_u32_e32 v7, s60, v12
	s_waitcnt_vscnt null, 0x0
	s_barrier
	buffer_gl0_inv
	v_cmp_gt_i32_e64 s14, s40, v7
	s_delay_alu instid0(VALU_DEP_1)
	s_and_saveexec_b32 s15, s14
	s_cbranch_execz .LBB52_34
; %bb.30:                               ;   in Loop: Header=BB52_29 Depth=2
	s_and_saveexec_b32 s61, s6
	s_delay_alu instid0(SALU_CYCLE_1)
	s_xor_b32 s61, exec_lo, s61
	s_cbranch_execz .LBB52_32
; %bb.31:                               ;   in Loop: Header=BB52_29 Depth=2
	ds_store_b64 v15, v[5:6]
.LBB52_32:                              ;   in Loop: Header=BB52_29 Depth=2
	s_and_not1_saveexec_b32 s61, s61
	s_cbranch_execz .LBB52_34
; %bb.33:                               ;   in Loop: Header=BB52_29 Depth=2
	v_mad_u64_u32 v[8:9], null, v7, s54, v[2:3]
	s_delay_alu instid0(VALU_DEP_1) | instskip(NEXT) | instid1(VALU_DEP_1)
	v_mad_u64_u32 v[9:10], null, v8, s54, v[1:2]
	v_ashrrev_i32_e32 v10, 31, v9
	s_delay_alu instid0(VALU_DEP_1) | instskip(NEXT) | instid1(VALU_DEP_1)
	v_lshlrev_b64 v[8:9], 3, v[9:10]
	v_add_co_u32 v8, vcc_lo, s48, v8
	s_delay_alu instid0(VALU_DEP_2)
	v_add_co_ci_u32_e32 v9, vcc_lo, s49, v9, vcc_lo
	global_load_b64 v[8:9], v[8:9], off
	s_waitcnt vmcnt(0)
	ds_store_b64 v15, v[8:9]
.LBB52_34:                              ;   in Loop: Header=BB52_29 Depth=2
	s_or_b32 exec_lo, exec_lo, s15
	v_mov_b32_e32 v35, 0
	s_waitcnt lgkmcnt(0)
	s_barrier
	buffer_gl0_inv
	s_and_saveexec_b32 s61, s14
	s_cbranch_execz .LBB52_60
; %bb.35:                               ;   in Loop: Header=BB52_29 Depth=2
	v_ashrrev_i32_e32 v8, 31, v7
	s_delay_alu instid0(VALU_DEP_1) | instskip(NEXT) | instid1(VALU_DEP_1)
	v_lshlrev_b64 v[10:11], 2, v[7:8]
	v_add_co_u32 v8, vcc_lo, s46, v10
	s_delay_alu instid0(VALU_DEP_2) | instskip(SKIP_4) | instid1(VALU_DEP_1)
	v_add_co_ci_u32_e32 v9, vcc_lo, s47, v11, vcc_lo
	s_and_b32 vcc_lo, exec_lo, s13
	global_load_b32 v8, v[8:9], off
	s_waitcnt vmcnt(0)
	v_subrev_nc_u32_e32 v8, s20, v8
	v_ashrrev_i32_e32 v9, 31, v8
	s_cbranch_vccz .LBB52_62
; %bb.36:                               ;   in Loop: Header=BB52_29 Depth=2
	v_add_co_u32 v10, vcc_lo, s18, v10
	v_add_co_ci_u32_e32 v11, vcc_lo, s19, v11, vcc_lo
	global_load_b32 v35, v[10:11], off
	s_cbranch_execnz .LBB52_38
.LBB52_37:                              ;   in Loop: Header=BB52_29 Depth=2
	s_delay_alu instid0(VALU_DEP_1) | instskip(NEXT) | instid1(VALU_DEP_1)
	v_lshlrev_b64 v[10:11], 2, v[8:9]
	v_add_co_u32 v10, vcc_lo, s50, v10
	s_delay_alu instid0(VALU_DEP_2)
	v_add_co_ci_u32_e32 v11, vcc_lo, s51, v11, vcc_lo
	global_load_b32 v10, v[10:11], off
	s_waitcnt vmcnt(0)
	v_subrev_nc_u32_e32 v35, s21, v10
.LBB52_38:                              ;   in Loop: Header=BB52_29 Depth=2
	v_lshlrev_b64 v[8:9], 2, v[8:9]
	s_mov_b32 s62, exec_lo
	s_delay_alu instid0(VALU_DEP_1) | instskip(NEXT) | instid1(VALU_DEP_2)
	v_add_co_u32 v8, vcc_lo, s43, v8
	v_add_co_ci_u32_e32 v9, vcc_lo, s58, v9, vcc_lo
	global_load_b32 v8, v[8:9], off
	s_waitcnt vmcnt(0)
	v_subrev_nc_u32_e32 v36, s21, v8
	s_delay_alu instid0(VALU_DEP_1)
	v_cmpx_lt_i32_e64 v35, v36
	s_cbranch_execz .LBB52_59
; %bb.39:                               ;   in Loop: Header=BB52_29 Depth=2
	v_mad_u64_u32 v[8:9], null, s54, v35, v[1:2]
	s_mov_b32 s63, 0
	s_delay_alu instid0(VALU_DEP_1)
	v_mul_lo_u32 v37, s54, v8
	v_mad_u64_u32 v[8:9], null, s55, v35, v[1:2]
	v_mov_b32_e32 v9, v35
	s_branch .LBB52_43
.LBB52_40:                              ;   in Loop: Header=BB52_43 Depth=3
	v_or3_b32 v10, v38, v14, v1
	s_delay_alu instid0(VALU_DEP_2) | instskip(SKIP_1) | instid1(VALU_DEP_2)
	v_mul_f32_e64 v11, v40, -s35
	v_mul_f32_e32 v38, s33, v40
	v_dual_fmac_f32 v11, s33, v39 :: v_dual_lshlrev_b32 v10, 3, v10
	s_delay_alu instid0(VALU_DEP_2)
	v_fmac_f32_e32 v38, s35, v39
	ds_add_f32 v10, v11
	ds_add_f32 v10, v38 offset:4
.LBB52_41:                              ;   in Loop: Header=BB52_43 Depth=3
	s_or_b32 exec_lo, exec_lo, s66
	s_delay_alu instid0(SALU_CYCLE_1)
	s_or_b32 s64, s64, exec_lo
.LBB52_42:                              ;   in Loop: Header=BB52_43 Depth=3
	s_or_b32 exec_lo, exec_lo, s65
	v_add_nc_u32_e32 v9, 1, v9
	s_xor_b32 s15, s64, -1
	v_add_nc_u32_e32 v37, s55, v37
	v_add_nc_u32_e32 v8, s55, v8
	s_delay_alu instid0(VALU_DEP_3) | instskip(SKIP_1) | instid1(SALU_CYCLE_1)
	v_cmp_ge_i32_e32 vcc_lo, v9, v36
	s_or_b32 s15, s15, vcc_lo
	s_and_b32 s15, exec_lo, s15
	s_delay_alu instid0(SALU_CYCLE_1) | instskip(NEXT) | instid1(SALU_CYCLE_1)
	s_or_b32 s63, s15, s63
	s_and_not1_b32 exec_lo, exec_lo, s63
	s_cbranch_execz .LBB52_58
.LBB52_43:                              ;   Parent Loop BB52_20 Depth=1
                                        ;     Parent Loop BB52_29 Depth=2
                                        ; =>    This Loop Header: Depth=3
                                        ;         Child Loop BB52_52 Depth 4
                                        ;         Child Loop BB52_57 Depth 4
	s_delay_alu instid0(VALU_DEP_1) | instskip(NEXT) | instid1(VALU_DEP_1)
	v_ashrrev_i32_e32 v10, 31, v9
                                        ; implicit-def: $sgpr64
	v_lshlrev_b64 v[10:11], 2, v[9:10]
	s_delay_alu instid0(VALU_DEP_1) | instskip(NEXT) | instid1(VALU_DEP_2)
	v_add_co_u32 v10, vcc_lo, s36, v10
	v_add_co_ci_u32_e32 v11, vcc_lo, s37, v11, vcc_lo
	global_load_b32 v10, v[10:11], off
	s_waitcnt vmcnt(0)
	v_subrev_nc_u32_e32 v10, s21, v10
	s_delay_alu instid0(VALU_DEP_1) | instskip(SKIP_1) | instid1(VALU_DEP_2)
	v_cmp_lt_i32_e64 s15, v10, v32
	v_cmp_ge_i32_e32 vcc_lo, v10, v33
	s_or_b32 s15, s15, vcc_lo
	s_delay_alu instid0(SALU_CYCLE_1) | instskip(NEXT) | instid1(SALU_CYCLE_1)
	s_and_saveexec_b32 s65, s15
	s_xor_b32 s15, exec_lo, s65
	s_cbranch_execz .LBB52_47
; %bb.44:                               ;   in Loop: Header=BB52_43 Depth=3
	s_mov_b32 s64, -1
	s_and_saveexec_b32 s65, vcc_lo
; %bb.45:                               ;   in Loop: Header=BB52_43 Depth=3
	v_min_i32_e32 v34, v10, v34
	v_mov_b32_e32 v35, v9
	s_xor_b32 s64, exec_lo, -1
; %bb.46:                               ;   in Loop: Header=BB52_43 Depth=3
	s_or_b32 exec_lo, exec_lo, s65
	s_delay_alu instid0(SALU_CYCLE_1)
	s_and_b32 s64, s64, exec_lo
                                        ; implicit-def: $vgpr10
.LBB52_47:                              ;   in Loop: Header=BB52_43 Depth=3
	s_and_not1_saveexec_b32 s65, s15
	s_cbranch_execz .LBB52_42
; %bb.48:                               ;   in Loop: Header=BB52_43 Depth=3
	v_sub_nc_u32_e32 v10, v10, v32
	s_delay_alu instid0(VALU_DEP_1)
	v_lshlrev_b32_e32 v38, 2, v10
	ds_store_b32 v38, v31 offset:10240
	s_and_saveexec_b32 s66, s5
	s_cbranch_execz .LBB52_41
; %bb.49:                               ;   in Loop: Header=BB52_43 Depth=3
	v_cndmask_b32_e64 v10, 0, 1, s52
	s_and_not1_b32 vcc_lo, exec_lo, s45
	s_delay_alu instid0(VALU_DEP_1)
	v_cmp_ne_u32_e64 s15, 1, v10
	s_cbranch_vccnz .LBB52_54
; %bb.50:                               ;   in Loop: Header=BB52_43 Depth=3
	v_dual_mov_b32 v39, 0 :: v_dual_mov_b32 v40, 0
	s_delay_alu instid0(VALU_DEP_2)
	s_and_b32 vcc_lo, exec_lo, s15
	s_mov_b32 s15, 0
	s_cbranch_vccnz .LBB52_53
; %bb.51:                               ;   in Loop: Header=BB52_43 Depth=3
	v_dual_mov_b32 v39, 0 :: v_dual_mov_b32 v10, v37
	v_dual_mov_b32 v41, v26 :: v_dual_mov_b32 v40, 0
	s_mov_b32 s67, s54
	.p2align	6
.LBB52_52:                              ;   Parent Loop BB52_20 Depth=1
                                        ;     Parent Loop BB52_29 Depth=2
                                        ;       Parent Loop BB52_43 Depth=3
                                        ; =>      This Inner Loop Header: Depth=4
	s_delay_alu instid0(VALU_DEP_2)
	v_ashrrev_i32_e32 v11, 31, v10
	ds_load_b64 v[44:45], v41
	s_add_i32 s67, s67, -1
	v_add_nc_u32_e32 v41, 16, v41
	s_cmp_lg_u32 s67, 0
	v_lshlrev_b64 v[42:43], 3, v[10:11]
	v_add_nc_u32_e32 v10, 1, v10
	s_delay_alu instid0(VALU_DEP_2) | instskip(NEXT) | instid1(VALU_DEP_3)
	v_add_co_u32 v42, vcc_lo, s38, v42
	v_add_co_ci_u32_e32 v43, vcc_lo, s39, v43, vcc_lo
	global_load_b64 v[42:43], v[42:43], off
	s_waitcnt vmcnt(0) lgkmcnt(0)
	v_fmac_f32_e32 v39, v44, v42
	v_fmac_f32_e32 v40, v45, v42
	s_delay_alu instid0(VALU_DEP_2) | instskip(NEXT) | instid1(VALU_DEP_2)
	v_fma_f32 v39, -v45, v43, v39
	v_fmac_f32_e32 v40, v44, v43
	s_cbranch_scc1 .LBB52_52
.LBB52_53:                              ;   in Loop: Header=BB52_43 Depth=3
	s_and_not1_b32 vcc_lo, exec_lo, s15
	s_cbranch_vccnz .LBB52_40
	s_branch .LBB52_55
.LBB52_54:                              ;   in Loop: Header=BB52_43 Depth=3
                                        ; implicit-def: $vgpr39
                                        ; implicit-def: $vgpr40
.LBB52_55:                              ;   in Loop: Header=BB52_43 Depth=3
	v_dual_mov_b32 v39, 0 :: v_dual_mov_b32 v40, 0
	s_and_not1_b32 vcc_lo, exec_lo, s52
	s_cbranch_vccnz .LBB52_40
; %bb.56:                               ;   in Loop: Header=BB52_43 Depth=3
	v_dual_mov_b32 v39, 0 :: v_dual_mov_b32 v10, v8
	v_dual_mov_b32 v41, v27 :: v_dual_mov_b32 v40, 0
	s_mov_b32 s15, s54
	.p2align	6
.LBB52_57:                              ;   Parent Loop BB52_20 Depth=1
                                        ;     Parent Loop BB52_29 Depth=2
                                        ;       Parent Loop BB52_43 Depth=3
                                        ; =>      This Inner Loop Header: Depth=4
	s_delay_alu instid0(VALU_DEP_2)
	v_ashrrev_i32_e32 v11, 31, v10
	ds_load_b64 v[44:45], v41
	s_add_i32 s15, s15, -1
	v_add_nc_u32_e32 v41, 8, v41
	s_cmp_eq_u32 s15, 0
	v_lshlrev_b64 v[42:43], 3, v[10:11]
	v_add_nc_u32_e32 v10, s54, v10
	s_delay_alu instid0(VALU_DEP_2) | instskip(NEXT) | instid1(VALU_DEP_3)
	v_add_co_u32 v42, vcc_lo, s38, v42
	v_add_co_ci_u32_e32 v43, vcc_lo, s39, v43, vcc_lo
	global_load_b64 v[42:43], v[42:43], off
	s_waitcnt vmcnt(0) lgkmcnt(0)
	v_fmac_f32_e32 v39, v44, v42
	v_fmac_f32_e32 v40, v45, v42
	s_delay_alu instid0(VALU_DEP_2) | instskip(NEXT) | instid1(VALU_DEP_2)
	v_fma_f32 v39, -v45, v43, v39
	v_fmac_f32_e32 v40, v44, v43
	s_cbranch_scc0 .LBB52_57
	s_branch .LBB52_40
.LBB52_58:                              ;   in Loop: Header=BB52_29 Depth=2
	s_or_b32 exec_lo, exec_lo, s63
.LBB52_59:                              ;   in Loop: Header=BB52_29 Depth=2
	s_delay_alu instid0(SALU_CYCLE_1)
	s_or_b32 exec_lo, exec_lo, s62
.LBB52_60:                              ;   in Loop: Header=BB52_29 Depth=2
	s_delay_alu instid0(SALU_CYCLE_1)
	s_or_b32 exec_lo, exec_lo, s61
	s_waitcnt lgkmcnt(0)
	s_barrier
	buffer_gl0_inv
	s_and_saveexec_b32 s15, s14
	s_cbranch_execz .LBB52_28
; %bb.61:                               ;   in Loop: Header=BB52_29 Depth=2
	v_ashrrev_i32_e32 v8, 31, v7
	s_delay_alu instid0(VALU_DEP_1) | instskip(NEXT) | instid1(VALU_DEP_1)
	v_lshlrev_b64 v[7:8], 2, v[7:8]
	v_add_co_u32 v7, vcc_lo, s18, v7
	s_delay_alu instid0(VALU_DEP_2)
	v_add_co_ci_u32_e32 v8, vcc_lo, s19, v8, vcc_lo
	global_store_b32 v[7:8], v35, off
	s_branch .LBB52_28
.LBB52_62:                              ;   in Loop: Header=BB52_29 Depth=2
                                        ; implicit-def: $vgpr35
	s_branch .LBB52_37
.LBB52_63:                              ;   in Loop: Header=BB52_20 Depth=1
	s_and_not1_b32 vcc_lo, exec_lo, s34
	s_cbranch_vccnz .LBB52_75
; %bb.64:                               ;   in Loop: Header=BB52_20 Depth=1
	s_load_b64 s[14:15], s[28:29], 0x0
	s_waitcnt lgkmcnt(0)
	v_add_nc_u32_e32 v7, s14, v16
	s_sub_i32 s60, s15, s23
	s_mov_b32 s15, exec_lo
	s_delay_alu instid0(VALU_DEP_1)
	v_cmpx_gt_i32_e64 s60, v7
	s_cbranch_execz .LBB52_74
; %bb.65:                               ;   in Loop: Header=BB52_20 Depth=1
	v_mad_u64_u32 v[8:9], null, s54, v7, v[3:4]
	s_mov_b32 s61, 0
	s_delay_alu instid0(VALU_DEP_1)
	v_mad_u64_u32 v[9:10], null, s54, v8, v[4:5]
	s_branch .LBB52_68
.LBB52_66:                              ;   in Loop: Header=BB52_68 Depth=2
	s_or_b32 exec_lo, exec_lo, s62
	s_delay_alu instid0(SALU_CYCLE_1)
	s_or_b32 s13, s13, exec_lo
.LBB52_67:                              ;   in Loop: Header=BB52_68 Depth=2
	s_or_b32 exec_lo, exec_lo, s14
	v_add_nc_u32_e32 v7, 64, v7
	s_xor_b32 s13, s13, -1
	v_add_nc_u32_e32 v9, s59, v9
	s_delay_alu instid0(VALU_DEP_2) | instskip(SKIP_1) | instid1(SALU_CYCLE_1)
	v_cmp_le_i32_e32 vcc_lo, s60, v7
	s_or_b32 s13, vcc_lo, s13
	s_and_b32 s13, exec_lo, s13
	s_delay_alu instid0(SALU_CYCLE_1) | instskip(NEXT) | instid1(SALU_CYCLE_1)
	s_or_b32 s61, s13, s61
	s_and_not1_b32 exec_lo, exec_lo, s61
	s_cbranch_execz .LBB52_73
.LBB52_68:                              ;   Parent Loop BB52_20 Depth=1
                                        ; =>  This Inner Loop Header: Depth=2
	v_ashrrev_i32_e32 v8, 31, v7
	s_delay_alu instid0(VALU_DEP_1) | instskip(NEXT) | instid1(VALU_DEP_1)
	v_lshlrev_b64 v[10:11], 2, v[7:8]
	v_add_co_u32 v10, vcc_lo, s24, v10
	s_delay_alu instid0(VALU_DEP_2) | instskip(SKIP_3) | instid1(VALU_DEP_1)
	v_add_co_ci_u32_e32 v11, vcc_lo, s25, v11, vcc_lo
	global_load_b32 v8, v[10:11], off
	s_waitcnt vmcnt(0)
	v_subrev_nc_u32_e32 v8, s23, v8
	v_cmp_lt_i32_e64 s13, v8, v32
	v_cmp_ge_i32_e64 s14, v8, v33
	v_cmp_lt_i32_e32 vcc_lo, v8, v33
	s_delay_alu instid0(VALU_DEP_2) | instskip(NEXT) | instid1(SALU_CYCLE_1)
	s_or_b32 s14, s13, s14
                                        ; implicit-def: $sgpr13
	s_and_saveexec_b32 s62, s14
	s_delay_alu instid0(SALU_CYCLE_1)
	s_xor_b32 s14, exec_lo, s62
; %bb.69:                               ;   in Loop: Header=BB52_68 Depth=2
	v_min_i32_e32 v8, v8, v34
	s_and_b32 s13, vcc_lo, exec_lo
	s_delay_alu instid0(VALU_DEP_1)
	v_cndmask_b32_e32 v34, v8, v34, vcc_lo
                                        ; implicit-def: $vgpr8
; %bb.70:                               ;   in Loop: Header=BB52_68 Depth=2
	s_and_not1_saveexec_b32 s14, s14
	s_cbranch_execz .LBB52_67
; %bb.71:                               ;   in Loop: Header=BB52_68 Depth=2
	v_sub_nc_u32_e32 v8, v8, v32
	s_delay_alu instid0(VALU_DEP_1)
	v_lshlrev_b32_e32 v8, 2, v8
	ds_store_b32 v8, v31 offset:10240
	s_and_saveexec_b32 s62, s5
	s_cbranch_execz .LBB52_66
; %bb.72:                               ;   in Loop: Header=BB52_68 Depth=2
	v_ashrrev_i32_e32 v10, 31, v9
	v_or3_b32 v8, v8, v14, v1
	s_delay_alu instid0(VALU_DEP_2) | instskip(NEXT) | instid1(VALU_DEP_2)
	v_lshlrev_b64 v[10:11], 3, v[9:10]
	v_lshlrev_b32_e32 v8, 3, v8
	s_delay_alu instid0(VALU_DEP_2) | instskip(NEXT) | instid1(VALU_DEP_3)
	v_add_co_u32 v10, vcc_lo, s26, v10
	v_add_co_ci_u32_e32 v11, vcc_lo, s27, v11, vcc_lo
	global_load_b64 v[10:11], v[10:11], off
	s_waitcnt vmcnt(0)
	v_mul_f32_e64 v35, v11, -s57
	v_mul_f32_e32 v11, s56, v11
	s_delay_alu instid0(VALU_DEP_2) | instskip(NEXT) | instid1(VALU_DEP_2)
	v_fmac_f32_e32 v35, s56, v10
	v_fmac_f32_e32 v11, s57, v10
	ds_add_f32 v8, v35
	ds_add_f32 v8, v11 offset:4
	s_branch .LBB52_66
.LBB52_73:                              ;   in Loop: Header=BB52_20 Depth=1
	s_or_b32 exec_lo, exec_lo, s61
.LBB52_74:                              ;   in Loop: Header=BB52_20 Depth=1
	s_delay_alu instid0(SALU_CYCLE_1)
	s_or_b32 exec_lo, exec_lo, s15
.LBB52_75:                              ;   in Loop: Header=BB52_20 Depth=1
	s_and_saveexec_b32 s13, s4
	s_cbranch_execz .LBB52_80
; %bb.76:                               ;   in Loop: Header=BB52_20 Depth=1
	s_mov_b32 s15, exec_lo
	s_brev_b32 s14, -2
.LBB52_77:                              ;   Parent Loop BB52_20 Depth=1
                                        ; =>  This Inner Loop Header: Depth=2
	s_ctz_i32_b32 s60, s15
	s_delay_alu instid0(SALU_CYCLE_1) | instskip(SKIP_1) | instid1(SALU_CYCLE_1)
	v_readlane_b32 s61, v34, s60
	s_lshl_b32 s60, 1, s60
	s_and_not1_b32 s15, s15, s60
	s_delay_alu instid0(VALU_DEP_1)
	s_min_i32 s14, s14, s61
	s_cmp_lg_u32 s15, 0
	s_cbranch_scc1 .LBB52_77
; %bb.78:                               ;   in Loop: Header=BB52_20 Depth=1
	v_mbcnt_lo_u32_b32 v7, exec_lo, 0
	s_mov_b32 s15, exec_lo
	s_delay_alu instid0(VALU_DEP_1)
	v_cmpx_eq_u32_e32 0, v7
	s_xor_b32 s15, exec_lo, s15
	s_cbranch_execz .LBB52_80
; %bb.79:                               ;   in Loop: Header=BB52_20 Depth=1
	v_mov_b32_e32 v7, s14
	ds_min_i32 v5, v7 offset:11264
.LBB52_80:                              ;   in Loop: Header=BB52_20 Depth=1
	s_or_b32 exec_lo, exec_lo, s13
	s_waitcnt lgkmcnt(0)
	s_waitcnt_vscnt null, 0x0
	s_barrier
	buffer_gl0_inv
	ds_load_b32 v7, v17
	s_waitcnt lgkmcnt(0)
	s_barrier
	buffer_gl0_inv
	s_and_saveexec_b32 s13, s2
	s_cbranch_execz .LBB52_82
; %bb.81:                               ;   in Loop: Header=BB52_20 Depth=1
	ds_load_b32 v8, v18
	s_waitcnt lgkmcnt(0)
	v_add_nc_u32_e32 v7, v8, v7
.LBB52_82:                              ;   in Loop: Header=BB52_20 Depth=1
	s_or_b32 exec_lo, exec_lo, s13
	s_barrier
	buffer_gl0_inv
	ds_store_b32 v17, v7
	s_waitcnt lgkmcnt(0)
	s_barrier
	buffer_gl0_inv
	s_and_saveexec_b32 s13, s3
	s_cbranch_execz .LBB52_84
; %bb.83:                               ;   in Loop: Header=BB52_20 Depth=1
	ds_load_b32 v8, v19
	s_waitcnt lgkmcnt(0)
	v_add_nc_u32_e32 v7, v8, v7
.LBB52_84:                              ;   in Loop: Header=BB52_20 Depth=1
	s_or_b32 exec_lo, exec_lo, s13
	s_barrier
	buffer_gl0_inv
	ds_store_b32 v17, v7
	;; [unrolled: 14-line block ×8, first 2 shown]
	s_waitcnt lgkmcnt(0)
	s_barrier
	buffer_gl0_inv
	ds_load_b32 v9, v5 offset:11260
	v_mov_b32_e32 v8, 0
	s_and_saveexec_b32 s13, s44
	s_cbranch_execz .LBB52_98
; %bb.97:                               ;   in Loop: Header=BB52_20 Depth=1
	ds_load_b32 v8, v18
.LBB52_98:                              ;   in Loop: Header=BB52_20 Depth=1
	s_or_b32 exec_lo, exec_lo, s13
	s_waitcnt lgkmcnt(0)
	v_cmp_eq_u32_e32 vcc_lo, v7, v8
	s_barrier
	buffer_gl0_inv
	s_and_b32 s14, s44, vcc_lo
	s_delay_alu instid0(SALU_CYCLE_1)
	s_and_saveexec_b32 s13, s14
	s_cbranch_execz .LBB52_100
; %bb.99:                               ;   in Loop: Header=BB52_20 Depth=1
	ds_store_b32 v17, v5
.LBB52_100:                             ;   in Loop: Header=BB52_20 Depth=1
	s_or_b32 exec_lo, exec_lo, s13
	v_dual_mov_b32 v33, v28 :: v_dual_add_nc_u32 v10, -1, v30
	v_dual_mov_b32 v32, v29 :: v_dual_add_nc_u32 v11, s22, v32
	v_mov_b32_e32 v34, v12
	s_mov_b32 s13, 0
	s_waitcnt lgkmcnt(0)
	s_barrier
	buffer_gl0_inv
	s_set_inst_prefetch_distance 0x1
	s_branch .LBB52_102
	.p2align	6
.LBB52_101:                             ;   in Loop: Header=BB52_102 Depth=2
	s_or_b32 exec_lo, exec_lo, s14
	v_add_nc_u32_e32 v7, 64, v34
	v_cmp_lt_u32_e32 vcc_lo, 0xbf, v34
	v_add_nc_u32_e32 v33, 0x800, v33
	v_add_nc_u32_e32 v32, 0x100, v32
	s_delay_alu instid0(VALU_DEP_4) | instskip(SKIP_1) | instid1(SALU_CYCLE_1)
	v_mov_b32_e32 v34, v7
	s_or_b32 s13, vcc_lo, s13
	s_and_not1_b32 exec_lo, exec_lo, s13
	s_cbranch_execz .LBB52_19
.LBB52_102:                             ;   Parent Loop BB52_20 Depth=1
                                        ; =>  This Inner Loop Header: Depth=2
	ds_load_b32 v7, v32
	s_mov_b32 s14, exec_lo
	s_waitcnt lgkmcnt(0)
	v_cmpx_ne_u32_e32 0, v7
	s_cbranch_execz .LBB52_101
; %bb.103:                              ;   in Loop: Header=BB52_102 Depth=2
	v_add_nc_u32_e32 v7, v10, v7
	s_delay_alu instid0(VALU_DEP_1) | instskip(NEXT) | instid1(VALU_DEP_1)
	v_ashrrev_i32_e32 v8, 31, v7
	v_lshlrev_b64 v[35:36], 2, v[7:8]
	v_add_nc_u32_e32 v8, v11, v34
	s_delay_alu instid0(VALU_DEP_2) | instskip(NEXT) | instid1(VALU_DEP_3)
	v_add_co_u32 v35, vcc_lo, s30, v35
	v_add_co_ci_u32_e32 v36, vcc_lo, s31, v36, vcc_lo
	global_store_b32 v[35:36], v8, off
	s_and_b32 exec_lo, exec_lo, s5
	s_cbranch_execz .LBB52_101
; %bb.104:                              ;   in Loop: Header=BB52_102 Depth=2
	v_mad_u64_u32 v[35:36], null, v7, s54, v[3:4]
	s_delay_alu instid0(VALU_DEP_1) | instskip(SKIP_2) | instid1(VALU_DEP_1)
	v_mad_u64_u32 v[7:8], null, v35, s54, v[4:5]
	ds_load_b64 v[35:36], v33
	v_ashrrev_i32_e32 v8, 31, v7
	v_lshlrev_b64 v[7:8], 3, v[7:8]
	s_delay_alu instid0(VALU_DEP_1) | instskip(NEXT) | instid1(VALU_DEP_2)
	v_add_co_u32 v7, vcc_lo, s16, v7
	v_add_co_ci_u32_e32 v8, vcc_lo, s17, v8, vcc_lo
	s_waitcnt lgkmcnt(0)
	global_store_b64 v[7:8], v[35:36], off
	s_branch .LBB52_101
.LBB52_105:
	s_endpgm
	.section	.rodata,"a",@progbits
	.p2align	6, 0x0
	.amdhsa_kernel _ZN9rocsparseL38bsrgemm_block_per_row_atomic_multipassILj256ELj256ELj2Eii21rocsparse_complex_numIfEEEv20rocsparse_direction_T3_S4_PKS4_S6_NS_24const_host_device_scalarIT4_EEPKT2_S6_PKS8_SC_S6_SE_S9_SC_S6_SE_SC_PS4_PS8_PSA_21rocsparse_index_base_SI_SI_SI_bbb
		.amdhsa_group_segment_fixed_size 11268
		.amdhsa_private_segment_fixed_size 0
		.amdhsa_kernarg_size 172
		.amdhsa_user_sgpr_count 15
		.amdhsa_user_sgpr_dispatch_ptr 0
		.amdhsa_user_sgpr_queue_ptr 0
		.amdhsa_user_sgpr_kernarg_segment_ptr 1
		.amdhsa_user_sgpr_dispatch_id 0
		.amdhsa_user_sgpr_private_segment_size 0
		.amdhsa_wavefront_size32 1
		.amdhsa_uses_dynamic_stack 0
		.amdhsa_enable_private_segment 0
		.amdhsa_system_sgpr_workgroup_id_x 1
		.amdhsa_system_sgpr_workgroup_id_y 0
		.amdhsa_system_sgpr_workgroup_id_z 0
		.amdhsa_system_sgpr_workgroup_info 0
		.amdhsa_system_vgpr_workitem_id 0
		.amdhsa_next_free_vgpr 46
		.amdhsa_next_free_sgpr 68
		.amdhsa_reserve_vcc 1
		.amdhsa_float_round_mode_32 0
		.amdhsa_float_round_mode_16_64 0
		.amdhsa_float_denorm_mode_32 3
		.amdhsa_float_denorm_mode_16_64 3
		.amdhsa_dx10_clamp 1
		.amdhsa_ieee_mode 1
		.amdhsa_fp16_overflow 0
		.amdhsa_workgroup_processor_mode 1
		.amdhsa_memory_ordered 1
		.amdhsa_forward_progress 0
		.amdhsa_shared_vgpr_count 0
		.amdhsa_exception_fp_ieee_invalid_op 0
		.amdhsa_exception_fp_denorm_src 0
		.amdhsa_exception_fp_ieee_div_zero 0
		.amdhsa_exception_fp_ieee_overflow 0
		.amdhsa_exception_fp_ieee_underflow 0
		.amdhsa_exception_fp_ieee_inexact 0
		.amdhsa_exception_int_div_zero 0
	.end_amdhsa_kernel
	.section	.text._ZN9rocsparseL38bsrgemm_block_per_row_atomic_multipassILj256ELj256ELj2Eii21rocsparse_complex_numIfEEEv20rocsparse_direction_T3_S4_PKS4_S6_NS_24const_host_device_scalarIT4_EEPKT2_S6_PKS8_SC_S6_SE_S9_SC_S6_SE_SC_PS4_PS8_PSA_21rocsparse_index_base_SI_SI_SI_bbb,"axG",@progbits,_ZN9rocsparseL38bsrgemm_block_per_row_atomic_multipassILj256ELj256ELj2Eii21rocsparse_complex_numIfEEEv20rocsparse_direction_T3_S4_PKS4_S6_NS_24const_host_device_scalarIT4_EEPKT2_S6_PKS8_SC_S6_SE_S9_SC_S6_SE_SC_PS4_PS8_PSA_21rocsparse_index_base_SI_SI_SI_bbb,comdat
.Lfunc_end52:
	.size	_ZN9rocsparseL38bsrgemm_block_per_row_atomic_multipassILj256ELj256ELj2Eii21rocsparse_complex_numIfEEEv20rocsparse_direction_T3_S4_PKS4_S6_NS_24const_host_device_scalarIT4_EEPKT2_S6_PKS8_SC_S6_SE_S9_SC_S6_SE_SC_PS4_PS8_PSA_21rocsparse_index_base_SI_SI_SI_bbb, .Lfunc_end52-_ZN9rocsparseL38bsrgemm_block_per_row_atomic_multipassILj256ELj256ELj2Eii21rocsparse_complex_numIfEEEv20rocsparse_direction_T3_S4_PKS4_S6_NS_24const_host_device_scalarIT4_EEPKT2_S6_PKS8_SC_S6_SE_S9_SC_S6_SE_SC_PS4_PS8_PSA_21rocsparse_index_base_SI_SI_SI_bbb
                                        ; -- End function
	.section	.AMDGPU.csdata,"",@progbits
; Kernel info:
; codeLenInByte = 3608
; NumSgprs: 70
; NumVgprs: 46
; ScratchSize: 0
; MemoryBound: 0
; FloatMode: 240
; IeeeMode: 1
; LDSByteSize: 11268 bytes/workgroup (compile time only)
; SGPRBlocks: 8
; VGPRBlocks: 5
; NumSGPRsForWavesPerEU: 70
; NumVGPRsForWavesPerEU: 46
; Occupancy: 16
; WaveLimiterHint : 1
; COMPUTE_PGM_RSRC2:SCRATCH_EN: 0
; COMPUTE_PGM_RSRC2:USER_SGPR: 15
; COMPUTE_PGM_RSRC2:TRAP_HANDLER: 0
; COMPUTE_PGM_RSRC2:TGID_X_EN: 1
; COMPUTE_PGM_RSRC2:TGID_Y_EN: 0
; COMPUTE_PGM_RSRC2:TGID_Z_EN: 0
; COMPUTE_PGM_RSRC2:TIDIG_COMP_CNT: 0
	.section	.text._ZN9rocsparseL23bsrgemm_fill_wf_per_rowILj256ELj64ELj8ELj137ELj4Eii21rocsparse_complex_numIfEEEv20rocsparse_direction_T5_S4_S4_PKS4_S6_NS_24const_host_device_scalarIT6_EEPKT4_S6_PKS8_SC_S6_SE_S9_SC_S6_SE_SC_PS4_PS8_21rocsparse_index_base_SH_SH_SH_bbb,"axG",@progbits,_ZN9rocsparseL23bsrgemm_fill_wf_per_rowILj256ELj64ELj8ELj137ELj4Eii21rocsparse_complex_numIfEEEv20rocsparse_direction_T5_S4_S4_PKS4_S6_NS_24const_host_device_scalarIT6_EEPKT4_S6_PKS8_SC_S6_SE_S9_SC_S6_SE_SC_PS4_PS8_21rocsparse_index_base_SH_SH_SH_bbb,comdat
	.globl	_ZN9rocsparseL23bsrgemm_fill_wf_per_rowILj256ELj64ELj8ELj137ELj4Eii21rocsparse_complex_numIfEEEv20rocsparse_direction_T5_S4_S4_PKS4_S6_NS_24const_host_device_scalarIT6_EEPKT4_S6_PKS8_SC_S6_SE_S9_SC_S6_SE_SC_PS4_PS8_21rocsparse_index_base_SH_SH_SH_bbb ; -- Begin function _ZN9rocsparseL23bsrgemm_fill_wf_per_rowILj256ELj64ELj8ELj137ELj4Eii21rocsparse_complex_numIfEEEv20rocsparse_direction_T5_S4_S4_PKS4_S6_NS_24const_host_device_scalarIT6_EEPKT4_S6_PKS8_SC_S6_SE_S9_SC_S6_SE_SC_PS4_PS8_21rocsparse_index_base_SH_SH_SH_bbb
	.p2align	8
	.type	_ZN9rocsparseL23bsrgemm_fill_wf_per_rowILj256ELj64ELj8ELj137ELj4Eii21rocsparse_complex_numIfEEEv20rocsparse_direction_T5_S4_S4_PKS4_S6_NS_24const_host_device_scalarIT6_EEPKT4_S6_PKS8_SC_S6_SE_S9_SC_S6_SE_SC_PS4_PS8_21rocsparse_index_base_SH_SH_SH_bbb,@function
_ZN9rocsparseL23bsrgemm_fill_wf_per_rowILj256ELj64ELj8ELj137ELj4Eii21rocsparse_complex_numIfEEEv20rocsparse_direction_T5_S4_S4_PKS4_S6_NS_24const_host_device_scalarIT6_EEPKT4_S6_PKS8_SC_S6_SE_S9_SC_S6_SE_SC_PS4_PS8_21rocsparse_index_base_SH_SH_SH_bbb: ; @_ZN9rocsparseL23bsrgemm_fill_wf_per_rowILj256ELj64ELj8ELj137ELj4Eii21rocsparse_complex_numIfEEEv20rocsparse_direction_T5_S4_S4_PKS4_S6_NS_24const_host_device_scalarIT6_EEPKT4_S6_PKS8_SC_S6_SE_S9_SC_S6_SE_SC_PS4_PS8_21rocsparse_index_base_SH_SH_SH_bbb
; %bb.0:
	s_clause 0x6
	s_load_b32 s14, s[0:1], 0xa0
	s_load_b256 s[4:11], s[0:1], 0x68
	s_load_b256 s[16:23], s[0:1], 0x48
	s_load_b128 s[44:47], s[0:1], 0x10
	s_load_b256 s[24:31], s[0:1], 0x28
	s_load_b64 s[2:3], s[0:1], 0x88
	s_load_b128 s[36:39], s[0:1], 0x90
	s_mov_b32 s13, 0
	s_mov_b32 s33, 0
	s_waitcnt lgkmcnt(0)
	s_bitcmp1_b32 s14, 0
	s_cselect_b32 s35, -1, 0
	s_bitcmp1_b32 s14, 16
	s_cselect_b32 s12, -1, 0
	s_delay_alu instid0(SALU_CYCLE_1) | instskip(SKIP_2) | instid1(VALU_DEP_1)
	s_xor_b32 s34, s12, -1
	s_bitcmp0_b32 s14, 0
	v_cndmask_b32_e64 v1, 0, 1, s34
	v_cmp_ne_u32_e32 vcc_lo, 1, v1
	s_cbranch_scc1 .LBB53_5
; %bb.1:
	s_load_b64 s[12:13], s[0:1], 0x20
	s_and_b32 vcc_lo, exec_lo, vcc_lo
	s_waitcnt lgkmcnt(0)
	s_mov_b32 s33, s12
	s_cbranch_vccnz .LBB53_3
; %bb.2:
	s_load_b32 s33, s[12:13], 0x0
.LBB53_3:
	s_and_not1_b32 vcc_lo, exec_lo, s34
	s_cbranch_vccnz .LBB53_5
; %bb.4:
	s_load_b32 s13, s[12:13], 0x4
.LBB53_5:
	s_bitcmp1_b32 s14, 8
	s_cselect_b32 s34, -1, 0
	s_bfe_u32 s12, s14, 0x10008
	s_mov_b32 s14, 0
	s_cmp_eq_u32 s12, 0
	s_mov_b32 s12, 0
	s_cbranch_scc1 .LBB53_11
; %bb.6:
	v_cmp_ne_u32_e32 vcc_lo, 1, v1
	s_mov_b32 s12, s20
	s_cbranch_vccnz .LBB53_8
; %bb.7:
	s_load_b32 s12, s[20:21], 0x0
.LBB53_8:
	v_cmp_ne_u32_e32 vcc_lo, 1, v1
	s_cbranch_vccnz .LBB53_10
; %bb.9:
	s_load_b32 s21, s[20:21], 0x4
.LBB53_10:
	s_waitcnt lgkmcnt(0)
	s_mov_b32 s14, s21
.LBB53_11:
	s_load_b128 s[40:43], s[0:1], 0x0
	v_lshrrev_b32_e32 v22, 6, v0
	v_and_b32_e32 v4, 63, v0
	s_mov_b32 s0, exec_lo
	s_delay_alu instid0(VALU_DEP_2) | instskip(NEXT) | instid1(VALU_DEP_2)
	v_lshl_or_b32 v21, v22, 5, 0x1000
	v_cmpx_gt_u32_e32 8, v4
	s_cbranch_execz .LBB53_13
; %bb.12:
	s_delay_alu instid0(VALU_DEP_2)
	v_lshl_add_u32 v1, v4, 2, v21
	s_waitcnt lgkmcnt(0)
	v_mov_b32_e32 v2, s42
	ds_store_b32 v1, v2
.LBB53_13:
	s_or_b32 exec_lo, exec_lo, s0
	v_mov_b32_e32 v1, 0
	v_lshlrev_b32_e32 v23, 10, v22
	v_or_b32_e32 v3, 0xffffffc0, v4
	s_mov_b32 s0, 0
	s_delay_alu instid0(VALU_DEP_3) | instskip(NEXT) | instid1(VALU_DEP_3)
	v_mov_b32_e32 v2, v1
	v_lshl_or_b32 v5, v4, 3, v23
.LBB53_14:                              ; =>This Inner Loop Header: Depth=1
	s_delay_alu instid0(VALU_DEP_3) | instskip(NEXT) | instid1(VALU_DEP_1)
	v_add_co_u32 v3, s1, v3, 64
	s_xor_b32 s1, s1, -1
	ds_store_b64 v5, v[1:2]
	v_add_nc_u32_e32 v5, 0x200, v5
	s_and_b32 s1, exec_lo, s1
	s_delay_alu instid0(SALU_CYCLE_1) | instskip(NEXT) | instid1(SALU_CYCLE_1)
	s_or_b32 s0, s1, s0
	s_and_not1_b32 exec_lo, exec_lo, s0
	s_cbranch_execnz .LBB53_14
; %bb.15:
	s_or_b32 exec_lo, exec_lo, s0
	v_lshl_or_b32 v2, s15, 2, v22
	s_waitcnt lgkmcnt(0)
	s_barrier
	buffer_gl0_inv
	s_mov_b32 s0, exec_lo
	v_cmpx_gt_i32_e64 s41, v2
	s_cbranch_execz .LBB53_71
; %bb.16:
	s_cmp_eq_u64 s[46:47], 0
	s_cbranch_scc1 .LBB53_18
; %bb.17:
	s_load_b32 s0, s[44:45], 0x0
	s_waitcnt lgkmcnt(0)
	v_add_nc_u32_e32 v1, s0, v2
	s_delay_alu instid0(VALU_DEP_1) | instskip(NEXT) | instid1(VALU_DEP_1)
	v_ashrrev_i32_e32 v2, 31, v1
	v_lshlrev_b64 v[1:2], 2, v[1:2]
	s_delay_alu instid0(VALU_DEP_1) | instskip(NEXT) | instid1(VALU_DEP_2)
	v_add_co_u32 v1, vcc_lo, s46, v1
	v_add_co_ci_u32_e32 v2, vcc_lo, s47, v2, vcc_lo
	global_load_b32 v2, v[1:2], off
.LBB53_18:
	s_waitcnt vmcnt(0)
	v_ashrrev_i32_e32 v3, 31, v2
	v_lshrrev_b32_e32 v24, 4, v4
	v_and_b32_e32 v1, 3, v0
	s_and_not1_b32 vcc_lo, exec_lo, s35
	s_delay_alu instid0(VALU_DEP_3)
	v_lshlrev_b64 v[3:4], 2, v[2:3]
	v_bfe_u32 v2, v0, 2, 2
	s_cbranch_vccnz .LBB53_48
; %bb.19:
	s_delay_alu instid0(VALU_DEP_2) | instskip(NEXT) | instid1(VALU_DEP_3)
	v_add_co_u32 v5, vcc_lo, s24, v3
	v_add_co_ci_u32_e32 v6, vcc_lo, s25, v4, vcc_lo
	v_subrev_nc_u32_e32 v7, s36, v24
	s_mov_b32 s15, exec_lo
	global_load_b64 v[5:6], v[5:6], off
	s_waitcnt vmcnt(0)
	v_subrev_nc_u32_e32 v25, s36, v6
	v_add_nc_u32_e32 v5, v5, v7
	s_delay_alu instid0(VALU_DEP_1)
	v_cmpx_lt_i32_e64 v5, v25
	s_cbranch_execz .LBB53_47
; %bb.20:
	v_max_i32_e32 v6, v1, v2
	s_cmp_lg_u32 s40, 0
	s_mul_i32 s25, s43, s43
	s_cselect_b32 s20, -1, 0
	s_cmp_gt_i32 s43, 0
	v_cmp_gt_i32_e64 s0, s43, v6
	v_mad_u64_u32 v[6:7], null, s43, v5, v[2:3]
	v_mad_u64_u32 v[7:8], null, s25, v5, v[2:3]
	s_cselect_b32 s24, -1, 0
	v_and_b32_e32 v26, 15, v0
	s_add_u32 s35, s18, 4
	v_cndmask_b32_e64 v27, 0, 1, s24
	s_delay_alu instid0(VALU_DEP_4)
	v_mul_lo_u32 v8, s43, v6
	s_addc_u32 s41, s19, 0
	s_lshl_b32 s44, s25, 2
	s_add_u32 s45, s28, 4
	s_mov_b32 s21, 0
	s_addc_u32 s46, s29, 0
	s_branch .LBB53_22
.LBB53_21:                              ;   in Loop: Header=BB53_22 Depth=1
	s_or_b32 exec_lo, exec_lo, s47
	v_add_nc_u32_e32 v5, 4, v5
	v_add_nc_u32_e32 v7, s44, v7
	;; [unrolled: 1-line block ×3, first 2 shown]
	s_delay_alu instid0(VALU_DEP_3) | instskip(SKIP_1) | instid1(SALU_CYCLE_1)
	v_cmp_ge_i32_e32 vcc_lo, v5, v25
	s_or_b32 s21, vcc_lo, s21
	s_and_not1_b32 exec_lo, exec_lo, s21
	s_cbranch_execz .LBB53_47
.LBB53_22:                              ; =>This Loop Header: Depth=1
                                        ;     Child Loop BB53_25 Depth 2
                                        ;       Child Loop BB53_29 Depth 3
                                        ;       Child Loop BB53_34 Depth 3
	;; [unrolled: 1-line block ×3, first 2 shown]
	v_ashrrev_i32_e32 v6, 31, v5
	s_mov_b32 s47, exec_lo
	s_delay_alu instid0(VALU_DEP_1) | instskip(NEXT) | instid1(VALU_DEP_1)
	v_lshlrev_b64 v[9:10], 2, v[5:6]
	v_add_co_u32 v9, vcc_lo, s26, v9
	s_delay_alu instid0(VALU_DEP_2) | instskip(SKIP_3) | instid1(VALU_DEP_1)
	v_add_co_ci_u32_e32 v10, vcc_lo, s27, v10, vcc_lo
	global_load_b32 v6, v[9:10], off
	s_waitcnt vmcnt(0)
	v_subrev_nc_u32_e32 v9, s36, v6
	v_ashrrev_i32_e32 v10, 31, v9
	s_delay_alu instid0(VALU_DEP_1) | instskip(NEXT) | instid1(VALU_DEP_1)
	v_lshlrev_b64 v[9:10], 2, v[9:10]
	v_add_co_u32 v9, vcc_lo, s30, v9
	s_delay_alu instid0(VALU_DEP_2)
	v_add_co_ci_u32_e32 v10, vcc_lo, s31, v10, vcc_lo
	global_load_b64 v[10:11], v[9:10], off
	s_waitcnt vmcnt(0)
	v_cmpx_lt_i32_e64 v10, v11
	s_cbranch_execz .LBB53_21
; %bb.23:                               ;   in Loop: Header=BB53_22 Depth=1
	v_subrev_nc_u32_e32 v10, s37, v10
	v_ashrrev_i32_e32 v9, 31, v8
	v_subrev_nc_u32_e32 v6, s37, v11
	s_mov_b32 s48, 0
	s_delay_alu instid0(VALU_DEP_3) | instskip(NEXT) | instid1(VALU_DEP_3)
	v_mad_u64_u32 v[14:15], null, s43, v10, v[1:2]
	v_lshlrev_b64 v[15:16], 3, v[8:9]
	v_mad_u64_u32 v[12:13], null, s25, v10, v[1:2]
	s_delay_alu instid0(VALU_DEP_2) | instskip(NEXT) | instid1(VALU_DEP_4)
	v_add_co_u32 v15, vcc_lo, s45, v15
	v_mul_lo_u32 v13, s43, v14
	s_delay_alu instid0(VALU_DEP_4)
	v_add_co_ci_u32_e32 v16, vcc_lo, s46, v16, vcc_lo
	s_branch .LBB53_25
.LBB53_24:                              ;   in Loop: Header=BB53_25 Depth=2
	s_or_b32 exec_lo, exec_lo, s49
	v_add_nc_u32_e32 v10, 1, v10
	s_delay_alu instid0(VALU_DEP_3) | instskip(SKIP_1) | instid1(VALU_DEP_3)
	v_add_nc_u32_e32 v13, s25, v13
	v_add_nc_u32_e32 v12, s25, v12
	v_cmp_ge_i32_e32 vcc_lo, v10, v6
	s_or_b32 s48, vcc_lo, s48
	s_delay_alu instid0(SALU_CYCLE_1)
	s_and_not1_b32 exec_lo, exec_lo, s48
	s_cbranch_execz .LBB53_21
.LBB53_25:                              ;   Parent Loop BB53_22 Depth=1
                                        ; =>  This Loop Header: Depth=2
                                        ;       Child Loop BB53_29 Depth 3
                                        ;       Child Loop BB53_34 Depth 3
	;; [unrolled: 1-line block ×3, first 2 shown]
	s_and_saveexec_b32 s49, s0
	s_cbranch_execz .LBB53_24
; %bb.26:                               ;   in Loop: Header=BB53_25 Depth=2
	v_ashrrev_i32_e32 v11, 31, v10
	v_cmp_ne_u32_e64 s1, 1, v27
	s_delay_alu instid0(VALU_DEP_2) | instskip(NEXT) | instid1(VALU_DEP_1)
	v_lshlrev_b64 v[17:18], 2, v[10:11]
	v_add_co_u32 v17, vcc_lo, s16, v17
	s_delay_alu instid0(VALU_DEP_2)
	v_add_co_ci_u32_e32 v18, vcc_lo, s17, v18, vcc_lo
	s_and_not1_b32 vcc_lo, exec_lo, s20
	global_load_b32 v9, v[17:18], off
	s_cbranch_vccnz .LBB53_31
; %bb.27:                               ;   in Loop: Header=BB53_25 Depth=2
	v_dual_mov_b32 v11, 0 :: v_dual_mov_b32 v14, 0
	s_and_b32 vcc_lo, exec_lo, s1
	s_mov_b32 s1, 0
	s_cbranch_vccnz .LBB53_30
; %bb.28:                               ;   in Loop: Header=BB53_25 Depth=2
	v_ashrrev_i32_e32 v14, 31, v13
	v_mov_b32_e32 v11, 0
	v_mov_b32_e32 v17, v7
	s_mov_b32 s50, s43
	s_delay_alu instid0(VALU_DEP_3) | instskip(SKIP_1) | instid1(VALU_DEP_2)
	v_lshlrev_b64 v[19:20], 3, v[13:14]
	v_mov_b32_e32 v14, 0
	v_add_co_u32 v19, vcc_lo, s35, v19
	s_delay_alu instid0(VALU_DEP_3)
	v_add_co_ci_u32_e32 v20, vcc_lo, s41, v20, vcc_lo
	.p2align	6
.LBB53_29:                              ;   Parent Loop BB53_22 Depth=1
                                        ;     Parent Loop BB53_25 Depth=2
                                        ; =>    This Inner Loop Header: Depth=3
	v_ashrrev_i32_e32 v18, 31, v17
	s_add_i32 s50, s50, -1
	s_delay_alu instid0(SALU_CYCLE_1) | instskip(NEXT) | instid1(VALU_DEP_1)
	s_cmp_lg_u32 s50, 0
	v_lshlrev_b64 v[28:29], 3, v[17:18]
	v_add_nc_u32_e32 v17, s43, v17
	s_delay_alu instid0(VALU_DEP_2) | instskip(NEXT) | instid1(VALU_DEP_3)
	v_add_co_u32 v28, vcc_lo, s28, v28
	v_add_co_ci_u32_e32 v29, vcc_lo, s29, v29, vcc_lo
	global_load_b64 v[30:31], v[19:20], off offset:-4
	global_load_b64 v[28:29], v[28:29], off
	v_add_co_u32 v19, vcc_lo, v19, 8
	v_add_co_ci_u32_e32 v20, vcc_lo, 0, v20, vcc_lo
	s_waitcnt vmcnt(0)
	v_fmac_f32_e32 v11, v28, v30
	v_fmac_f32_e32 v14, v29, v30
	s_delay_alu instid0(VALU_DEP_2) | instskip(NEXT) | instid1(VALU_DEP_2)
	v_fma_f32 v11, -v29, v31, v11
	v_fmac_f32_e32 v14, v28, v31
	s_cbranch_scc1 .LBB53_29
.LBB53_30:                              ;   in Loop: Header=BB53_25 Depth=2
	s_and_not1_b32 vcc_lo, exec_lo, s1
	s_cbranch_vccz .LBB53_32
	s_branch .LBB53_35
.LBB53_31:                              ;   in Loop: Header=BB53_25 Depth=2
                                        ; implicit-def: $vgpr11
                                        ; implicit-def: $vgpr14
.LBB53_32:                              ;   in Loop: Header=BB53_25 Depth=2
	v_dual_mov_b32 v11, 0 :: v_dual_mov_b32 v14, 0
	s_and_not1_b32 vcc_lo, exec_lo, s24
	s_cbranch_vccnz .LBB53_35
; %bb.33:                               ;   in Loop: Header=BB53_25 Depth=2
	v_dual_mov_b32 v11, 0 :: v_dual_mov_b32 v18, v16
	v_dual_mov_b32 v17, v15 :: v_dual_mov_b32 v14, 0
	v_mov_b32_e32 v19, v12
	s_mov_b32 s1, s43
	.p2align	6
.LBB53_34:                              ;   Parent Loop BB53_22 Depth=1
                                        ;     Parent Loop BB53_25 Depth=2
                                        ; =>    This Inner Loop Header: Depth=3
	s_delay_alu instid0(VALU_DEP_1) | instskip(SKIP_1) | instid1(SALU_CYCLE_1)
	v_ashrrev_i32_e32 v20, 31, v19
	s_add_i32 s1, s1, -1
	s_cmp_eq_u32 s1, 0
	s_delay_alu instid0(VALU_DEP_1) | instskip(SKIP_1) | instid1(VALU_DEP_2)
	v_lshlrev_b64 v[28:29], 3, v[19:20]
	v_add_nc_u32_e32 v19, s43, v19
	v_add_co_u32 v28, vcc_lo, s18, v28
	s_delay_alu instid0(VALU_DEP_3)
	v_add_co_ci_u32_e32 v29, vcc_lo, s19, v29, vcc_lo
	global_load_b64 v[30:31], v[17:18], off offset:-4
	global_load_b64 v[28:29], v[28:29], off
	v_add_co_u32 v17, vcc_lo, v17, 8
	v_add_co_ci_u32_e32 v18, vcc_lo, 0, v18, vcc_lo
	s_waitcnt vmcnt(0)
	v_fmac_f32_e32 v11, v30, v28
	v_fmac_f32_e32 v14, v31, v28
	s_delay_alu instid0(VALU_DEP_2) | instskip(NEXT) | instid1(VALU_DEP_2)
	v_fma_f32 v11, -v31, v29, v11
	v_fmac_f32_e32 v14, v30, v29
	s_cbranch_scc0 .LBB53_34
.LBB53_35:                              ;   in Loop: Header=BB53_25 Depth=2
	s_delay_alu instid0(VALU_DEP_1)
	v_mul_f32_e64 v17, v14, -s13
	v_mul_f32_e32 v14, s33, v14
	s_waitcnt vmcnt(0)
	v_subrev_nc_u32_e32 v9, s37, v9
	s_mov_b32 s1, 0
	v_fmac_f32_e32 v17, s33, v11
	s_delay_alu instid0(VALU_DEP_2)
	v_dual_fmac_f32 v14, s13, v11 :: v_dual_and_b32 v11, 7, v9
	s_branch .LBB53_37
.LBB53_36:                              ;   in Loop: Header=BB53_37 Depth=3
	s_or_b32 exec_lo, exec_lo, s50
	s_xor_b32 s50, s51, -1
	s_delay_alu instid0(SALU_CYCLE_1) | instskip(NEXT) | instid1(SALU_CYCLE_1)
	s_and_b32 s50, exec_lo, s50
	s_or_b32 s1, s50, s1
	s_delay_alu instid0(SALU_CYCLE_1)
	s_and_not1_b32 exec_lo, exec_lo, s1
	s_cbranch_execz .LBB53_24
.LBB53_37:                              ;   Parent Loop BB53_22 Depth=1
                                        ;     Parent Loop BB53_25 Depth=2
                                        ; =>    This Inner Loop Header: Depth=3
	s_delay_alu instid0(VALU_DEP_1)
	v_lshl_add_u32 v18, v11, 2, v21
	s_mov_b32 s50, exec_lo
                                        ; implicit-def: $sgpr51
	ds_load_b32 v19, v18
	s_waitcnt lgkmcnt(0)
	v_cmpx_ne_u32_e64 v19, v9
	s_xor_b32 s50, exec_lo, s50
	s_cbranch_execz .LBB53_45
; %bb.38:                               ;   in Loop: Header=BB53_37 Depth=3
	s_mov_b32 s52, exec_lo
                                        ; implicit-def: $sgpr51
	v_cmpx_ne_u32_e64 s42, v19
	s_xor_b32 s52, exec_lo, s52
; %bb.39:                               ;   in Loop: Header=BB53_37 Depth=3
	v_add_nc_u32_e32 v11, 1, v11
	s_mov_b32 s51, -1
                                        ; implicit-def: $vgpr18
	s_delay_alu instid0(VALU_DEP_1)
	v_and_b32_e32 v11, 7, v11
; %bb.40:                               ;   in Loop: Header=BB53_37 Depth=3
	s_and_not1_saveexec_b32 s52, s52
	s_cbranch_execz .LBB53_44
; %bb.41:                               ;   in Loop: Header=BB53_37 Depth=3
	v_mov_b32_e32 v19, s42
	s_mov_b32 s54, -1
	s_mov_b32 s53, exec_lo
	ds_cmpstore_rtn_b32 v18, v18, v9, v19
	s_waitcnt lgkmcnt(0)
	v_cmpx_eq_u32_e64 s42, v18
	s_cbranch_execz .LBB53_43
; %bb.42:                               ;   in Loop: Header=BB53_37 Depth=3
	v_lshlrev_b32_e32 v18, 3, v26
	s_xor_b32 s54, exec_lo, -1
	s_delay_alu instid0(VALU_DEP_1) | instskip(NEXT) | instid1(VALU_DEP_1)
	v_lshl_or_b32 v18, v11, 7, v18
	v_add_nc_u32_e32 v18, v23, v18
	ds_add_f32 v18, v17
	ds_add_f32 v18, v14 offset:4
.LBB53_43:                              ;   in Loop: Header=BB53_37 Depth=3
	s_or_b32 exec_lo, exec_lo, s53
	s_delay_alu instid0(SALU_CYCLE_1) | instskip(SKIP_1) | instid1(SALU_CYCLE_1)
	s_and_not1_b32 s51, s51, exec_lo
	s_and_b32 s53, s54, exec_lo
	s_or_b32 s51, s51, s53
.LBB53_44:                              ;   in Loop: Header=BB53_37 Depth=3
	s_or_b32 exec_lo, exec_lo, s52
	s_delay_alu instid0(SALU_CYCLE_1)
	s_and_b32 s51, s51, exec_lo
.LBB53_45:                              ;   in Loop: Header=BB53_37 Depth=3
	s_and_not1_saveexec_b32 s50, s50
	s_cbranch_execz .LBB53_36
; %bb.46:                               ;   in Loop: Header=BB53_37 Depth=3
	v_lshlrev_b32_e32 v18, 3, v26
	s_and_not1_b32 s51, s51, exec_lo
	s_delay_alu instid0(VALU_DEP_1) | instskip(NEXT) | instid1(VALU_DEP_1)
	v_lshl_or_b32 v18, v11, 7, v18
	v_add_nc_u32_e32 v18, v23, v18
	ds_add_f32 v18, v17
	ds_add_f32 v18, v14 offset:4
	s_branch .LBB53_36
.LBB53_47:
	s_or_b32 exec_lo, exec_lo, s15
.LBB53_48:
	s_delay_alu instid0(SALU_CYCLE_1)
	s_and_not1_b32 vcc_lo, exec_lo, s34
	s_waitcnt lgkmcnt(0)
	s_barrier
	buffer_gl0_inv
	s_cbranch_vccnz .LBB53_66
; %bb.49:
	v_add_co_u32 v5, vcc_lo, s22, v3
	v_add_co_ci_u32_e32 v6, vcc_lo, s23, v4, vcc_lo
	v_subrev_nc_u32_e32 v7, s39, v24
	s_mov_b32 s1, exec_lo
	global_load_b64 v[5:6], v[5:6], off
	s_waitcnt vmcnt(0)
	v_subrev_nc_u32_e32 v8, s39, v6
	v_add_nc_u32_e32 v5, v5, v7
	s_delay_alu instid0(VALU_DEP_1)
	v_cmpx_lt_i32_e64 v5, v8
	s_cbranch_execz .LBB53_65
; %bb.50:
	v_max_i32_e32 v6, v1, v2
	v_and_b32_e32 v9, 15, v0
	s_cmp_eq_u32 s40, 0
	s_mov_b32 s13, 0
	s_cselect_b32 s0, -1, 0
	v_cmp_gt_i32_e32 vcc_lo, s43, v6
	v_cndmask_b32_e64 v0, v1, v2, s0
	v_cndmask_b32_e64 v7, v2, v1, s0
	v_lshlrev_b32_e32 v9, 3, v9
	s_branch .LBB53_52
.LBB53_51:                              ;   in Loop: Header=BB53_52 Depth=1
	s_or_b32 exec_lo, exec_lo, s15
	v_add_nc_u32_e32 v5, 4, v5
	s_delay_alu instid0(VALU_DEP_1) | instskip(NEXT) | instid1(VALU_DEP_1)
	v_cmp_ge_i32_e64 s0, v5, v8
	s_or_b32 s13, s0, s13
	s_delay_alu instid0(SALU_CYCLE_1)
	s_and_not1_b32 exec_lo, exec_lo, s13
	s_cbranch_execz .LBB53_65
.LBB53_52:                              ; =>This Loop Header: Depth=1
                                        ;     Child Loop BB53_55 Depth 2
	s_and_saveexec_b32 s15, vcc_lo
	s_cbranch_execz .LBB53_51
; %bb.53:                               ;   in Loop: Header=BB53_52 Depth=1
	v_mad_u64_u32 v[10:11], null, v5, s43, v[0:1]
	v_ashrrev_i32_e32 v6, 31, v5
	s_mov_b32 s16, 0
	s_delay_alu instid0(VALU_DEP_2) | instskip(NEXT) | instid1(VALU_DEP_1)
	v_mad_u64_u32 v[11:12], null, v10, s43, v[7:8]
	v_ashrrev_i32_e32 v12, 31, v11
	s_delay_alu instid0(VALU_DEP_1) | instskip(SKIP_1) | instid1(VALU_DEP_2)
	v_lshlrev_b64 v[10:11], 3, v[11:12]
	v_lshlrev_b64 v[12:13], 2, v[5:6]
	v_add_co_u32 v10, s0, s6, v10
	s_delay_alu instid0(VALU_DEP_1) | instskip(NEXT) | instid1(VALU_DEP_3)
	v_add_co_ci_u32_e64 v11, s0, s7, v11, s0
	v_add_co_u32 v12, s0, s4, v12
	s_delay_alu instid0(VALU_DEP_1)
	v_add_co_ci_u32_e64 v13, s0, s5, v13, s0
	global_load_b64 v[14:15], v[10:11], off
	global_load_b32 v11, v[12:13], off
	s_waitcnt vmcnt(1)
	v_mul_f32_e64 v6, v15, -s14
	v_mul_f32_e32 v10, s12, v15
	s_waitcnt vmcnt(0)
	v_subrev_nc_u32_e32 v11, s39, v11
	s_delay_alu instid0(VALU_DEP_3) | instskip(NEXT) | instid1(VALU_DEP_3)
	v_fmac_f32_e32 v6, s12, v14
	v_fmac_f32_e32 v10, s14, v14
	s_delay_alu instid0(VALU_DEP_3)
	v_and_b32_e32 v12, 7, v11
	s_branch .LBB53_55
.LBB53_54:                              ;   in Loop: Header=BB53_55 Depth=2
	s_or_b32 exec_lo, exec_lo, s0
	s_xor_b32 s0, s18, -1
	s_delay_alu instid0(SALU_CYCLE_1) | instskip(NEXT) | instid1(SALU_CYCLE_1)
	s_and_b32 s0, exec_lo, s0
	s_or_b32 s16, s0, s16
	s_delay_alu instid0(SALU_CYCLE_1)
	s_and_not1_b32 exec_lo, exec_lo, s16
	s_cbranch_execz .LBB53_51
.LBB53_55:                              ;   Parent Loop BB53_52 Depth=1
                                        ; =>  This Inner Loop Header: Depth=2
	s_delay_alu instid0(VALU_DEP_1)
	v_lshl_add_u32 v13, v12, 2, v21
	s_mov_b32 s17, exec_lo
                                        ; implicit-def: $sgpr18
	ds_load_b32 v14, v13
	s_waitcnt lgkmcnt(0)
	v_cmpx_ne_u32_e64 v14, v11
	s_xor_b32 s17, exec_lo, s17
	s_cbranch_execz .LBB53_63
; %bb.56:                               ;   in Loop: Header=BB53_55 Depth=2
	v_cmp_ne_u32_e64 s0, s42, v14
                                        ; implicit-def: $sgpr18
	s_delay_alu instid0(VALU_DEP_1) | instskip(NEXT) | instid1(SALU_CYCLE_1)
	s_and_saveexec_b32 s19, s0
	s_xor_b32 s0, exec_lo, s19
; %bb.57:                               ;   in Loop: Header=BB53_55 Depth=2
	v_add_nc_u32_e32 v12, 1, v12
	s_mov_b32 s18, -1
                                        ; implicit-def: $vgpr13
	s_delay_alu instid0(VALU_DEP_1)
	v_and_b32_e32 v12, 7, v12
; %bb.58:                               ;   in Loop: Header=BB53_55 Depth=2
	s_and_not1_saveexec_b32 s19, s0
	s_cbranch_execz .LBB53_62
; %bb.59:                               ;   in Loop: Header=BB53_55 Depth=2
	v_mov_b32_e32 v14, s42
	s_mov_b32 s21, -1
	s_mov_b32 s20, exec_lo
	ds_cmpstore_rtn_b32 v13, v13, v11, v14
	s_waitcnt lgkmcnt(0)
	v_cmpx_eq_u32_e64 s42, v13
	s_cbranch_execz .LBB53_61
; %bb.60:                               ;   in Loop: Header=BB53_55 Depth=2
	v_lshl_or_b32 v13, v12, 7, v9
	s_xor_b32 s21, exec_lo, -1
	s_delay_alu instid0(VALU_DEP_1)
	v_add_nc_u32_e32 v13, v23, v13
	ds_add_f32 v13, v6
	ds_add_f32 v13, v10 offset:4
.LBB53_61:                              ;   in Loop: Header=BB53_55 Depth=2
	s_or_b32 exec_lo, exec_lo, s20
	s_delay_alu instid0(SALU_CYCLE_1) | instskip(SKIP_1) | instid1(SALU_CYCLE_1)
	s_and_not1_b32 s0, s18, exec_lo
	s_and_b32 s18, s21, exec_lo
	s_or_b32 s18, s0, s18
.LBB53_62:                              ;   in Loop: Header=BB53_55 Depth=2
	s_or_b32 exec_lo, exec_lo, s19
	s_delay_alu instid0(SALU_CYCLE_1)
	s_and_b32 s18, s18, exec_lo
.LBB53_63:                              ;   in Loop: Header=BB53_55 Depth=2
	s_and_not1_saveexec_b32 s0, s17
	s_cbranch_execz .LBB53_54
; %bb.64:                               ;   in Loop: Header=BB53_55 Depth=2
	v_lshl_or_b32 v13, v12, 7, v9
	s_and_not1_b32 s18, s18, exec_lo
	s_delay_alu instid0(VALU_DEP_1)
	v_add_nc_u32_e32 v13, v23, v13
	ds_add_f32 v13, v6
	ds_add_f32 v13, v10 offset:4
	s_branch .LBB53_54
.LBB53_65:
	s_or_b32 exec_lo, exec_lo, s1
.LBB53_66:
	v_add_co_u32 v3, vcc_lo, s8, v3
	v_add_co_ci_u32_e32 v4, vcc_lo, s9, v4, vcc_lo
	s_waitcnt lgkmcnt(0)
	s_barrier
	buffer_gl0_inv
	global_load_b32 v3, v[3:4], off
	s_cmp_eq_u32 s40, 0
	v_lshlrev_b32_e32 v7, 5, v22
	s_cselect_b32 vcc_lo, -1, 0
	v_max_i32_e32 v5, v1, v2
	v_cndmask_b32_e32 v4, v2, v1, vcc_lo
	v_cndmask_b32_e32 v0, v1, v2, vcc_lo
	v_lshlrev_b32_e32 v8, 2, v24
	s_mov_b32 s1, 0
	v_cmp_gt_i32_e32 vcc_lo, s43, v5
	v_lshlrev_b32_e32 v4, 3, v4
	s_delay_alu instid0(VALU_DEP_3) | instskip(NEXT) | instid1(VALU_DEP_2)
	v_or3_b32 v7, v7, v8, 0x1000
	v_lshl_or_b32 v4, v24, 7, v4
	s_delay_alu instid0(VALU_DEP_1) | instskip(SKIP_1) | instid1(VALU_DEP_2)
	v_lshl_or_b32 v4, v0, 5, v4
	v_or_b32_e32 v0, -4, v24
	v_add_nc_u32_e32 v5, v23, v4
	s_waitcnt vmcnt(0)
	v_subrev_nc_u32_e32 v6, s38, v3
	s_branch .LBB53_68
.LBB53_67:                              ;   in Loop: Header=BB53_68 Depth=1
	s_or_b32 exec_lo, exec_lo, s4
	v_add_co_u32 v0, s0, v0, 4
	s_delay_alu instid0(VALU_DEP_1) | instskip(SKIP_3) | instid1(SALU_CYCLE_1)
	s_xor_b32 s0, s0, -1
	v_add_nc_u32_e32 v5, 0x200, v5
	v_add_nc_u32_e32 v7, 16, v7
	s_and_b32 s0, exec_lo, s0
	s_or_b32 s1, s0, s1
	s_delay_alu instid0(SALU_CYCLE_1)
	s_and_not1_b32 exec_lo, exec_lo, s1
	s_cbranch_execz .LBB53_71
.LBB53_68:                              ; =>This Inner Loop Header: Depth=1
	ds_load_b32 v8, v7
	s_mov_b32 s4, exec_lo
	s_waitcnt lgkmcnt(0)
	v_cmpx_gt_i32_e64 s42, v8
	s_cbranch_execz .LBB53_67
; %bb.69:                               ;   in Loop: Header=BB53_68 Depth=1
	ds_load_b128 v[9:12], v21
	ds_load_b128 v[13:16], v21 offset:16
	s_waitcnt lgkmcnt(1)
	v_cmp_gt_i32_e64 s0, v8, v9
	s_delay_alu instid0(VALU_DEP_1) | instskip(SKIP_1) | instid1(VALU_DEP_1)
	v_cndmask_b32_e64 v3, 0, 1, s0
	v_cmp_gt_i32_e64 s0, v8, v11
	v_cndmask_b32_e64 v4, 0, 1, s0
	v_cmp_gt_i32_e64 s0, v8, v10
	s_delay_alu instid0(VALU_DEP_1) | instskip(SKIP_2) | instid1(VALU_DEP_1)
	v_add_co_ci_u32_e64 v3, s0, v6, v3, s0
	s_waitcnt lgkmcnt(0)
	v_cmp_gt_i32_e64 s0, v8, v13
	v_cndmask_b32_e64 v9, 0, 1, s0
	v_cmp_gt_i32_e64 s0, v8, v12
	s_delay_alu instid0(VALU_DEP_1) | instskip(SKIP_1) | instid1(VALU_DEP_1)
	v_add_co_ci_u32_e64 v3, s0, v3, v4, s0
	v_cmp_gt_i32_e64 s0, v8, v15
	v_cndmask_b32_e64 v4, 0, 1, s0
	v_cmp_gt_i32_e64 s0, v8, v14
	s_delay_alu instid0(VALU_DEP_1) | instskip(SKIP_1) | instid1(VALU_DEP_1)
	v_add_co_ci_u32_e64 v3, s0, v3, v9, s0
	v_cmp_gt_i32_e64 s0, v8, v16
	v_add_co_ci_u32_e64 v3, s0, v3, v4, s0
	s_delay_alu instid0(VALU_DEP_1) | instskip(NEXT) | instid1(VALU_DEP_1)
	v_ashrrev_i32_e32 v4, 31, v3
	v_lshlrev_b64 v[9:10], 2, v[3:4]
	v_add_nc_u32_e32 v4, s38, v8
	s_delay_alu instid0(VALU_DEP_2) | instskip(NEXT) | instid1(VALU_DEP_1)
	v_add_co_u32 v8, s0, s10, v9
	v_add_co_ci_u32_e64 v9, s0, s11, v10, s0
	global_store_b32 v[8:9], v4, off
	s_and_b32 exec_lo, exec_lo, vcc_lo
	s_cbranch_execz .LBB53_67
; %bb.70:                               ;   in Loop: Header=BB53_68 Depth=1
	v_mad_u64_u32 v[8:9], null, v3, s43, v[2:3]
	s_delay_alu instid0(VALU_DEP_1) | instskip(SKIP_2) | instid1(VALU_DEP_1)
	v_mad_u64_u32 v[3:4], null, v8, s43, v[1:2]
	ds_load_b64 v[8:9], v5
	v_ashrrev_i32_e32 v4, 31, v3
	v_lshlrev_b64 v[3:4], 3, v[3:4]
	s_delay_alu instid0(VALU_DEP_1) | instskip(NEXT) | instid1(VALU_DEP_1)
	v_add_co_u32 v3, s0, s2, v3
	v_add_co_ci_u32_e64 v4, s0, s3, v4, s0
	s_waitcnt lgkmcnt(0)
	global_store_b64 v[3:4], v[8:9], off
	s_branch .LBB53_67
.LBB53_71:
	s_nop 0
	s_sendmsg sendmsg(MSG_DEALLOC_VGPRS)
	s_endpgm
	.section	.rodata,"a",@progbits
	.p2align	6, 0x0
	.amdhsa_kernel _ZN9rocsparseL23bsrgemm_fill_wf_per_rowILj256ELj64ELj8ELj137ELj4Eii21rocsparse_complex_numIfEEEv20rocsparse_direction_T5_S4_S4_PKS4_S6_NS_24const_host_device_scalarIT6_EEPKT4_S6_PKS8_SC_S6_SE_S9_SC_S6_SE_SC_PS4_PS8_21rocsparse_index_base_SH_SH_SH_bbb
		.amdhsa_group_segment_fixed_size 4224
		.amdhsa_private_segment_fixed_size 0
		.amdhsa_kernarg_size 164
		.amdhsa_user_sgpr_count 15
		.amdhsa_user_sgpr_dispatch_ptr 0
		.amdhsa_user_sgpr_queue_ptr 0
		.amdhsa_user_sgpr_kernarg_segment_ptr 1
		.amdhsa_user_sgpr_dispatch_id 0
		.amdhsa_user_sgpr_private_segment_size 0
		.amdhsa_wavefront_size32 1
		.amdhsa_uses_dynamic_stack 0
		.amdhsa_enable_private_segment 0
		.amdhsa_system_sgpr_workgroup_id_x 1
		.amdhsa_system_sgpr_workgroup_id_y 0
		.amdhsa_system_sgpr_workgroup_id_z 0
		.amdhsa_system_sgpr_workgroup_info 0
		.amdhsa_system_vgpr_workitem_id 0
		.amdhsa_next_free_vgpr 32
		.amdhsa_next_free_sgpr 55
		.amdhsa_reserve_vcc 1
		.amdhsa_float_round_mode_32 0
		.amdhsa_float_round_mode_16_64 0
		.amdhsa_float_denorm_mode_32 3
		.amdhsa_float_denorm_mode_16_64 3
		.amdhsa_dx10_clamp 1
		.amdhsa_ieee_mode 1
		.amdhsa_fp16_overflow 0
		.amdhsa_workgroup_processor_mode 1
		.amdhsa_memory_ordered 1
		.amdhsa_forward_progress 0
		.amdhsa_shared_vgpr_count 0
		.amdhsa_exception_fp_ieee_invalid_op 0
		.amdhsa_exception_fp_denorm_src 0
		.amdhsa_exception_fp_ieee_div_zero 0
		.amdhsa_exception_fp_ieee_overflow 0
		.amdhsa_exception_fp_ieee_underflow 0
		.amdhsa_exception_fp_ieee_inexact 0
		.amdhsa_exception_int_div_zero 0
	.end_amdhsa_kernel
	.section	.text._ZN9rocsparseL23bsrgemm_fill_wf_per_rowILj256ELj64ELj8ELj137ELj4Eii21rocsparse_complex_numIfEEEv20rocsparse_direction_T5_S4_S4_PKS4_S6_NS_24const_host_device_scalarIT6_EEPKT4_S6_PKS8_SC_S6_SE_S9_SC_S6_SE_SC_PS4_PS8_21rocsparse_index_base_SH_SH_SH_bbb,"axG",@progbits,_ZN9rocsparseL23bsrgemm_fill_wf_per_rowILj256ELj64ELj8ELj137ELj4Eii21rocsparse_complex_numIfEEEv20rocsparse_direction_T5_S4_S4_PKS4_S6_NS_24const_host_device_scalarIT6_EEPKT4_S6_PKS8_SC_S6_SE_S9_SC_S6_SE_SC_PS4_PS8_21rocsparse_index_base_SH_SH_SH_bbb,comdat
.Lfunc_end53:
	.size	_ZN9rocsparseL23bsrgemm_fill_wf_per_rowILj256ELj64ELj8ELj137ELj4Eii21rocsparse_complex_numIfEEEv20rocsparse_direction_T5_S4_S4_PKS4_S6_NS_24const_host_device_scalarIT6_EEPKT4_S6_PKS8_SC_S6_SE_S9_SC_S6_SE_SC_PS4_PS8_21rocsparse_index_base_SH_SH_SH_bbb, .Lfunc_end53-_ZN9rocsparseL23bsrgemm_fill_wf_per_rowILj256ELj64ELj8ELj137ELj4Eii21rocsparse_complex_numIfEEEv20rocsparse_direction_T5_S4_S4_PKS4_S6_NS_24const_host_device_scalarIT6_EEPKT4_S6_PKS8_SC_S6_SE_S9_SC_S6_SE_SC_PS4_PS8_21rocsparse_index_base_SH_SH_SH_bbb
                                        ; -- End function
	.section	.AMDGPU.csdata,"",@progbits
; Kernel info:
; codeLenInByte = 2832
; NumSgprs: 57
; NumVgprs: 32
; ScratchSize: 0
; MemoryBound: 0
; FloatMode: 240
; IeeeMode: 1
; LDSByteSize: 4224 bytes/workgroup (compile time only)
; SGPRBlocks: 7
; VGPRBlocks: 3
; NumSGPRsForWavesPerEU: 57
; NumVGPRsForWavesPerEU: 32
; Occupancy: 16
; WaveLimiterHint : 1
; COMPUTE_PGM_RSRC2:SCRATCH_EN: 0
; COMPUTE_PGM_RSRC2:USER_SGPR: 15
; COMPUTE_PGM_RSRC2:TRAP_HANDLER: 0
; COMPUTE_PGM_RSRC2:TGID_X_EN: 1
; COMPUTE_PGM_RSRC2:TGID_Y_EN: 0
; COMPUTE_PGM_RSRC2:TGID_Z_EN: 0
; COMPUTE_PGM_RSRC2:TIDIG_COMP_CNT: 0
	.section	.text._ZN9rocsparseL23bsrgemm_fill_wf_per_rowILj256ELj64ELj16ELj137ELj4Eii21rocsparse_complex_numIfEEEv20rocsparse_direction_T5_S4_S4_PKS4_S6_NS_24const_host_device_scalarIT6_EEPKT4_S6_PKS8_SC_S6_SE_S9_SC_S6_SE_SC_PS4_PS8_21rocsparse_index_base_SH_SH_SH_bbb,"axG",@progbits,_ZN9rocsparseL23bsrgemm_fill_wf_per_rowILj256ELj64ELj16ELj137ELj4Eii21rocsparse_complex_numIfEEEv20rocsparse_direction_T5_S4_S4_PKS4_S6_NS_24const_host_device_scalarIT6_EEPKT4_S6_PKS8_SC_S6_SE_S9_SC_S6_SE_SC_PS4_PS8_21rocsparse_index_base_SH_SH_SH_bbb,comdat
	.globl	_ZN9rocsparseL23bsrgemm_fill_wf_per_rowILj256ELj64ELj16ELj137ELj4Eii21rocsparse_complex_numIfEEEv20rocsparse_direction_T5_S4_S4_PKS4_S6_NS_24const_host_device_scalarIT6_EEPKT4_S6_PKS8_SC_S6_SE_S9_SC_S6_SE_SC_PS4_PS8_21rocsparse_index_base_SH_SH_SH_bbb ; -- Begin function _ZN9rocsparseL23bsrgemm_fill_wf_per_rowILj256ELj64ELj16ELj137ELj4Eii21rocsparse_complex_numIfEEEv20rocsparse_direction_T5_S4_S4_PKS4_S6_NS_24const_host_device_scalarIT6_EEPKT4_S6_PKS8_SC_S6_SE_S9_SC_S6_SE_SC_PS4_PS8_21rocsparse_index_base_SH_SH_SH_bbb
	.p2align	8
	.type	_ZN9rocsparseL23bsrgemm_fill_wf_per_rowILj256ELj64ELj16ELj137ELj4Eii21rocsparse_complex_numIfEEEv20rocsparse_direction_T5_S4_S4_PKS4_S6_NS_24const_host_device_scalarIT6_EEPKT4_S6_PKS8_SC_S6_SE_S9_SC_S6_SE_SC_PS4_PS8_21rocsparse_index_base_SH_SH_SH_bbb,@function
_ZN9rocsparseL23bsrgemm_fill_wf_per_rowILj256ELj64ELj16ELj137ELj4Eii21rocsparse_complex_numIfEEEv20rocsparse_direction_T5_S4_S4_PKS4_S6_NS_24const_host_device_scalarIT6_EEPKT4_S6_PKS8_SC_S6_SE_S9_SC_S6_SE_SC_PS4_PS8_21rocsparse_index_base_SH_SH_SH_bbb: ; @_ZN9rocsparseL23bsrgemm_fill_wf_per_rowILj256ELj64ELj16ELj137ELj4Eii21rocsparse_complex_numIfEEEv20rocsparse_direction_T5_S4_S4_PKS4_S6_NS_24const_host_device_scalarIT6_EEPKT4_S6_PKS8_SC_S6_SE_S9_SC_S6_SE_SC_PS4_PS8_21rocsparse_index_base_SH_SH_SH_bbb
; %bb.0:
	s_clause 0x6
	s_load_b32 s14, s[0:1], 0xa0
	s_load_b256 s[4:11], s[0:1], 0x68
	s_load_b256 s[16:23], s[0:1], 0x48
	s_load_b128 s[44:47], s[0:1], 0x10
	s_load_b256 s[24:31], s[0:1], 0x28
	s_load_b64 s[2:3], s[0:1], 0x88
	s_load_b128 s[36:39], s[0:1], 0x90
	s_mov_b32 s13, 0
	s_mov_b32 s33, 0
	s_waitcnt lgkmcnt(0)
	s_bitcmp1_b32 s14, 0
	s_cselect_b32 s35, -1, 0
	s_bitcmp1_b32 s14, 16
	s_cselect_b32 s12, -1, 0
	s_delay_alu instid0(SALU_CYCLE_1) | instskip(SKIP_2) | instid1(VALU_DEP_1)
	s_xor_b32 s34, s12, -1
	s_bitcmp0_b32 s14, 0
	v_cndmask_b32_e64 v1, 0, 1, s34
	v_cmp_ne_u32_e32 vcc_lo, 1, v1
	s_cbranch_scc1 .LBB54_5
; %bb.1:
	s_load_b64 s[12:13], s[0:1], 0x20
	s_and_b32 vcc_lo, exec_lo, vcc_lo
	s_waitcnt lgkmcnt(0)
	s_mov_b32 s33, s12
	s_cbranch_vccnz .LBB54_3
; %bb.2:
	s_load_b32 s33, s[12:13], 0x0
.LBB54_3:
	s_and_not1_b32 vcc_lo, exec_lo, s34
	s_cbranch_vccnz .LBB54_5
; %bb.4:
	s_load_b32 s13, s[12:13], 0x4
.LBB54_5:
	s_bitcmp1_b32 s14, 8
	s_cselect_b32 s34, -1, 0
	s_bfe_u32 s12, s14, 0x10008
	s_mov_b32 s14, 0
	s_cmp_eq_u32 s12, 0
	s_mov_b32 s12, 0
	s_cbranch_scc1 .LBB54_11
; %bb.6:
	v_cmp_ne_u32_e32 vcc_lo, 1, v1
	s_mov_b32 s12, s20
	s_cbranch_vccnz .LBB54_8
; %bb.7:
	s_load_b32 s12, s[20:21], 0x0
.LBB54_8:
	v_cmp_ne_u32_e32 vcc_lo, 1, v1
	s_cbranch_vccnz .LBB54_10
; %bb.9:
	s_load_b32 s21, s[20:21], 0x4
.LBB54_10:
	s_waitcnt lgkmcnt(0)
	s_mov_b32 s14, s21
.LBB54_11:
	s_load_b128 s[40:43], s[0:1], 0x0
	s_movk_i32 s0, 0xc0
	v_and_b32_e32 v4, 63, v0
	v_lshrrev_b32_e32 v22, 6, v0
	v_and_or_b32 v21, v0, s0, 0x2000
	s_mov_b32 s0, exec_lo
	s_delay_alu instid0(VALU_DEP_3)
	v_cmpx_gt_u32_e32 16, v4
	s_cbranch_execz .LBB54_13
; %bb.12:
	s_delay_alu instid0(VALU_DEP_2)
	v_lshl_add_u32 v1, v4, 2, v21
	s_waitcnt lgkmcnt(0)
	v_mov_b32_e32 v2, s42
	ds_store_b32 v1, v2
.LBB54_13:
	s_or_b32 exec_lo, exec_lo, s0
	v_mov_b32_e32 v1, 0
	v_lshlrev_b32_e32 v23, 11, v22
	v_or_b32_e32 v3, 0xffffffc0, v4
	s_mov_b32 s0, 0
	s_delay_alu instid0(VALU_DEP_3) | instskip(NEXT) | instid1(VALU_DEP_3)
	v_mov_b32_e32 v2, v1
	v_lshl_or_b32 v5, v4, 3, v23
.LBB54_14:                              ; =>This Inner Loop Header: Depth=1
	s_delay_alu instid0(VALU_DEP_3) | instskip(SKIP_4) | instid1(SALU_CYCLE_1)
	v_add_nc_u32_e32 v3, 64, v3
	ds_store_b64 v5, v[1:2]
	v_add_nc_u32_e32 v5, 0x200, v5
	v_cmp_lt_u32_e32 vcc_lo, 0xbf, v3
	s_or_b32 s0, vcc_lo, s0
	s_and_not1_b32 exec_lo, exec_lo, s0
	s_cbranch_execnz .LBB54_14
; %bb.15:
	s_or_b32 exec_lo, exec_lo, s0
	v_lshl_or_b32 v2, s15, 2, v22
	s_waitcnt lgkmcnt(0)
	s_barrier
	buffer_gl0_inv
	s_mov_b32 s0, exec_lo
	v_cmpx_gt_i32_e64 s41, v2
	s_cbranch_execz .LBB54_71
; %bb.16:
	s_cmp_eq_u64 s[46:47], 0
	s_cbranch_scc1 .LBB54_18
; %bb.17:
	s_load_b32 s0, s[44:45], 0x0
	s_waitcnt lgkmcnt(0)
	v_add_nc_u32_e32 v1, s0, v2
	s_delay_alu instid0(VALU_DEP_1) | instskip(NEXT) | instid1(VALU_DEP_1)
	v_ashrrev_i32_e32 v2, 31, v1
	v_lshlrev_b64 v[1:2], 2, v[1:2]
	s_delay_alu instid0(VALU_DEP_1) | instskip(NEXT) | instid1(VALU_DEP_2)
	v_add_co_u32 v1, vcc_lo, s46, v1
	v_add_co_ci_u32_e32 v2, vcc_lo, s47, v2, vcc_lo
	global_load_b32 v2, v[1:2], off
.LBB54_18:
	s_waitcnt vmcnt(0)
	v_ashrrev_i32_e32 v3, 31, v2
	v_lshrrev_b32_e32 v24, 4, v4
	v_and_b32_e32 v1, 3, v0
	s_and_not1_b32 vcc_lo, exec_lo, s35
	s_delay_alu instid0(VALU_DEP_3)
	v_lshlrev_b64 v[3:4], 2, v[2:3]
	v_bfe_u32 v2, v0, 2, 2
	s_cbranch_vccnz .LBB54_48
; %bb.19:
	s_delay_alu instid0(VALU_DEP_2) | instskip(NEXT) | instid1(VALU_DEP_3)
	v_add_co_u32 v5, vcc_lo, s24, v3
	v_add_co_ci_u32_e32 v6, vcc_lo, s25, v4, vcc_lo
	v_subrev_nc_u32_e32 v7, s36, v24
	s_mov_b32 s15, exec_lo
	global_load_b64 v[5:6], v[5:6], off
	s_waitcnt vmcnt(0)
	v_subrev_nc_u32_e32 v25, s36, v6
	v_add_nc_u32_e32 v5, v5, v7
	s_delay_alu instid0(VALU_DEP_1)
	v_cmpx_lt_i32_e64 v5, v25
	s_cbranch_execz .LBB54_47
; %bb.20:
	v_max_i32_e32 v6, v1, v2
	s_cmp_lg_u32 s40, 0
	s_mul_i32 s25, s43, s43
	s_cselect_b32 s20, -1, 0
	s_cmp_gt_i32 s43, 0
	v_cmp_gt_i32_e64 s0, s43, v6
	v_mad_u64_u32 v[6:7], null, s43, v5, v[2:3]
	v_mad_u64_u32 v[7:8], null, s25, v5, v[2:3]
	s_cselect_b32 s24, -1, 0
	v_and_b32_e32 v26, 15, v0
	s_add_u32 s35, s18, 4
	v_cndmask_b32_e64 v27, 0, 1, s24
	s_delay_alu instid0(VALU_DEP_4)
	v_mul_lo_u32 v8, s43, v6
	s_addc_u32 s41, s19, 0
	s_lshl_b32 s44, s25, 2
	s_add_u32 s45, s28, 4
	s_mov_b32 s21, 0
	s_addc_u32 s46, s29, 0
	s_branch .LBB54_22
.LBB54_21:                              ;   in Loop: Header=BB54_22 Depth=1
	s_or_b32 exec_lo, exec_lo, s47
	v_add_nc_u32_e32 v5, 4, v5
	v_add_nc_u32_e32 v7, s44, v7
	;; [unrolled: 1-line block ×3, first 2 shown]
	s_delay_alu instid0(VALU_DEP_3) | instskip(SKIP_1) | instid1(SALU_CYCLE_1)
	v_cmp_ge_i32_e32 vcc_lo, v5, v25
	s_or_b32 s21, vcc_lo, s21
	s_and_not1_b32 exec_lo, exec_lo, s21
	s_cbranch_execz .LBB54_47
.LBB54_22:                              ; =>This Loop Header: Depth=1
                                        ;     Child Loop BB54_25 Depth 2
                                        ;       Child Loop BB54_29 Depth 3
                                        ;       Child Loop BB54_34 Depth 3
	;; [unrolled: 1-line block ×3, first 2 shown]
	v_ashrrev_i32_e32 v6, 31, v5
	s_mov_b32 s47, exec_lo
	s_delay_alu instid0(VALU_DEP_1) | instskip(NEXT) | instid1(VALU_DEP_1)
	v_lshlrev_b64 v[9:10], 2, v[5:6]
	v_add_co_u32 v9, vcc_lo, s26, v9
	s_delay_alu instid0(VALU_DEP_2) | instskip(SKIP_3) | instid1(VALU_DEP_1)
	v_add_co_ci_u32_e32 v10, vcc_lo, s27, v10, vcc_lo
	global_load_b32 v6, v[9:10], off
	s_waitcnt vmcnt(0)
	v_subrev_nc_u32_e32 v9, s36, v6
	v_ashrrev_i32_e32 v10, 31, v9
	s_delay_alu instid0(VALU_DEP_1) | instskip(NEXT) | instid1(VALU_DEP_1)
	v_lshlrev_b64 v[9:10], 2, v[9:10]
	v_add_co_u32 v9, vcc_lo, s30, v9
	s_delay_alu instid0(VALU_DEP_2)
	v_add_co_ci_u32_e32 v10, vcc_lo, s31, v10, vcc_lo
	global_load_b64 v[10:11], v[9:10], off
	s_waitcnt vmcnt(0)
	v_cmpx_lt_i32_e64 v10, v11
	s_cbranch_execz .LBB54_21
; %bb.23:                               ;   in Loop: Header=BB54_22 Depth=1
	v_subrev_nc_u32_e32 v10, s37, v10
	v_ashrrev_i32_e32 v9, 31, v8
	v_subrev_nc_u32_e32 v6, s37, v11
	s_mov_b32 s48, 0
	s_delay_alu instid0(VALU_DEP_3) | instskip(NEXT) | instid1(VALU_DEP_3)
	v_mad_u64_u32 v[14:15], null, s43, v10, v[1:2]
	v_lshlrev_b64 v[15:16], 3, v[8:9]
	v_mad_u64_u32 v[12:13], null, s25, v10, v[1:2]
	s_delay_alu instid0(VALU_DEP_2) | instskip(NEXT) | instid1(VALU_DEP_4)
	v_add_co_u32 v15, vcc_lo, s45, v15
	v_mul_lo_u32 v13, s43, v14
	s_delay_alu instid0(VALU_DEP_4)
	v_add_co_ci_u32_e32 v16, vcc_lo, s46, v16, vcc_lo
	s_branch .LBB54_25
.LBB54_24:                              ;   in Loop: Header=BB54_25 Depth=2
	s_or_b32 exec_lo, exec_lo, s49
	v_add_nc_u32_e32 v10, 1, v10
	s_delay_alu instid0(VALU_DEP_3) | instskip(SKIP_1) | instid1(VALU_DEP_3)
	v_add_nc_u32_e32 v13, s25, v13
	v_add_nc_u32_e32 v12, s25, v12
	v_cmp_ge_i32_e32 vcc_lo, v10, v6
	s_or_b32 s48, vcc_lo, s48
	s_delay_alu instid0(SALU_CYCLE_1)
	s_and_not1_b32 exec_lo, exec_lo, s48
	s_cbranch_execz .LBB54_21
.LBB54_25:                              ;   Parent Loop BB54_22 Depth=1
                                        ; =>  This Loop Header: Depth=2
                                        ;       Child Loop BB54_29 Depth 3
                                        ;       Child Loop BB54_34 Depth 3
	;; [unrolled: 1-line block ×3, first 2 shown]
	s_and_saveexec_b32 s49, s0
	s_cbranch_execz .LBB54_24
; %bb.26:                               ;   in Loop: Header=BB54_25 Depth=2
	v_ashrrev_i32_e32 v11, 31, v10
	v_cmp_ne_u32_e64 s1, 1, v27
	s_delay_alu instid0(VALU_DEP_2) | instskip(NEXT) | instid1(VALU_DEP_1)
	v_lshlrev_b64 v[17:18], 2, v[10:11]
	v_add_co_u32 v17, vcc_lo, s16, v17
	s_delay_alu instid0(VALU_DEP_2)
	v_add_co_ci_u32_e32 v18, vcc_lo, s17, v18, vcc_lo
	s_and_not1_b32 vcc_lo, exec_lo, s20
	global_load_b32 v9, v[17:18], off
	s_cbranch_vccnz .LBB54_31
; %bb.27:                               ;   in Loop: Header=BB54_25 Depth=2
	v_dual_mov_b32 v11, 0 :: v_dual_mov_b32 v14, 0
	s_and_b32 vcc_lo, exec_lo, s1
	s_mov_b32 s1, 0
	s_cbranch_vccnz .LBB54_30
; %bb.28:                               ;   in Loop: Header=BB54_25 Depth=2
	v_ashrrev_i32_e32 v14, 31, v13
	v_mov_b32_e32 v11, 0
	v_mov_b32_e32 v17, v7
	s_mov_b32 s50, s43
	s_delay_alu instid0(VALU_DEP_3) | instskip(SKIP_1) | instid1(VALU_DEP_2)
	v_lshlrev_b64 v[19:20], 3, v[13:14]
	v_mov_b32_e32 v14, 0
	v_add_co_u32 v19, vcc_lo, s35, v19
	s_delay_alu instid0(VALU_DEP_3)
	v_add_co_ci_u32_e32 v20, vcc_lo, s41, v20, vcc_lo
	.p2align	6
.LBB54_29:                              ;   Parent Loop BB54_22 Depth=1
                                        ;     Parent Loop BB54_25 Depth=2
                                        ; =>    This Inner Loop Header: Depth=3
	v_ashrrev_i32_e32 v18, 31, v17
	s_add_i32 s50, s50, -1
	s_delay_alu instid0(SALU_CYCLE_1) | instskip(NEXT) | instid1(VALU_DEP_1)
	s_cmp_lg_u32 s50, 0
	v_lshlrev_b64 v[28:29], 3, v[17:18]
	v_add_nc_u32_e32 v17, s43, v17
	s_delay_alu instid0(VALU_DEP_2) | instskip(NEXT) | instid1(VALU_DEP_3)
	v_add_co_u32 v28, vcc_lo, s28, v28
	v_add_co_ci_u32_e32 v29, vcc_lo, s29, v29, vcc_lo
	global_load_b64 v[30:31], v[19:20], off offset:-4
	global_load_b64 v[28:29], v[28:29], off
	v_add_co_u32 v19, vcc_lo, v19, 8
	v_add_co_ci_u32_e32 v20, vcc_lo, 0, v20, vcc_lo
	s_waitcnt vmcnt(0)
	v_fmac_f32_e32 v11, v28, v30
	v_fmac_f32_e32 v14, v29, v30
	s_delay_alu instid0(VALU_DEP_2) | instskip(NEXT) | instid1(VALU_DEP_2)
	v_fma_f32 v11, -v29, v31, v11
	v_fmac_f32_e32 v14, v28, v31
	s_cbranch_scc1 .LBB54_29
.LBB54_30:                              ;   in Loop: Header=BB54_25 Depth=2
	s_and_not1_b32 vcc_lo, exec_lo, s1
	s_cbranch_vccz .LBB54_32
	s_branch .LBB54_35
.LBB54_31:                              ;   in Loop: Header=BB54_25 Depth=2
                                        ; implicit-def: $vgpr11
                                        ; implicit-def: $vgpr14
.LBB54_32:                              ;   in Loop: Header=BB54_25 Depth=2
	v_dual_mov_b32 v11, 0 :: v_dual_mov_b32 v14, 0
	s_and_not1_b32 vcc_lo, exec_lo, s24
	s_cbranch_vccnz .LBB54_35
; %bb.33:                               ;   in Loop: Header=BB54_25 Depth=2
	v_dual_mov_b32 v11, 0 :: v_dual_mov_b32 v18, v16
	v_dual_mov_b32 v17, v15 :: v_dual_mov_b32 v14, 0
	v_mov_b32_e32 v19, v12
	s_mov_b32 s1, s43
	.p2align	6
.LBB54_34:                              ;   Parent Loop BB54_22 Depth=1
                                        ;     Parent Loop BB54_25 Depth=2
                                        ; =>    This Inner Loop Header: Depth=3
	s_delay_alu instid0(VALU_DEP_1) | instskip(SKIP_1) | instid1(SALU_CYCLE_1)
	v_ashrrev_i32_e32 v20, 31, v19
	s_add_i32 s1, s1, -1
	s_cmp_eq_u32 s1, 0
	s_delay_alu instid0(VALU_DEP_1) | instskip(SKIP_1) | instid1(VALU_DEP_2)
	v_lshlrev_b64 v[28:29], 3, v[19:20]
	v_add_nc_u32_e32 v19, s43, v19
	v_add_co_u32 v28, vcc_lo, s18, v28
	s_delay_alu instid0(VALU_DEP_3)
	v_add_co_ci_u32_e32 v29, vcc_lo, s19, v29, vcc_lo
	global_load_b64 v[30:31], v[17:18], off offset:-4
	global_load_b64 v[28:29], v[28:29], off
	v_add_co_u32 v17, vcc_lo, v17, 8
	v_add_co_ci_u32_e32 v18, vcc_lo, 0, v18, vcc_lo
	s_waitcnt vmcnt(0)
	v_fmac_f32_e32 v11, v30, v28
	v_fmac_f32_e32 v14, v31, v28
	s_delay_alu instid0(VALU_DEP_2) | instskip(NEXT) | instid1(VALU_DEP_2)
	v_fma_f32 v11, -v31, v29, v11
	v_fmac_f32_e32 v14, v30, v29
	s_cbranch_scc0 .LBB54_34
.LBB54_35:                              ;   in Loop: Header=BB54_25 Depth=2
	s_waitcnt vmcnt(0)
	v_subrev_nc_u32_e32 v9, s37, v9
	s_delay_alu instid0(VALU_DEP_2) | instskip(SKIP_2) | instid1(VALU_DEP_3)
	v_mul_f32_e64 v17, v14, -s13
	v_mul_f32_e32 v14, s33, v14
	s_mov_b32 s1, 0
	v_lshl_add_u32 v18, v9, 3, v9
	s_delay_alu instid0(VALU_DEP_3) | instskip(NEXT) | instid1(VALU_DEP_2)
	v_fmac_f32_e32 v17, s33, v11
	v_dual_fmac_f32 v14, s13, v11 :: v_dual_and_b32 v11, 15, v18
	s_branch .LBB54_37
.LBB54_36:                              ;   in Loop: Header=BB54_37 Depth=3
	s_or_b32 exec_lo, exec_lo, s50
	s_xor_b32 s50, s51, -1
	s_delay_alu instid0(SALU_CYCLE_1) | instskip(NEXT) | instid1(SALU_CYCLE_1)
	s_and_b32 s50, exec_lo, s50
	s_or_b32 s1, s50, s1
	s_delay_alu instid0(SALU_CYCLE_1)
	s_and_not1_b32 exec_lo, exec_lo, s1
	s_cbranch_execz .LBB54_24
.LBB54_37:                              ;   Parent Loop BB54_22 Depth=1
                                        ;     Parent Loop BB54_25 Depth=2
                                        ; =>    This Inner Loop Header: Depth=3
	s_delay_alu instid0(VALU_DEP_1)
	v_lshl_add_u32 v18, v11, 2, v21
	s_mov_b32 s50, exec_lo
                                        ; implicit-def: $sgpr51
	ds_load_b32 v19, v18
	s_waitcnt lgkmcnt(0)
	v_cmpx_ne_u32_e64 v19, v9
	s_xor_b32 s50, exec_lo, s50
	s_cbranch_execz .LBB54_45
; %bb.38:                               ;   in Loop: Header=BB54_37 Depth=3
	s_mov_b32 s52, exec_lo
                                        ; implicit-def: $sgpr51
	v_cmpx_ne_u32_e64 s42, v19
	s_xor_b32 s52, exec_lo, s52
; %bb.39:                               ;   in Loop: Header=BB54_37 Depth=3
	v_add_nc_u32_e32 v11, 1, v11
	s_mov_b32 s51, -1
                                        ; implicit-def: $vgpr18
	s_delay_alu instid0(VALU_DEP_1)
	v_and_b32_e32 v11, 15, v11
; %bb.40:                               ;   in Loop: Header=BB54_37 Depth=3
	s_and_not1_saveexec_b32 s52, s52
	s_cbranch_execz .LBB54_44
; %bb.41:                               ;   in Loop: Header=BB54_37 Depth=3
	v_mov_b32_e32 v19, s42
	s_mov_b32 s54, -1
	s_mov_b32 s53, exec_lo
	ds_cmpstore_rtn_b32 v18, v18, v9, v19
	s_waitcnt lgkmcnt(0)
	v_cmpx_eq_u32_e64 s42, v18
	s_cbranch_execz .LBB54_43
; %bb.42:                               ;   in Loop: Header=BB54_37 Depth=3
	v_lshlrev_b32_e32 v18, 3, v26
	s_xor_b32 s54, exec_lo, -1
	s_delay_alu instid0(VALU_DEP_1) | instskip(NEXT) | instid1(VALU_DEP_1)
	v_lshl_or_b32 v18, v11, 7, v18
	v_add_nc_u32_e32 v18, v23, v18
	ds_add_f32 v18, v17
	ds_add_f32 v18, v14 offset:4
.LBB54_43:                              ;   in Loop: Header=BB54_37 Depth=3
	s_or_b32 exec_lo, exec_lo, s53
	s_delay_alu instid0(SALU_CYCLE_1) | instskip(SKIP_1) | instid1(SALU_CYCLE_1)
	s_and_not1_b32 s51, s51, exec_lo
	s_and_b32 s53, s54, exec_lo
	s_or_b32 s51, s51, s53
.LBB54_44:                              ;   in Loop: Header=BB54_37 Depth=3
	s_or_b32 exec_lo, exec_lo, s52
	s_delay_alu instid0(SALU_CYCLE_1)
	s_and_b32 s51, s51, exec_lo
.LBB54_45:                              ;   in Loop: Header=BB54_37 Depth=3
	s_and_not1_saveexec_b32 s50, s50
	s_cbranch_execz .LBB54_36
; %bb.46:                               ;   in Loop: Header=BB54_37 Depth=3
	v_lshlrev_b32_e32 v18, 3, v26
	s_and_not1_b32 s51, s51, exec_lo
	s_delay_alu instid0(VALU_DEP_1) | instskip(NEXT) | instid1(VALU_DEP_1)
	v_lshl_or_b32 v18, v11, 7, v18
	v_add_nc_u32_e32 v18, v23, v18
	ds_add_f32 v18, v17
	ds_add_f32 v18, v14 offset:4
	s_branch .LBB54_36
.LBB54_47:
	s_or_b32 exec_lo, exec_lo, s15
.LBB54_48:
	s_delay_alu instid0(SALU_CYCLE_1)
	s_and_not1_b32 vcc_lo, exec_lo, s34
	s_waitcnt lgkmcnt(0)
	s_barrier
	buffer_gl0_inv
	s_cbranch_vccnz .LBB54_66
; %bb.49:
	v_add_co_u32 v5, vcc_lo, s22, v3
	v_add_co_ci_u32_e32 v6, vcc_lo, s23, v4, vcc_lo
	v_subrev_nc_u32_e32 v7, s39, v24
	s_mov_b32 s1, exec_lo
	global_load_b64 v[5:6], v[5:6], off
	s_waitcnt vmcnt(0)
	v_subrev_nc_u32_e32 v8, s39, v6
	v_add_nc_u32_e32 v5, v5, v7
	s_delay_alu instid0(VALU_DEP_1)
	v_cmpx_lt_i32_e64 v5, v8
	s_cbranch_execz .LBB54_65
; %bb.50:
	v_max_i32_e32 v6, v1, v2
	v_and_b32_e32 v9, 15, v0
	s_cmp_eq_u32 s40, 0
	s_mov_b32 s13, 0
	s_cselect_b32 s0, -1, 0
	v_cmp_gt_i32_e32 vcc_lo, s43, v6
	v_cndmask_b32_e64 v0, v1, v2, s0
	v_cndmask_b32_e64 v7, v2, v1, s0
	v_lshlrev_b32_e32 v9, 3, v9
	s_branch .LBB54_52
.LBB54_51:                              ;   in Loop: Header=BB54_52 Depth=1
	s_or_b32 exec_lo, exec_lo, s15
	v_add_nc_u32_e32 v5, 4, v5
	s_delay_alu instid0(VALU_DEP_1) | instskip(NEXT) | instid1(VALU_DEP_1)
	v_cmp_ge_i32_e64 s0, v5, v8
	s_or_b32 s13, s0, s13
	s_delay_alu instid0(SALU_CYCLE_1)
	s_and_not1_b32 exec_lo, exec_lo, s13
	s_cbranch_execz .LBB54_65
.LBB54_52:                              ; =>This Loop Header: Depth=1
                                        ;     Child Loop BB54_55 Depth 2
	s_and_saveexec_b32 s15, vcc_lo
	s_cbranch_execz .LBB54_51
; %bb.53:                               ;   in Loop: Header=BB54_52 Depth=1
	v_mad_u64_u32 v[10:11], null, v5, s43, v[0:1]
	v_ashrrev_i32_e32 v6, 31, v5
	s_mov_b32 s16, 0
	s_delay_alu instid0(VALU_DEP_1) | instskip(NEXT) | instid1(VALU_DEP_3)
	v_lshlrev_b64 v[13:14], 2, v[5:6]
	v_mad_u64_u32 v[11:12], null, v10, s43, v[7:8]
	s_delay_alu instid0(VALU_DEP_1) | instskip(NEXT) | instid1(VALU_DEP_1)
	v_ashrrev_i32_e32 v12, 31, v11
	v_lshlrev_b64 v[10:11], 3, v[11:12]
	s_delay_alu instid0(VALU_DEP_4) | instskip(NEXT) | instid1(VALU_DEP_1)
	v_add_co_u32 v12, s0, s4, v13
	v_add_co_ci_u32_e64 v13, s0, s5, v14, s0
	s_delay_alu instid0(VALU_DEP_3) | instskip(NEXT) | instid1(VALU_DEP_1)
	v_add_co_u32 v10, s0, s6, v10
	v_add_co_ci_u32_e64 v11, s0, s7, v11, s0
	global_load_b32 v6, v[12:13], off
	global_load_b64 v[12:13], v[10:11], off
	s_waitcnt vmcnt(1)
	v_subrev_nc_u32_e32 v6, s39, v6
	s_waitcnt vmcnt(0)
	v_mul_f32_e64 v10, v13, -s14
	v_mul_f32_e32 v11, s12, v13
	s_delay_alu instid0(VALU_DEP_3) | instskip(NEXT) | instid1(VALU_DEP_3)
	v_lshl_add_u32 v13, v6, 3, v6
	v_fmac_f32_e32 v10, s12, v12
	s_delay_alu instid0(VALU_DEP_2)
	v_dual_fmac_f32 v11, s14, v12 :: v_dual_and_b32 v12, 15, v13
	s_branch .LBB54_55
.LBB54_54:                              ;   in Loop: Header=BB54_55 Depth=2
	s_or_b32 exec_lo, exec_lo, s0
	s_xor_b32 s0, s18, -1
	s_delay_alu instid0(SALU_CYCLE_1) | instskip(NEXT) | instid1(SALU_CYCLE_1)
	s_and_b32 s0, exec_lo, s0
	s_or_b32 s16, s0, s16
	s_delay_alu instid0(SALU_CYCLE_1)
	s_and_not1_b32 exec_lo, exec_lo, s16
	s_cbranch_execz .LBB54_51
.LBB54_55:                              ;   Parent Loop BB54_52 Depth=1
                                        ; =>  This Inner Loop Header: Depth=2
	s_delay_alu instid0(VALU_DEP_1)
	v_lshl_add_u32 v13, v12, 2, v21
	s_mov_b32 s17, exec_lo
                                        ; implicit-def: $sgpr18
	ds_load_b32 v14, v13
	s_waitcnt lgkmcnt(0)
	v_cmpx_ne_u32_e64 v14, v6
	s_xor_b32 s17, exec_lo, s17
	s_cbranch_execz .LBB54_63
; %bb.56:                               ;   in Loop: Header=BB54_55 Depth=2
	v_cmp_ne_u32_e64 s0, s42, v14
                                        ; implicit-def: $sgpr18
	s_delay_alu instid0(VALU_DEP_1) | instskip(NEXT) | instid1(SALU_CYCLE_1)
	s_and_saveexec_b32 s19, s0
	s_xor_b32 s0, exec_lo, s19
; %bb.57:                               ;   in Loop: Header=BB54_55 Depth=2
	v_add_nc_u32_e32 v12, 1, v12
	s_mov_b32 s18, -1
                                        ; implicit-def: $vgpr13
	s_delay_alu instid0(VALU_DEP_1)
	v_and_b32_e32 v12, 15, v12
; %bb.58:                               ;   in Loop: Header=BB54_55 Depth=2
	s_and_not1_saveexec_b32 s19, s0
	s_cbranch_execz .LBB54_62
; %bb.59:                               ;   in Loop: Header=BB54_55 Depth=2
	v_mov_b32_e32 v14, s42
	s_mov_b32 s21, -1
	s_mov_b32 s20, exec_lo
	ds_cmpstore_rtn_b32 v13, v13, v6, v14
	s_waitcnt lgkmcnt(0)
	v_cmpx_eq_u32_e64 s42, v13
	s_cbranch_execz .LBB54_61
; %bb.60:                               ;   in Loop: Header=BB54_55 Depth=2
	v_lshl_or_b32 v13, v12, 7, v9
	s_xor_b32 s21, exec_lo, -1
	s_delay_alu instid0(VALU_DEP_1)
	v_add_nc_u32_e32 v13, v23, v13
	ds_add_f32 v13, v10
	ds_add_f32 v13, v11 offset:4
.LBB54_61:                              ;   in Loop: Header=BB54_55 Depth=2
	s_or_b32 exec_lo, exec_lo, s20
	s_delay_alu instid0(SALU_CYCLE_1) | instskip(SKIP_1) | instid1(SALU_CYCLE_1)
	s_and_not1_b32 s0, s18, exec_lo
	s_and_b32 s18, s21, exec_lo
	s_or_b32 s18, s0, s18
.LBB54_62:                              ;   in Loop: Header=BB54_55 Depth=2
	s_or_b32 exec_lo, exec_lo, s19
	s_delay_alu instid0(SALU_CYCLE_1)
	s_and_b32 s18, s18, exec_lo
.LBB54_63:                              ;   in Loop: Header=BB54_55 Depth=2
	s_and_not1_saveexec_b32 s0, s17
	s_cbranch_execz .LBB54_54
; %bb.64:                               ;   in Loop: Header=BB54_55 Depth=2
	v_lshl_or_b32 v13, v12, 7, v9
	s_and_not1_b32 s18, s18, exec_lo
	s_delay_alu instid0(VALU_DEP_1)
	v_add_nc_u32_e32 v13, v23, v13
	ds_add_f32 v13, v10
	ds_add_f32 v13, v11 offset:4
	s_branch .LBB54_54
.LBB54_65:
	s_or_b32 exec_lo, exec_lo, s1
.LBB54_66:
	v_add_co_u32 v3, vcc_lo, s8, v3
	v_add_co_ci_u32_e32 v4, vcc_lo, s9, v4, vcc_lo
	s_waitcnt lgkmcnt(0)
	s_barrier
	buffer_gl0_inv
	global_load_b32 v3, v[3:4], off
	s_cmp_eq_u32 s40, 0
	v_lshlrev_b32_e32 v7, 6, v22
	s_cselect_b32 vcc_lo, -1, 0
	v_max_i32_e32 v5, v1, v2
	v_cndmask_b32_e32 v4, v2, v1, vcc_lo
	v_cndmask_b32_e32 v0, v1, v2, vcc_lo
	v_lshlrev_b32_e32 v8, 2, v24
	s_mov_b32 s1, 0
	v_cmp_gt_i32_e32 vcc_lo, s43, v5
	v_lshlrev_b32_e32 v4, 3, v4
	s_delay_alu instid0(VALU_DEP_3) | instskip(NEXT) | instid1(VALU_DEP_2)
	v_or3_b32 v7, v7, v8, 0x2000
	v_lshl_or_b32 v4, v24, 7, v4
	s_delay_alu instid0(VALU_DEP_1) | instskip(SKIP_1) | instid1(VALU_DEP_2)
	v_lshl_or_b32 v4, v0, 5, v4
	v_or_b32_e32 v0, -4, v24
	v_add_nc_u32_e32 v5, v23, v4
	s_waitcnt vmcnt(0)
	v_subrev_nc_u32_e32 v6, s38, v3
	s_branch .LBB54_68
.LBB54_67:                              ;   in Loop: Header=BB54_68 Depth=1
	s_or_b32 exec_lo, exec_lo, s4
	v_add_nc_u32_e32 v0, 4, v0
	v_add_nc_u32_e32 v5, 0x200, v5
	;; [unrolled: 1-line block ×3, first 2 shown]
	s_delay_alu instid0(VALU_DEP_3) | instskip(NEXT) | instid1(VALU_DEP_1)
	v_cmp_lt_u32_e64 s0, 11, v0
	s_or_b32 s1, s0, s1
	s_delay_alu instid0(SALU_CYCLE_1)
	s_and_not1_b32 exec_lo, exec_lo, s1
	s_cbranch_execz .LBB54_71
.LBB54_68:                              ; =>This Inner Loop Header: Depth=1
	ds_load_b32 v8, v7
	s_mov_b32 s4, exec_lo
	s_waitcnt lgkmcnt(0)
	v_cmpx_gt_i32_e64 s42, v8
	s_cbranch_execz .LBB54_67
; %bb.69:                               ;   in Loop: Header=BB54_68 Depth=1
	ds_load_b128 v[9:12], v21
	ds_load_b128 v[13:16], v21 offset:16
	ds_load_b128 v[17:20], v21 offset:32
	;; [unrolled: 1-line block ×3, first 2 shown]
	s_waitcnt lgkmcnt(3)
	v_cmp_gt_i32_e64 s0, v8, v9
	s_delay_alu instid0(VALU_DEP_1) | instskip(SKIP_1) | instid1(VALU_DEP_1)
	v_cndmask_b32_e64 v3, 0, 1, s0
	v_cmp_gt_i32_e64 s0, v8, v11
	v_cndmask_b32_e64 v4, 0, 1, s0
	v_cmp_gt_i32_e64 s0, v8, v10
	s_delay_alu instid0(VALU_DEP_1) | instskip(SKIP_2) | instid1(VALU_DEP_1)
	v_add_co_ci_u32_e64 v3, s0, v6, v3, s0
	s_waitcnt lgkmcnt(2)
	v_cmp_gt_i32_e64 s0, v8, v13
	v_cndmask_b32_e64 v9, 0, 1, s0
	v_cmp_gt_i32_e64 s0, v8, v12
	s_delay_alu instid0(VALU_DEP_1) | instskip(SKIP_1) | instid1(VALU_DEP_1)
	v_add_co_ci_u32_e64 v3, s0, v3, v4, s0
	v_cmp_gt_i32_e64 s0, v8, v15
	v_cndmask_b32_e64 v4, 0, 1, s0
	v_cmp_gt_i32_e64 s0, v8, v14
	s_delay_alu instid0(VALU_DEP_1) | instskip(SKIP_2) | instid1(VALU_DEP_1)
	v_add_co_ci_u32_e64 v3, s0, v3, v9, s0
	s_waitcnt lgkmcnt(1)
	v_cmp_gt_i32_e64 s0, v8, v17
	v_cndmask_b32_e64 v9, 0, 1, s0
	v_cmp_gt_i32_e64 s0, v8, v16
	s_delay_alu instid0(VALU_DEP_1) | instskip(SKIP_1) | instid1(VALU_DEP_1)
	v_add_co_ci_u32_e64 v3, s0, v3, v4, s0
	;; [unrolled: 11-line block ×3, first 2 shown]
	v_cmp_gt_i32_e64 s0, v8, v24
	v_cndmask_b32_e64 v4, 0, 1, s0
	v_cmp_gt_i32_e64 s0, v8, v23
	s_delay_alu instid0(VALU_DEP_1) | instskip(SKIP_1) | instid1(VALU_DEP_1)
	v_add_co_ci_u32_e64 v3, s0, v3, v9, s0
	v_cmp_gt_i32_e64 s0, v8, v25
	v_add_co_ci_u32_e64 v3, s0, v3, v4, s0
	s_delay_alu instid0(VALU_DEP_1) | instskip(NEXT) | instid1(VALU_DEP_1)
	v_ashrrev_i32_e32 v4, 31, v3
	v_lshlrev_b64 v[9:10], 2, v[3:4]
	v_add_nc_u32_e32 v4, s38, v8
	s_delay_alu instid0(VALU_DEP_2) | instskip(NEXT) | instid1(VALU_DEP_1)
	v_add_co_u32 v8, s0, s10, v9
	v_add_co_ci_u32_e64 v9, s0, s11, v10, s0
	global_store_b32 v[8:9], v4, off
	s_and_b32 exec_lo, exec_lo, vcc_lo
	s_cbranch_execz .LBB54_67
; %bb.70:                               ;   in Loop: Header=BB54_68 Depth=1
	v_mad_u64_u32 v[8:9], null, v3, s43, v[2:3]
	s_delay_alu instid0(VALU_DEP_1) | instskip(SKIP_2) | instid1(VALU_DEP_1)
	v_mad_u64_u32 v[3:4], null, v8, s43, v[1:2]
	ds_load_b64 v[8:9], v5
	v_ashrrev_i32_e32 v4, 31, v3
	v_lshlrev_b64 v[3:4], 3, v[3:4]
	s_delay_alu instid0(VALU_DEP_1) | instskip(NEXT) | instid1(VALU_DEP_1)
	v_add_co_u32 v3, s0, s2, v3
	v_add_co_ci_u32_e64 v4, s0, s3, v4, s0
	s_waitcnt lgkmcnt(0)
	global_store_b64 v[3:4], v[8:9], off
	s_branch .LBB54_67
.LBB54_71:
	s_nop 0
	s_sendmsg sendmsg(MSG_DEALLOC_VGPRS)
	s_endpgm
	.section	.rodata,"a",@progbits
	.p2align	6, 0x0
	.amdhsa_kernel _ZN9rocsparseL23bsrgemm_fill_wf_per_rowILj256ELj64ELj16ELj137ELj4Eii21rocsparse_complex_numIfEEEv20rocsparse_direction_T5_S4_S4_PKS4_S6_NS_24const_host_device_scalarIT6_EEPKT4_S6_PKS8_SC_S6_SE_S9_SC_S6_SE_SC_PS4_PS8_21rocsparse_index_base_SH_SH_SH_bbb
		.amdhsa_group_segment_fixed_size 8448
		.amdhsa_private_segment_fixed_size 0
		.amdhsa_kernarg_size 164
		.amdhsa_user_sgpr_count 15
		.amdhsa_user_sgpr_dispatch_ptr 0
		.amdhsa_user_sgpr_queue_ptr 0
		.amdhsa_user_sgpr_kernarg_segment_ptr 1
		.amdhsa_user_sgpr_dispatch_id 0
		.amdhsa_user_sgpr_private_segment_size 0
		.amdhsa_wavefront_size32 1
		.amdhsa_uses_dynamic_stack 0
		.amdhsa_enable_private_segment 0
		.amdhsa_system_sgpr_workgroup_id_x 1
		.amdhsa_system_sgpr_workgroup_id_y 0
		.amdhsa_system_sgpr_workgroup_id_z 0
		.amdhsa_system_sgpr_workgroup_info 0
		.amdhsa_system_vgpr_workitem_id 0
		.amdhsa_next_free_vgpr 32
		.amdhsa_next_free_sgpr 55
		.amdhsa_reserve_vcc 1
		.amdhsa_float_round_mode_32 0
		.amdhsa_float_round_mode_16_64 0
		.amdhsa_float_denorm_mode_32 3
		.amdhsa_float_denorm_mode_16_64 3
		.amdhsa_dx10_clamp 1
		.amdhsa_ieee_mode 1
		.amdhsa_fp16_overflow 0
		.amdhsa_workgroup_processor_mode 1
		.amdhsa_memory_ordered 1
		.amdhsa_forward_progress 0
		.amdhsa_shared_vgpr_count 0
		.amdhsa_exception_fp_ieee_invalid_op 0
		.amdhsa_exception_fp_denorm_src 0
		.amdhsa_exception_fp_ieee_div_zero 0
		.amdhsa_exception_fp_ieee_overflow 0
		.amdhsa_exception_fp_ieee_underflow 0
		.amdhsa_exception_fp_ieee_inexact 0
		.amdhsa_exception_int_div_zero 0
	.end_amdhsa_kernel
	.section	.text._ZN9rocsparseL23bsrgemm_fill_wf_per_rowILj256ELj64ELj16ELj137ELj4Eii21rocsparse_complex_numIfEEEv20rocsparse_direction_T5_S4_S4_PKS4_S6_NS_24const_host_device_scalarIT6_EEPKT4_S6_PKS8_SC_S6_SE_S9_SC_S6_SE_SC_PS4_PS8_21rocsparse_index_base_SH_SH_SH_bbb,"axG",@progbits,_ZN9rocsparseL23bsrgemm_fill_wf_per_rowILj256ELj64ELj16ELj137ELj4Eii21rocsparse_complex_numIfEEEv20rocsparse_direction_T5_S4_S4_PKS4_S6_NS_24const_host_device_scalarIT6_EEPKT4_S6_PKS8_SC_S6_SE_S9_SC_S6_SE_SC_PS4_PS8_21rocsparse_index_base_SH_SH_SH_bbb,comdat
.Lfunc_end54:
	.size	_ZN9rocsparseL23bsrgemm_fill_wf_per_rowILj256ELj64ELj16ELj137ELj4Eii21rocsparse_complex_numIfEEEv20rocsparse_direction_T5_S4_S4_PKS4_S6_NS_24const_host_device_scalarIT6_EEPKT4_S6_PKS8_SC_S6_SE_S9_SC_S6_SE_SC_PS4_PS8_21rocsparse_index_base_SH_SH_SH_bbb, .Lfunc_end54-_ZN9rocsparseL23bsrgemm_fill_wf_per_rowILj256ELj64ELj16ELj137ELj4Eii21rocsparse_complex_numIfEEEv20rocsparse_direction_T5_S4_S4_PKS4_S6_NS_24const_host_device_scalarIT6_EEPKT4_S6_PKS8_SC_S6_SE_S9_SC_S6_SE_SC_PS4_PS8_21rocsparse_index_base_SH_SH_SH_bbb
                                        ; -- End function
	.section	.AMDGPU.csdata,"",@progbits
; Kernel info:
; codeLenInByte = 3008
; NumSgprs: 57
; NumVgprs: 32
; ScratchSize: 0
; MemoryBound: 0
; FloatMode: 240
; IeeeMode: 1
; LDSByteSize: 8448 bytes/workgroup (compile time only)
; SGPRBlocks: 7
; VGPRBlocks: 3
; NumSGPRsForWavesPerEU: 57
; NumVGPRsForWavesPerEU: 32
; Occupancy: 16
; WaveLimiterHint : 1
; COMPUTE_PGM_RSRC2:SCRATCH_EN: 0
; COMPUTE_PGM_RSRC2:USER_SGPR: 15
; COMPUTE_PGM_RSRC2:TRAP_HANDLER: 0
; COMPUTE_PGM_RSRC2:TGID_X_EN: 1
; COMPUTE_PGM_RSRC2:TGID_Y_EN: 0
; COMPUTE_PGM_RSRC2:TGID_Z_EN: 0
; COMPUTE_PGM_RSRC2:TIDIG_COMP_CNT: 0
	.section	.text._ZN9rocsparseL38bsrgemm_block_per_row_atomic_multipassILj256ELj32ELj4Eii21rocsparse_complex_numIfEEEv20rocsparse_direction_T3_S4_PKS4_S6_NS_24const_host_device_scalarIT4_EEPKT2_S6_PKS8_SC_S6_SE_S9_SC_S6_SE_SC_PS4_PS8_PSA_21rocsparse_index_base_SI_SI_SI_bbb,"axG",@progbits,_ZN9rocsparseL38bsrgemm_block_per_row_atomic_multipassILj256ELj32ELj4Eii21rocsparse_complex_numIfEEEv20rocsparse_direction_T3_S4_PKS4_S6_NS_24const_host_device_scalarIT4_EEPKT2_S6_PKS8_SC_S6_SE_S9_SC_S6_SE_SC_PS4_PS8_PSA_21rocsparse_index_base_SI_SI_SI_bbb,comdat
	.globl	_ZN9rocsparseL38bsrgemm_block_per_row_atomic_multipassILj256ELj32ELj4Eii21rocsparse_complex_numIfEEEv20rocsparse_direction_T3_S4_PKS4_S6_NS_24const_host_device_scalarIT4_EEPKT2_S6_PKS8_SC_S6_SE_S9_SC_S6_SE_SC_PS4_PS8_PSA_21rocsparse_index_base_SI_SI_SI_bbb ; -- Begin function _ZN9rocsparseL38bsrgemm_block_per_row_atomic_multipassILj256ELj32ELj4Eii21rocsparse_complex_numIfEEEv20rocsparse_direction_T3_S4_PKS4_S6_NS_24const_host_device_scalarIT4_EEPKT2_S6_PKS8_SC_S6_SE_S9_SC_S6_SE_SC_PS4_PS8_PSA_21rocsparse_index_base_SI_SI_SI_bbb
	.p2align	8
	.type	_ZN9rocsparseL38bsrgemm_block_per_row_atomic_multipassILj256ELj32ELj4Eii21rocsparse_complex_numIfEEEv20rocsparse_direction_T3_S4_PKS4_S6_NS_24const_host_device_scalarIT4_EEPKT2_S6_PKS8_SC_S6_SE_S9_SC_S6_SE_SC_PS4_PS8_PSA_21rocsparse_index_base_SI_SI_SI_bbb,@function
_ZN9rocsparseL38bsrgemm_block_per_row_atomic_multipassILj256ELj32ELj4Eii21rocsparse_complex_numIfEEEv20rocsparse_direction_T3_S4_PKS4_S6_NS_24const_host_device_scalarIT4_EEPKT2_S6_PKS8_SC_S6_SE_S9_SC_S6_SE_SC_PS4_PS8_PSA_21rocsparse_index_base_SI_SI_SI_bbb: ; @_ZN9rocsparseL38bsrgemm_block_per_row_atomic_multipassILj256ELj32ELj4Eii21rocsparse_complex_numIfEEEv20rocsparse_direction_T3_S4_PKS4_S6_NS_24const_host_device_scalarIT4_EEPKT2_S6_PKS8_SC_S6_SE_S9_SC_S6_SE_SC_PS4_PS8_PSA_21rocsparse_index_base_SI_SI_SI_bbb
; %bb.0:
	s_clause 0x5
	s_load_b32 s3, s[0:1], 0xa8
	s_load_b256 s[16:23], s[0:1], 0x88
	s_load_b256 s[24:31], s[0:1], 0x68
	;; [unrolled: 1-line block ×3, first 2 shown]
	s_load_b128 s[4:7], s[0:1], 0x10
	s_load_b256 s[44:51], s[0:1], 0x28
	s_mov_b32 s2, s15
	s_mov_b32 s15, 0
	;; [unrolled: 1-line block ×3, first 2 shown]
	s_waitcnt lgkmcnt(0)
	s_bitcmp1_b32 s3, 0
	s_cselect_b32 s11, -1, 0
	s_bitcmp1_b32 s3, 16
	s_cselect_b32 s8, -1, 0
	s_delay_alu instid0(SALU_CYCLE_1) | instskip(SKIP_2) | instid1(VALU_DEP_1)
	s_xor_b32 s8, s8, -1
	s_bitcmp0_b32 s3, 0
	v_cndmask_b32_e64 v1, 0, 1, s8
	v_cmp_ne_u32_e32 vcc_lo, 1, v1
	s_cbranch_scc1 .LBB55_5
; %bb.1:
	s_load_b64 s[14:15], s[0:1], 0x20
	s_and_b32 vcc_lo, exec_lo, vcc_lo
	s_waitcnt lgkmcnt(0)
	s_mov_b32 s33, s14
	s_cbranch_vccnz .LBB55_3
; %bb.2:
	s_load_b32 s33, s[14:15], 0x0
.LBB55_3:
	s_and_not1_b32 vcc_lo, exec_lo, s8
	s_cbranch_vccnz .LBB55_5
; %bb.4:
	s_load_b32 s15, s[14:15], 0x4
.LBB55_5:
	s_bitcmp1_b32 s3, 8
	s_mov_b32 s35, 0
	s_cselect_b32 s14, -1, 0
	s_bfe_u32 s3, s3, 0x10008
	s_mov_b32 s34, 0
	s_cmp_eq_u32 s3, 0
	s_cbranch_scc1 .LBB55_11
; %bb.6:
	v_cmp_ne_u32_e32 vcc_lo, 1, v1
	s_mov_b32 s34, s40
	s_cbranch_vccnz .LBB55_8
; %bb.7:
	s_load_b32 s34, s[40:41], 0x0
.LBB55_8:
	v_cmp_ne_u32_e32 vcc_lo, 1, v1
	s_cbranch_vccnz .LBB55_10
; %bb.9:
	s_load_b32 s41, s[40:41], 0x4
.LBB55_10:
	s_waitcnt lgkmcnt(0)
	s_mov_b32 s35, s41
.LBB55_11:
	s_cmp_eq_u64 s[6:7], 0
	s_cbranch_scc1 .LBB55_13
; %bb.12:
	s_load_b32 s3, s[4:5], 0x0
	s_waitcnt lgkmcnt(0)
	s_add_i32 s2, s3, s2
	s_mov_b32 s3, 0
	s_delay_alu instid0(SALU_CYCLE_1) | instskip(NEXT) | instid1(SALU_CYCLE_1)
	s_lshl_b64 s[2:3], s[2:3], 2
	s_add_u32 s2, s6, s2
	s_addc_u32 s3, s7, s3
	s_load_b32 s2, s[2:3], 0x0
.LBB55_13:
	s_mov_b32 s40, 0
	s_and_not1_b32 vcc_lo, exec_lo, s11
	s_mov_b32 s41, 0
	s_cbranch_vccz .LBB55_16
; %bb.14:
	s_and_not1_b32 vcc_lo, exec_lo, s11
	s_cbranch_vccz .LBB55_17
.LBB55_15:
	s_load_b128 s[52:55], s[0:1], 0x0
	s_waitcnt lgkmcnt(0)
	s_cmp_lt_i32 s53, 1
	s_cbranch_scc0 .LBB55_18
	s_branch .LBB55_101
.LBB55_16:
	s_waitcnt lgkmcnt(0)
	s_ashr_i32 s3, s2, 31
	s_delay_alu instid0(SALU_CYCLE_1) | instskip(NEXT) | instid1(SALU_CYCLE_1)
	s_lshl_b64 s[4:5], s[2:3], 2
	s_add_u32 s4, s44, s4
	s_addc_u32 s5, s45, s5
	s_load_b32 s3, s[4:5], 0x0
	s_waitcnt lgkmcnt(0)
	s_sub_i32 s41, s3, s20
	s_and_not1_b32 vcc_lo, exec_lo, s11
	s_cbranch_vccnz .LBB55_15
.LBB55_17:
	s_waitcnt lgkmcnt(0)
	s_ashr_i32 s3, s2, 31
	s_delay_alu instid0(SALU_CYCLE_1) | instskip(NEXT) | instid1(SALU_CYCLE_1)
	s_lshl_b64 s[4:5], s[2:3], 2
	s_add_u32 s4, s44, s4
	s_addc_u32 s5, s45, s5
	s_load_b32 s3, s[4:5], 0x4
	s_waitcnt lgkmcnt(0)
	s_sub_i32 s40, s3, s20
	s_load_b128 s[52:55], s[0:1], 0x0
	s_waitcnt lgkmcnt(0)
	s_cmp_lt_i32 s53, 1
	s_cbranch_scc1 .LBB55_101
.LBB55_18:
	s_ashr_i32 s3, s2, 31
	v_dual_mov_b32 v28, 0 :: v_dual_and_b32 v1, 3, v0
	s_lshl_b64 s[6:7], s[2:3], 2
	v_bfe_u32 v2, v0, 2, 2
	s_add_u32 s0, s28, s6
	s_addc_u32 s1, s29, s7
	v_and_b32_e32 v4, 31, v0
	s_load_b32 s4, s[0:1], 0x0
	v_lshrrev_b32_e32 v12, 4, v0
	v_max_i32_e32 v5, v1, v2
	v_dual_mov_b32 v30, 0 :: v_dual_lshlrev_b32 v13, 3, v0
	v_add_co_u32 v6, s44, v4, -1
	s_delay_alu instid0(VALU_DEP_3) | instskip(SKIP_2) | instid1(VALU_DEP_4)
	v_cmp_le_i32_e64 s5, s54, v5
	v_mov_b32_e32 v29, 1
	v_cmp_gt_u32_e64 s0, 32, v0
	v_lshl_add_u32 v19, v6, 2, 0x1800
	v_lshlrev_b32_e32 v6, 3, v2
	v_cmp_gt_u32_e64 s1, 0x200, v0
	v_cmp_eq_u32_e64 s2, 0, v0
	v_lshl_or_b32 v15, v0, 2, 0x1800
	v_or_b32_e32 v16, 0x1000, v13
	v_subrev_nc_u32_e32 v17, s23, v12
	v_lshl_or_b32 v26, v12, 2, 0x1800
	s_mul_i32 s55, s54, s54
	v_mov_b32_e32 v31, 32
	s_waitcnt lgkmcnt(0)
	s_sub_i32 s12, s4, s22
	s_cmp_lt_i32 s41, s40
	v_cmp_gt_i32_e64 s4, s54, v5
	s_cselect_b32 s13, -1, 0
	s_cmp_eq_u32 s52, 0
	v_lshlrev_b32_e32 v5, 7, v12
	s_cselect_b32 vcc_lo, -1, 0
	v_and_b32_e32 v3, 15, v0
	s_cmp_lg_u32 s52, 0
	v_and_b32_e32 v14, 12, v0
	s_cselect_b32 s45, -1, 0
	s_cmp_gt_i32 s54, 0
	v_cmp_eq_u32_e64 s3, 15, v3
	v_or3_b32 v24, v5, v6, 0x1000
	v_mov_b32_e32 v5, 0
	v_lshlrev_b32_e32 v3, 2, v4
	s_cselect_b32 s52, -1, 0
	s_add_u32 s28, s42, s6
	s_addc_u32 s29, s43, s7
	s_and_b32 s42, s11, s13
	s_movk_i32 s11, 0x7e0
	v_or_b32_e32 v18, 0x1800, v3
	v_cmp_ne_u32_e64 s6, 0, v4
	v_cmp_lt_u32_e64 s7, 1, v4
	v_add_nc_u32_e32 v20, 0x17f8, v3
	v_cmp_lt_u32_e64 s8, 3, v4
	v_add_nc_u32_e32 v21, 0x17f0, v3
	v_cmp_lt_u32_e64 s9, 7, v4
	v_dual_mov_b32 v27, s12 :: v_dual_add_nc_u32 v22, 0x17e0, v3
	v_cmp_lt_u32_e64 s10, 15, v4
	v_add_nc_u32_e32 v23, 0x17c0, v3
	v_dual_cndmask_b32 v3, v1, v2 :: v_dual_cndmask_b32 v4, v2, v1
	v_or_b32_e32 v0, 0xffffff00, v0
	v_and_or_b32 v25, v13, s11, 0x1000
	s_add_u32 s43, s50, 4
	s_addc_u32 s56, s51, 0
	s_lshl_b32 s57, s55, 4
	s_branch .LBB55_20
.LBB55_19:                              ;   in Loop: Header=BB55_20 Depth=1
	s_set_inst_prefetch_distance 0x2
	s_or_b32 exec_lo, exec_lo, s11
	s_waitcnt_vscnt null, 0x0
	s_barrier
	buffer_gl0_inv
	ds_load_b32 v30, v28 offset:6272
	v_add_nc_u32_e32 v27, v8, v27
	s_waitcnt lgkmcnt(0)
	s_barrier
	buffer_gl0_inv
	v_cmp_le_i32_e32 vcc_lo, s53, v30
	v_add_nc_u32_e32 v31, 32, v30
	s_cbranch_vccnz .LBB55_101
.LBB55_20:                              ; =>This Loop Header: Depth=1
                                        ;     Child Loop BB55_24 Depth 2
                                        ;     Child Loop BB55_30 Depth 2
                                        ;       Child Loop BB55_44 Depth 3
                                        ;         Child Loop BB55_53 Depth 4
                                        ;         Child Loop BB55_58 Depth 4
                                        ;     Child Loop BB55_69 Depth 2
                                        ;     Child Loop BB55_78 Depth 2
	;; [unrolled: 1-line block ×3, first 2 shown]
	s_and_saveexec_b32 s11, s0
	s_cbranch_execz .LBB55_22
; %bb.21:                               ;   in Loop: Header=BB55_20 Depth=1
	ds_store_b32 v15, v28
.LBB55_22:                              ;   in Loop: Header=BB55_20 Depth=1
	s_or_b32 exec_lo, exec_lo, s11
	s_and_saveexec_b32 s11, s1
	s_cbranch_execz .LBB55_25
; %bb.23:                               ;   in Loop: Header=BB55_20 Depth=1
	v_dual_mov_b32 v7, v13 :: v_dual_mov_b32 v8, v0
	s_mov_b32 s12, 0
.LBB55_24:                              ;   Parent Loop BB55_20 Depth=1
                                        ; =>  This Inner Loop Header: Depth=2
	v_mov_b32_e32 v6, v5
	s_delay_alu instid0(VALU_DEP_2) | instskip(NEXT) | instid1(VALU_DEP_1)
	v_add_co_u32 v8, s13, 0x100, v8
	s_xor_b32 s13, s13, -1
	s_delay_alu instid0(SALU_CYCLE_1) | instskip(SKIP_3) | instid1(SALU_CYCLE_1)
	s_and_b32 s13, exec_lo, s13
	ds_store_b64 v7, v[5:6]
	v_add_nc_u32_e32 v7, 0x800, v7
	s_or_b32 s12, s13, s12
	s_and_not1_b32 exec_lo, exec_lo, s12
	s_cbranch_execnz .LBB55_24
.LBB55_25:                              ;   in Loop: Header=BB55_20 Depth=1
	s_or_b32 exec_lo, exec_lo, s11
	s_and_saveexec_b32 s11, s2
	s_cbranch_execz .LBB55_27
; %bb.26:                               ;   in Loop: Header=BB55_20 Depth=1
	v_mov_b32_e32 v6, s53
	ds_store_b32 v28, v6 offset:6272
.LBB55_27:                              ;   in Loop: Header=BB55_20 Depth=1
	s_or_b32 exec_lo, exec_lo, s11
	v_mov_b32_e32 v32, s53
	s_and_not1_b32 vcc_lo, exec_lo, s42
	s_waitcnt lgkmcnt(0)
	s_barrier
	buffer_gl0_inv
	s_cbranch_vccnz .LBB55_64
; %bb.28:                               ;   in Loop: Header=BB55_20 Depth=1
	v_cmp_ne_u32_e64 s11, 0, v30
	v_mov_b32_e32 v32, s53
	s_mov_b32 s58, s41
	s_branch .LBB55_30
.LBB55_29:                              ;   in Loop: Header=BB55_30 Depth=2
	s_or_b32 exec_lo, exec_lo, s13
	s_add_i32 s58, s58, 16
	s_delay_alu instid0(SALU_CYCLE_1)
	s_cmp_lt_i32 s58, s40
	s_cbranch_scc0 .LBB55_64
.LBB55_30:                              ;   Parent Loop BB55_20 Depth=1
                                        ; =>  This Loop Header: Depth=2
                                        ;       Child Loop BB55_44 Depth 3
                                        ;         Child Loop BB55_53 Depth 4
                                        ;         Child Loop BB55_58 Depth 4
	v_add_nc_u32_e32 v7, s58, v12
	s_waitcnt_vscnt null, 0x0
	s_barrier
	buffer_gl0_inv
	v_cmp_gt_i32_e64 s12, s40, v7
	s_delay_alu instid0(VALU_DEP_1)
	s_and_saveexec_b32 s13, s12
	s_cbranch_execz .LBB55_35
; %bb.31:                               ;   in Loop: Header=BB55_30 Depth=2
	s_and_saveexec_b32 s59, s5
	s_delay_alu instid0(SALU_CYCLE_1)
	s_xor_b32 s59, exec_lo, s59
	s_cbranch_execz .LBB55_33
; %bb.32:                               ;   in Loop: Header=BB55_30 Depth=2
	v_mov_b32_e32 v6, v5
	ds_store_b64 v16, v[5:6]
.LBB55_33:                              ;   in Loop: Header=BB55_30 Depth=2
	s_and_not1_saveexec_b32 s59, s59
	s_cbranch_execz .LBB55_35
; %bb.34:                               ;   in Loop: Header=BB55_30 Depth=2
	v_mad_u64_u32 v[8:9], null, v7, s54, v[2:3]
	s_delay_alu instid0(VALU_DEP_1) | instskip(NEXT) | instid1(VALU_DEP_1)
	v_mad_u64_u32 v[9:10], null, v8, s54, v[1:2]
	v_ashrrev_i32_e32 v10, 31, v9
	s_delay_alu instid0(VALU_DEP_1) | instskip(NEXT) | instid1(VALU_DEP_1)
	v_lshlrev_b64 v[8:9], 3, v[9:10]
	v_add_co_u32 v8, vcc_lo, s48, v8
	s_delay_alu instid0(VALU_DEP_2)
	v_add_co_ci_u32_e32 v9, vcc_lo, s49, v9, vcc_lo
	global_load_b64 v[8:9], v[8:9], off
	s_waitcnt vmcnt(0)
	ds_store_b64 v16, v[8:9]
.LBB55_35:                              ;   in Loop: Header=BB55_30 Depth=2
	s_or_b32 exec_lo, exec_lo, s13
	v_mov_b32_e32 v6, 0
	s_waitcnt lgkmcnt(0)
	s_barrier
	buffer_gl0_inv
	s_and_saveexec_b32 s59, s12
	s_cbranch_execz .LBB55_61
; %bb.36:                               ;   in Loop: Header=BB55_30 Depth=2
	v_ashrrev_i32_e32 v8, 31, v7
	s_delay_alu instid0(VALU_DEP_1) | instskip(NEXT) | instid1(VALU_DEP_1)
	v_lshlrev_b64 v[10:11], 2, v[7:8]
	v_add_co_u32 v8, vcc_lo, s46, v10
	s_delay_alu instid0(VALU_DEP_2) | instskip(SKIP_4) | instid1(VALU_DEP_1)
	v_add_co_ci_u32_e32 v9, vcc_lo, s47, v11, vcc_lo
	s_and_b32 vcc_lo, exec_lo, s11
	global_load_b32 v6, v[8:9], off
	s_waitcnt vmcnt(0)
	v_subrev_nc_u32_e32 v8, s20, v6
	v_ashrrev_i32_e32 v9, 31, v8
	s_cbranch_vccz .LBB55_63
; %bb.37:                               ;   in Loop: Header=BB55_30 Depth=2
	v_add_co_u32 v10, vcc_lo, s18, v10
	v_add_co_ci_u32_e32 v11, vcc_lo, s19, v11, vcc_lo
	global_load_b32 v6, v[10:11], off
	s_cbranch_execnz .LBB55_39
.LBB55_38:                              ;   in Loop: Header=BB55_30 Depth=2
	s_delay_alu instid0(VALU_DEP_1) | instskip(NEXT) | instid1(VALU_DEP_1)
	v_lshlrev_b64 v[10:11], 2, v[8:9]
	v_add_co_u32 v10, vcc_lo, s50, v10
	s_delay_alu instid0(VALU_DEP_2)
	v_add_co_ci_u32_e32 v11, vcc_lo, s51, v11, vcc_lo
	global_load_b32 v6, v[10:11], off
	s_waitcnt vmcnt(0)
	v_subrev_nc_u32_e32 v6, s21, v6
.LBB55_39:                              ;   in Loop: Header=BB55_30 Depth=2
	v_lshlrev_b64 v[8:9], 2, v[8:9]
	s_mov_b32 s60, exec_lo
	s_delay_alu instid0(VALU_DEP_1) | instskip(NEXT) | instid1(VALU_DEP_2)
	v_add_co_u32 v8, vcc_lo, s43, v8
	v_add_co_ci_u32_e32 v9, vcc_lo, s56, v9, vcc_lo
	global_load_b32 v8, v[8:9], off
	s_waitcnt vmcnt(0)
	v_subrev_nc_u32_e32 v33, s21, v8
	s_delay_alu instid0(VALU_DEP_1)
	v_cmpx_lt_i32_e64 v6, v33
	s_cbranch_execz .LBB55_60
; %bb.40:                               ;   in Loop: Header=BB55_30 Depth=2
	v_mad_u64_u32 v[8:9], null, s54, v6, v[1:2]
	s_mov_b32 s61, 0
	s_delay_alu instid0(VALU_DEP_1)
	v_mul_lo_u32 v34, s54, v8
	v_mad_u64_u32 v[8:9], null, s55, v6, v[1:2]
	v_mov_b32_e32 v9, v6
	s_branch .LBB55_44
.LBB55_41:                              ;   in Loop: Header=BB55_44 Depth=3
	s_delay_alu instid0(VALU_DEP_1) | instskip(SKIP_1) | instid1(VALU_DEP_2)
	v_dual_mul_f32 v35, s33, v37 :: v_dual_lshlrev_b32 v10, 4, v35
	v_mul_f32_e64 v11, v37, -s15
	v_or3_b32 v10, v10, v14, v1
	s_delay_alu instid0(VALU_DEP_3) | instskip(NEXT) | instid1(VALU_DEP_2)
	v_fmac_f32_e32 v35, s15, v36
	v_dual_fmac_f32 v11, s33, v36 :: v_dual_lshlrev_b32 v10, 3, v10
	ds_add_f32 v10, v11
	ds_add_f32 v10, v35 offset:4
.LBB55_42:                              ;   in Loop: Header=BB55_44 Depth=3
	s_or_b32 exec_lo, exec_lo, s64
	s_delay_alu instid0(SALU_CYCLE_1)
	s_or_b32 s62, s62, exec_lo
.LBB55_43:                              ;   in Loop: Header=BB55_44 Depth=3
	s_or_b32 exec_lo, exec_lo, s63
	v_add_nc_u32_e32 v9, 1, v9
	s_xor_b32 s13, s62, -1
	v_add_nc_u32_e32 v34, s55, v34
	v_add_nc_u32_e32 v8, s55, v8
	s_delay_alu instid0(VALU_DEP_3) | instskip(SKIP_1) | instid1(SALU_CYCLE_1)
	v_cmp_ge_i32_e32 vcc_lo, v9, v33
	s_or_b32 s13, s13, vcc_lo
	s_and_b32 s13, exec_lo, s13
	s_delay_alu instid0(SALU_CYCLE_1) | instskip(NEXT) | instid1(SALU_CYCLE_1)
	s_or_b32 s61, s13, s61
	s_and_not1_b32 exec_lo, exec_lo, s61
	s_cbranch_execz .LBB55_59
.LBB55_44:                              ;   Parent Loop BB55_20 Depth=1
                                        ;     Parent Loop BB55_30 Depth=2
                                        ; =>    This Loop Header: Depth=3
                                        ;         Child Loop BB55_53 Depth 4
                                        ;         Child Loop BB55_58 Depth 4
	s_delay_alu instid0(VALU_DEP_1) | instskip(NEXT) | instid1(VALU_DEP_1)
	v_ashrrev_i32_e32 v10, 31, v9
                                        ; implicit-def: $sgpr62
	v_lshlrev_b64 v[10:11], 2, v[9:10]
	s_delay_alu instid0(VALU_DEP_1) | instskip(NEXT) | instid1(VALU_DEP_2)
	v_add_co_u32 v10, vcc_lo, s36, v10
	v_add_co_ci_u32_e32 v11, vcc_lo, s37, v11, vcc_lo
	global_load_b32 v10, v[10:11], off
	s_waitcnt vmcnt(0)
	v_subrev_nc_u32_e32 v10, s21, v10
	s_delay_alu instid0(VALU_DEP_1) | instskip(SKIP_1) | instid1(VALU_DEP_2)
	v_cmp_lt_i32_e64 s13, v10, v30
	v_cmp_ge_i32_e32 vcc_lo, v10, v31
	s_or_b32 s13, s13, vcc_lo
	s_delay_alu instid0(SALU_CYCLE_1) | instskip(NEXT) | instid1(SALU_CYCLE_1)
	s_and_saveexec_b32 s63, s13
	s_xor_b32 s13, exec_lo, s63
	s_cbranch_execz .LBB55_48
; %bb.45:                               ;   in Loop: Header=BB55_44 Depth=3
	s_mov_b32 s62, -1
	s_and_saveexec_b32 s63, vcc_lo
; %bb.46:                               ;   in Loop: Header=BB55_44 Depth=3
	v_min_i32_e32 v32, v10, v32
	v_mov_b32_e32 v6, v9
	s_xor_b32 s62, exec_lo, -1
; %bb.47:                               ;   in Loop: Header=BB55_44 Depth=3
	s_or_b32 exec_lo, exec_lo, s63
	s_delay_alu instid0(SALU_CYCLE_1)
	s_and_b32 s62, s62, exec_lo
                                        ; implicit-def: $vgpr10
.LBB55_48:                              ;   in Loop: Header=BB55_44 Depth=3
	s_and_not1_saveexec_b32 s63, s13
	s_cbranch_execz .LBB55_43
; %bb.49:                               ;   in Loop: Header=BB55_44 Depth=3
	v_sub_nc_u32_e32 v35, v10, v30
	s_delay_alu instid0(VALU_DEP_1)
	v_lshlrev_b32_e32 v10, 2, v35
	ds_store_b32 v10, v29 offset:6144
	s_and_saveexec_b32 s64, s4
	s_cbranch_execz .LBB55_42
; %bb.50:                               ;   in Loop: Header=BB55_44 Depth=3
	v_cndmask_b32_e64 v10, 0, 1, s52
	s_and_not1_b32 vcc_lo, exec_lo, s45
	s_delay_alu instid0(VALU_DEP_1)
	v_cmp_ne_u32_e64 s13, 1, v10
	s_cbranch_vccnz .LBB55_55
; %bb.51:                               ;   in Loop: Header=BB55_44 Depth=3
	v_dual_mov_b32 v36, 0 :: v_dual_mov_b32 v37, 0
	s_delay_alu instid0(VALU_DEP_2)
	s_and_b32 vcc_lo, exec_lo, s13
	s_mov_b32 s13, 0
	s_cbranch_vccnz .LBB55_54
; %bb.52:                               ;   in Loop: Header=BB55_44 Depth=3
	v_dual_mov_b32 v36, 0 :: v_dual_mov_b32 v37, 0
	v_mov_b32_e32 v10, v34
	v_mov_b32_e32 v38, v24
	s_mov_b32 s65, s54
	.p2align	6
.LBB55_53:                              ;   Parent Loop BB55_20 Depth=1
                                        ;     Parent Loop BB55_30 Depth=2
                                        ;       Parent Loop BB55_44 Depth=3
                                        ; =>      This Inner Loop Header: Depth=4
	s_delay_alu instid0(VALU_DEP_2)
	v_ashrrev_i32_e32 v11, 31, v10
	ds_load_b64 v[41:42], v38
	s_add_i32 s65, s65, -1
	v_add_nc_u32_e32 v38, 32, v38
	s_cmp_lg_u32 s65, 0
	v_lshlrev_b64 v[39:40], 3, v[10:11]
	s_delay_alu instid0(VALU_DEP_1) | instskip(NEXT) | instid1(VALU_DEP_2)
	v_add_co_u32 v39, vcc_lo, s38, v39
	v_add_co_ci_u32_e32 v40, vcc_lo, s39, v40, vcc_lo
	global_load_b64 v[39:40], v[39:40], off
	s_waitcnt vmcnt(0) lgkmcnt(0)
	v_fmac_f32_e32 v36, v41, v39
	v_dual_fmac_f32 v37, v42, v39 :: v_dual_add_nc_u32 v10, 1, v10
	s_delay_alu instid0(VALU_DEP_2) | instskip(NEXT) | instid1(VALU_DEP_2)
	v_fma_f32 v36, -v42, v40, v36
	v_fmac_f32_e32 v37, v41, v40
	s_cbranch_scc1 .LBB55_53
.LBB55_54:                              ;   in Loop: Header=BB55_44 Depth=3
	s_and_not1_b32 vcc_lo, exec_lo, s13
	s_cbranch_vccnz .LBB55_41
	s_branch .LBB55_56
.LBB55_55:                              ;   in Loop: Header=BB55_44 Depth=3
                                        ; implicit-def: $vgpr36
                                        ; implicit-def: $vgpr37
.LBB55_56:                              ;   in Loop: Header=BB55_44 Depth=3
	v_dual_mov_b32 v36, 0 :: v_dual_mov_b32 v37, 0
	s_and_not1_b32 vcc_lo, exec_lo, s52
	s_cbranch_vccnz .LBB55_41
; %bb.57:                               ;   in Loop: Header=BB55_44 Depth=3
	v_dual_mov_b32 v36, 0 :: v_dual_mov_b32 v37, 0
	v_mov_b32_e32 v38, v25
	v_mov_b32_e32 v10, v8
	s_mov_b32 s13, s54
	.p2align	6
.LBB55_58:                              ;   Parent Loop BB55_20 Depth=1
                                        ;     Parent Loop BB55_30 Depth=2
                                        ;       Parent Loop BB55_44 Depth=3
                                        ; =>      This Inner Loop Header: Depth=4
	s_delay_alu instid0(VALU_DEP_1)
	v_ashrrev_i32_e32 v11, 31, v10
	ds_load_b64 v[41:42], v38
	s_add_i32 s13, s13, -1
	v_add_nc_u32_e32 v38, 8, v38
	s_cmp_eq_u32 s13, 0
	v_lshlrev_b64 v[39:40], 3, v[10:11]
	s_delay_alu instid0(VALU_DEP_1) | instskip(NEXT) | instid1(VALU_DEP_2)
	v_add_co_u32 v39, vcc_lo, s38, v39
	v_add_co_ci_u32_e32 v40, vcc_lo, s39, v40, vcc_lo
	global_load_b64 v[39:40], v[39:40], off
	s_waitcnt vmcnt(0) lgkmcnt(0)
	v_fmac_f32_e32 v36, v41, v39
	v_dual_fmac_f32 v37, v42, v39 :: v_dual_add_nc_u32 v10, s54, v10
	s_delay_alu instid0(VALU_DEP_2) | instskip(NEXT) | instid1(VALU_DEP_2)
	v_fma_f32 v36, -v42, v40, v36
	v_fmac_f32_e32 v37, v41, v40
	s_cbranch_scc0 .LBB55_58
	s_branch .LBB55_41
.LBB55_59:                              ;   in Loop: Header=BB55_30 Depth=2
	s_or_b32 exec_lo, exec_lo, s61
.LBB55_60:                              ;   in Loop: Header=BB55_30 Depth=2
	s_delay_alu instid0(SALU_CYCLE_1)
	s_or_b32 exec_lo, exec_lo, s60
.LBB55_61:                              ;   in Loop: Header=BB55_30 Depth=2
	s_delay_alu instid0(SALU_CYCLE_1)
	s_or_b32 exec_lo, exec_lo, s59
	s_waitcnt lgkmcnt(0)
	s_barrier
	buffer_gl0_inv
	s_and_saveexec_b32 s13, s12
	s_cbranch_execz .LBB55_29
; %bb.62:                               ;   in Loop: Header=BB55_30 Depth=2
	v_ashrrev_i32_e32 v8, 31, v7
	s_delay_alu instid0(VALU_DEP_1) | instskip(NEXT) | instid1(VALU_DEP_1)
	v_lshlrev_b64 v[7:8], 2, v[7:8]
	v_add_co_u32 v7, vcc_lo, s18, v7
	s_delay_alu instid0(VALU_DEP_2)
	v_add_co_ci_u32_e32 v8, vcc_lo, s19, v8, vcc_lo
	global_store_b32 v[7:8], v6, off
	s_branch .LBB55_29
.LBB55_63:                              ;   in Loop: Header=BB55_30 Depth=2
                                        ; implicit-def: $vgpr6
	s_branch .LBB55_38
.LBB55_64:                              ;   in Loop: Header=BB55_20 Depth=1
	s_and_not1_b32 vcc_lo, exec_lo, s14
	s_cbranch_vccnz .LBB55_76
; %bb.65:                               ;   in Loop: Header=BB55_20 Depth=1
	s_load_b64 s[12:13], s[28:29], 0x0
	s_waitcnt lgkmcnt(0)
	v_add_nc_u32_e32 v6, s12, v17
	s_sub_i32 s58, s13, s23
	s_mov_b32 s13, exec_lo
	s_delay_alu instid0(VALU_DEP_1)
	v_cmpx_gt_i32_e64 s58, v6
	s_cbranch_execz .LBB55_75
; %bb.66:                               ;   in Loop: Header=BB55_20 Depth=1
	v_mad_u64_u32 v[7:8], null, s54, v6, v[3:4]
	s_mov_b32 s59, 0
	s_delay_alu instid0(VALU_DEP_1)
	v_mad_u64_u32 v[8:9], null, s54, v7, v[4:5]
	s_branch .LBB55_69
.LBB55_67:                              ;   in Loop: Header=BB55_69 Depth=2
	s_or_b32 exec_lo, exec_lo, s60
	s_delay_alu instid0(SALU_CYCLE_1)
	s_or_b32 s11, s11, exec_lo
.LBB55_68:                              ;   in Loop: Header=BB55_69 Depth=2
	s_or_b32 exec_lo, exec_lo, s12
	v_add_nc_u32_e32 v6, 16, v6
	s_xor_b32 s11, s11, -1
	v_add_nc_u32_e32 v8, s57, v8
	s_delay_alu instid0(VALU_DEP_2) | instskip(SKIP_1) | instid1(SALU_CYCLE_1)
	v_cmp_le_i32_e32 vcc_lo, s58, v6
	s_or_b32 s11, vcc_lo, s11
	s_and_b32 s11, exec_lo, s11
	s_delay_alu instid0(SALU_CYCLE_1) | instskip(NEXT) | instid1(SALU_CYCLE_1)
	s_or_b32 s59, s11, s59
	s_and_not1_b32 exec_lo, exec_lo, s59
	s_cbranch_execz .LBB55_74
.LBB55_69:                              ;   Parent Loop BB55_20 Depth=1
                                        ; =>  This Inner Loop Header: Depth=2
	v_ashrrev_i32_e32 v7, 31, v6
	s_delay_alu instid0(VALU_DEP_1) | instskip(NEXT) | instid1(VALU_DEP_1)
	v_lshlrev_b64 v[9:10], 2, v[6:7]
	v_add_co_u32 v9, vcc_lo, s24, v9
	s_delay_alu instid0(VALU_DEP_2) | instskip(SKIP_3) | instid1(VALU_DEP_1)
	v_add_co_ci_u32_e32 v10, vcc_lo, s25, v10, vcc_lo
	global_load_b32 v7, v[9:10], off
	s_waitcnt vmcnt(0)
	v_subrev_nc_u32_e32 v7, s23, v7
	v_cmp_lt_i32_e64 s11, v7, v30
	v_cmp_ge_i32_e64 s12, v7, v31
	v_cmp_lt_i32_e32 vcc_lo, v7, v31
	s_delay_alu instid0(VALU_DEP_2) | instskip(NEXT) | instid1(SALU_CYCLE_1)
	s_or_b32 s12, s11, s12
                                        ; implicit-def: $sgpr11
	s_and_saveexec_b32 s60, s12
	s_delay_alu instid0(SALU_CYCLE_1)
	s_xor_b32 s12, exec_lo, s60
; %bb.70:                               ;   in Loop: Header=BB55_69 Depth=2
	v_min_i32_e32 v7, v7, v32
	s_and_b32 s11, vcc_lo, exec_lo
	s_delay_alu instid0(VALU_DEP_1)
	v_cndmask_b32_e32 v32, v7, v32, vcc_lo
                                        ; implicit-def: $vgpr7
; %bb.71:                               ;   in Loop: Header=BB55_69 Depth=2
	s_and_not1_saveexec_b32 s12, s12
	s_cbranch_execz .LBB55_68
; %bb.72:                               ;   in Loop: Header=BB55_69 Depth=2
	v_sub_nc_u32_e32 v7, v7, v30
	s_delay_alu instid0(VALU_DEP_1)
	v_lshlrev_b32_e32 v9, 2, v7
	ds_store_b32 v9, v29 offset:6144
	s_and_saveexec_b32 s60, s4
	s_cbranch_execz .LBB55_67
; %bb.73:                               ;   in Loop: Header=BB55_69 Depth=2
	v_ashrrev_i32_e32 v9, 31, v8
	s_delay_alu instid0(VALU_DEP_1) | instskip(NEXT) | instid1(VALU_DEP_1)
	v_lshlrev_b64 v[9:10], 3, v[8:9]
	v_add_co_u32 v9, vcc_lo, s26, v9
	s_delay_alu instid0(VALU_DEP_2)
	v_add_co_ci_u32_e32 v10, vcc_lo, s27, v10, vcc_lo
	global_load_b64 v[9:10], v[9:10], off
	v_lshlrev_b32_e32 v7, 4, v7
	s_waitcnt vmcnt(0)
	v_mul_f32_e64 v11, v10, -s35
	v_mul_f32_e32 v10, s34, v10
	s_delay_alu instid0(VALU_DEP_3) | instskip(NEXT) | instid1(VALU_DEP_3)
	v_or3_b32 v7, v7, v14, v1
	v_fmac_f32_e32 v11, s34, v9
	s_delay_alu instid0(VALU_DEP_2)
	v_dual_fmac_f32 v10, s35, v9 :: v_dual_lshlrev_b32 v7, 3, v7
	ds_add_f32 v7, v11
	ds_add_f32 v7, v10 offset:4
	s_branch .LBB55_67
.LBB55_74:                              ;   in Loop: Header=BB55_20 Depth=1
	s_or_b32 exec_lo, exec_lo, s59
.LBB55_75:                              ;   in Loop: Header=BB55_20 Depth=1
	s_delay_alu instid0(SALU_CYCLE_1)
	s_or_b32 exec_lo, exec_lo, s13
.LBB55_76:                              ;   in Loop: Header=BB55_20 Depth=1
	s_and_saveexec_b32 s11, s3
	s_cbranch_execz .LBB55_81
; %bb.77:                               ;   in Loop: Header=BB55_20 Depth=1
	s_mov_b32 s13, exec_lo
	s_brev_b32 s12, -2
.LBB55_78:                              ;   Parent Loop BB55_20 Depth=1
                                        ; =>  This Inner Loop Header: Depth=2
	s_ctz_i32_b32 s58, s13
	s_delay_alu instid0(SALU_CYCLE_1) | instskip(SKIP_1) | instid1(SALU_CYCLE_1)
	v_readlane_b32 s59, v32, s58
	s_lshl_b32 s58, 1, s58
	s_and_not1_b32 s13, s13, s58
	s_delay_alu instid0(VALU_DEP_1)
	s_min_i32 s12, s12, s59
	s_cmp_lg_u32 s13, 0
	s_cbranch_scc1 .LBB55_78
; %bb.79:                               ;   in Loop: Header=BB55_20 Depth=1
	v_mbcnt_lo_u32_b32 v6, exec_lo, 0
	s_mov_b32 s13, exec_lo
	s_delay_alu instid0(VALU_DEP_1)
	v_cmpx_eq_u32_e32 0, v6
	s_xor_b32 s13, exec_lo, s13
	s_cbranch_execz .LBB55_81
; %bb.80:                               ;   in Loop: Header=BB55_20 Depth=1
	v_mov_b32_e32 v6, s12
	ds_min_i32 v28, v6 offset:6272
.LBB55_81:                              ;   in Loop: Header=BB55_20 Depth=1
	s_or_b32 exec_lo, exec_lo, s11
	s_waitcnt lgkmcnt(0)
	s_waitcnt_vscnt null, 0x0
	s_barrier
	buffer_gl0_inv
	ds_load_b32 v6, v18
	s_waitcnt lgkmcnt(0)
	s_barrier
	buffer_gl0_inv
	s_and_saveexec_b32 s11, s6
	s_cbranch_execz .LBB55_83
; %bb.82:                               ;   in Loop: Header=BB55_20 Depth=1
	ds_load_b32 v7, v19
	s_waitcnt lgkmcnt(0)
	v_add_nc_u32_e32 v6, v7, v6
.LBB55_83:                              ;   in Loop: Header=BB55_20 Depth=1
	s_or_b32 exec_lo, exec_lo, s11
	s_barrier
	buffer_gl0_inv
	ds_store_b32 v18, v6
	s_waitcnt lgkmcnt(0)
	s_barrier
	buffer_gl0_inv
	s_and_saveexec_b32 s11, s7
	s_cbranch_execz .LBB55_85
; %bb.84:                               ;   in Loop: Header=BB55_20 Depth=1
	ds_load_b32 v7, v20
	s_waitcnt lgkmcnt(0)
	v_add_nc_u32_e32 v6, v7, v6
.LBB55_85:                              ;   in Loop: Header=BB55_20 Depth=1
	s_or_b32 exec_lo, exec_lo, s11
	s_barrier
	buffer_gl0_inv
	ds_store_b32 v18, v6
	s_waitcnt lgkmcnt(0)
	s_barrier
	buffer_gl0_inv
	s_and_saveexec_b32 s11, s8
	s_cbranch_execz .LBB55_87
; %bb.86:                               ;   in Loop: Header=BB55_20 Depth=1
	ds_load_b32 v7, v21
	s_waitcnt lgkmcnt(0)
	v_add_nc_u32_e32 v6, v7, v6
.LBB55_87:                              ;   in Loop: Header=BB55_20 Depth=1
	s_or_b32 exec_lo, exec_lo, s11
	s_barrier
	buffer_gl0_inv
	ds_store_b32 v18, v6
	s_waitcnt lgkmcnt(0)
	s_barrier
	buffer_gl0_inv
	s_and_saveexec_b32 s11, s9
	s_cbranch_execz .LBB55_89
; %bb.88:                               ;   in Loop: Header=BB55_20 Depth=1
	ds_load_b32 v7, v22
	s_waitcnt lgkmcnt(0)
	v_add_nc_u32_e32 v6, v7, v6
.LBB55_89:                              ;   in Loop: Header=BB55_20 Depth=1
	s_or_b32 exec_lo, exec_lo, s11
	s_barrier
	buffer_gl0_inv
	ds_store_b32 v18, v6
	s_waitcnt lgkmcnt(0)
	s_barrier
	buffer_gl0_inv
	s_and_saveexec_b32 s11, s10
	s_cbranch_execz .LBB55_91
; %bb.90:                               ;   in Loop: Header=BB55_20 Depth=1
	ds_load_b32 v7, v23
	s_waitcnt lgkmcnt(0)
	v_add_nc_u32_e32 v6, v7, v6
.LBB55_91:                              ;   in Loop: Header=BB55_20 Depth=1
	s_or_b32 exec_lo, exec_lo, s11
	s_barrier
	buffer_gl0_inv
	ds_store_b32 v18, v6
	s_waitcnt lgkmcnt(0)
	s_barrier
	buffer_gl0_inv
	ds_load_b32 v8, v28 offset:6268
	v_mov_b32_e32 v7, 0
	s_and_saveexec_b32 s11, s44
	s_cbranch_execz .LBB55_93
; %bb.92:                               ;   in Loop: Header=BB55_20 Depth=1
	ds_load_b32 v7, v19
.LBB55_93:                              ;   in Loop: Header=BB55_20 Depth=1
	s_or_b32 exec_lo, exec_lo, s11
	s_waitcnt lgkmcnt(0)
	v_cmp_eq_u32_e32 vcc_lo, v6, v7
	s_barrier
	buffer_gl0_inv
	s_and_b32 s12, s44, vcc_lo
	s_delay_alu instid0(SALU_CYCLE_1)
	s_and_saveexec_b32 s11, s12
	s_cbranch_execz .LBB55_95
; %bb.94:                               ;   in Loop: Header=BB55_20 Depth=1
	ds_store_b32 v18, v28
.LBB55_95:                              ;   in Loop: Header=BB55_20 Depth=1
	s_or_b32 exec_lo, exec_lo, s11
	s_waitcnt lgkmcnt(0)
	s_barrier
	buffer_gl0_inv
	s_and_saveexec_b32 s11, s1
	s_cbranch_execz .LBB55_19
; %bb.96:                               ;   in Loop: Header=BB55_20 Depth=1
	v_add_nc_u32_e32 v9, -1, v27
	v_dual_mov_b32 v11, v26 :: v_dual_add_nc_u32 v10, s22, v30
	v_dual_mov_b32 v30, v13 :: v_dual_mov_b32 v31, v12
	s_mov_b32 s12, 0
	s_set_inst_prefetch_distance 0x1
	s_branch .LBB55_98
	.p2align	6
.LBB55_97:                              ;   in Loop: Header=BB55_98 Depth=2
	s_or_b32 exec_lo, exec_lo, s13
	v_add_nc_u32_e32 v6, 16, v31
	v_cmp_lt_u32_e32 vcc_lo, 15, v31
	v_add_nc_u32_e32 v30, 0x800, v30
	v_add_nc_u32_e32 v11, 64, v11
	s_delay_alu instid0(VALU_DEP_4) | instskip(SKIP_1) | instid1(SALU_CYCLE_1)
	v_mov_b32_e32 v31, v6
	s_or_b32 s12, vcc_lo, s12
	s_and_not1_b32 exec_lo, exec_lo, s12
	s_cbranch_execz .LBB55_19
.LBB55_98:                              ;   Parent Loop BB55_20 Depth=1
                                        ; =>  This Inner Loop Header: Depth=2
	ds_load_b32 v6, v11
	s_mov_b32 s13, exec_lo
	s_waitcnt lgkmcnt(0)
	v_cmpx_ne_u32_e32 0, v6
	s_cbranch_execz .LBB55_97
; %bb.99:                               ;   in Loop: Header=BB55_98 Depth=2
	v_add_nc_u32_e32 v6, v9, v6
	s_delay_alu instid0(VALU_DEP_1) | instskip(NEXT) | instid1(VALU_DEP_1)
	v_ashrrev_i32_e32 v7, 31, v6
	v_lshlrev_b64 v[32:33], 2, v[6:7]
	v_add_nc_u32_e32 v7, v10, v31
	s_delay_alu instid0(VALU_DEP_2) | instskip(NEXT) | instid1(VALU_DEP_3)
	v_add_co_u32 v32, vcc_lo, s30, v32
	v_add_co_ci_u32_e32 v33, vcc_lo, s31, v33, vcc_lo
	global_store_b32 v[32:33], v7, off
	s_and_b32 exec_lo, exec_lo, s4
	s_cbranch_execz .LBB55_97
; %bb.100:                              ;   in Loop: Header=BB55_98 Depth=2
	v_mad_u64_u32 v[32:33], null, v6, s54, v[3:4]
	s_delay_alu instid0(VALU_DEP_1) | instskip(SKIP_2) | instid1(VALU_DEP_1)
	v_mad_u64_u32 v[6:7], null, v32, s54, v[4:5]
	ds_load_b64 v[32:33], v30
	v_ashrrev_i32_e32 v7, 31, v6
	v_lshlrev_b64 v[6:7], 3, v[6:7]
	s_delay_alu instid0(VALU_DEP_1) | instskip(NEXT) | instid1(VALU_DEP_2)
	v_add_co_u32 v6, vcc_lo, s16, v6
	v_add_co_ci_u32_e32 v7, vcc_lo, s17, v7, vcc_lo
	s_waitcnt lgkmcnt(0)
	global_store_b64 v[6:7], v[32:33], off
	s_branch .LBB55_97
.LBB55_101:
	s_endpgm
	.section	.rodata,"a",@progbits
	.p2align	6, 0x0
	.amdhsa_kernel _ZN9rocsparseL38bsrgemm_block_per_row_atomic_multipassILj256ELj32ELj4Eii21rocsparse_complex_numIfEEEv20rocsparse_direction_T3_S4_PKS4_S6_NS_24const_host_device_scalarIT4_EEPKT2_S6_PKS8_SC_S6_SE_S9_SC_S6_SE_SC_PS4_PS8_PSA_21rocsparse_index_base_SI_SI_SI_bbb
		.amdhsa_group_segment_fixed_size 6276
		.amdhsa_private_segment_fixed_size 0
		.amdhsa_kernarg_size 172
		.amdhsa_user_sgpr_count 15
		.amdhsa_user_sgpr_dispatch_ptr 0
		.amdhsa_user_sgpr_queue_ptr 0
		.amdhsa_user_sgpr_kernarg_segment_ptr 1
		.amdhsa_user_sgpr_dispatch_id 0
		.amdhsa_user_sgpr_private_segment_size 0
		.amdhsa_wavefront_size32 1
		.amdhsa_uses_dynamic_stack 0
		.amdhsa_enable_private_segment 0
		.amdhsa_system_sgpr_workgroup_id_x 1
		.amdhsa_system_sgpr_workgroup_id_y 0
		.amdhsa_system_sgpr_workgroup_id_z 0
		.amdhsa_system_sgpr_workgroup_info 0
		.amdhsa_system_vgpr_workitem_id 0
		.amdhsa_next_free_vgpr 43
		.amdhsa_next_free_sgpr 66
		.amdhsa_reserve_vcc 1
		.amdhsa_float_round_mode_32 0
		.amdhsa_float_round_mode_16_64 0
		.amdhsa_float_denorm_mode_32 3
		.amdhsa_float_denorm_mode_16_64 3
		.amdhsa_dx10_clamp 1
		.amdhsa_ieee_mode 1
		.amdhsa_fp16_overflow 0
		.amdhsa_workgroup_processor_mode 1
		.amdhsa_memory_ordered 1
		.amdhsa_forward_progress 0
		.amdhsa_shared_vgpr_count 0
		.amdhsa_exception_fp_ieee_invalid_op 0
		.amdhsa_exception_fp_denorm_src 0
		.amdhsa_exception_fp_ieee_div_zero 0
		.amdhsa_exception_fp_ieee_overflow 0
		.amdhsa_exception_fp_ieee_underflow 0
		.amdhsa_exception_fp_ieee_inexact 0
		.amdhsa_exception_int_div_zero 0
	.end_amdhsa_kernel
	.section	.text._ZN9rocsparseL38bsrgemm_block_per_row_atomic_multipassILj256ELj32ELj4Eii21rocsparse_complex_numIfEEEv20rocsparse_direction_T3_S4_PKS4_S6_NS_24const_host_device_scalarIT4_EEPKT2_S6_PKS8_SC_S6_SE_S9_SC_S6_SE_SC_PS4_PS8_PSA_21rocsparse_index_base_SI_SI_SI_bbb,"axG",@progbits,_ZN9rocsparseL38bsrgemm_block_per_row_atomic_multipassILj256ELj32ELj4Eii21rocsparse_complex_numIfEEEv20rocsparse_direction_T3_S4_PKS4_S6_NS_24const_host_device_scalarIT4_EEPKT2_S6_PKS8_SC_S6_SE_S9_SC_S6_SE_SC_PS4_PS8_PSA_21rocsparse_index_base_SI_SI_SI_bbb,comdat
.Lfunc_end55:
	.size	_ZN9rocsparseL38bsrgemm_block_per_row_atomic_multipassILj256ELj32ELj4Eii21rocsparse_complex_numIfEEEv20rocsparse_direction_T3_S4_PKS4_S6_NS_24const_host_device_scalarIT4_EEPKT2_S6_PKS8_SC_S6_SE_S9_SC_S6_SE_SC_PS4_PS8_PSA_21rocsparse_index_base_SI_SI_SI_bbb, .Lfunc_end55-_ZN9rocsparseL38bsrgemm_block_per_row_atomic_multipassILj256ELj32ELj4Eii21rocsparse_complex_numIfEEEv20rocsparse_direction_T3_S4_PKS4_S6_NS_24const_host_device_scalarIT4_EEPKT2_S6_PKS8_SC_S6_SE_S9_SC_S6_SE_SC_PS4_PS8_PSA_21rocsparse_index_base_SI_SI_SI_bbb
                                        ; -- End function
	.section	.AMDGPU.csdata,"",@progbits
; Kernel info:
; codeLenInByte = 3396
; NumSgprs: 68
; NumVgprs: 43
; ScratchSize: 0
; MemoryBound: 0
; FloatMode: 240
; IeeeMode: 1
; LDSByteSize: 6276 bytes/workgroup (compile time only)
; SGPRBlocks: 8
; VGPRBlocks: 5
; NumSGPRsForWavesPerEU: 68
; NumVGPRsForWavesPerEU: 43
; Occupancy: 16
; WaveLimiterHint : 1
; COMPUTE_PGM_RSRC2:SCRATCH_EN: 0
; COMPUTE_PGM_RSRC2:USER_SGPR: 15
; COMPUTE_PGM_RSRC2:TRAP_HANDLER: 0
; COMPUTE_PGM_RSRC2:TGID_X_EN: 1
; COMPUTE_PGM_RSRC2:TGID_Y_EN: 0
; COMPUTE_PGM_RSRC2:TGID_Z_EN: 0
; COMPUTE_PGM_RSRC2:TIDIG_COMP_CNT: 0
	.section	.text._ZN9rocsparseL38bsrgemm_block_per_row_atomic_multipassILj256ELj64ELj4Eii21rocsparse_complex_numIfEEEv20rocsparse_direction_T3_S4_PKS4_S6_NS_24const_host_device_scalarIT4_EEPKT2_S6_PKS8_SC_S6_SE_S9_SC_S6_SE_SC_PS4_PS8_PSA_21rocsparse_index_base_SI_SI_SI_bbb,"axG",@progbits,_ZN9rocsparseL38bsrgemm_block_per_row_atomic_multipassILj256ELj64ELj4Eii21rocsparse_complex_numIfEEEv20rocsparse_direction_T3_S4_PKS4_S6_NS_24const_host_device_scalarIT4_EEPKT2_S6_PKS8_SC_S6_SE_S9_SC_S6_SE_SC_PS4_PS8_PSA_21rocsparse_index_base_SI_SI_SI_bbb,comdat
	.globl	_ZN9rocsparseL38bsrgemm_block_per_row_atomic_multipassILj256ELj64ELj4Eii21rocsparse_complex_numIfEEEv20rocsparse_direction_T3_S4_PKS4_S6_NS_24const_host_device_scalarIT4_EEPKT2_S6_PKS8_SC_S6_SE_S9_SC_S6_SE_SC_PS4_PS8_PSA_21rocsparse_index_base_SI_SI_SI_bbb ; -- Begin function _ZN9rocsparseL38bsrgemm_block_per_row_atomic_multipassILj256ELj64ELj4Eii21rocsparse_complex_numIfEEEv20rocsparse_direction_T3_S4_PKS4_S6_NS_24const_host_device_scalarIT4_EEPKT2_S6_PKS8_SC_S6_SE_S9_SC_S6_SE_SC_PS4_PS8_PSA_21rocsparse_index_base_SI_SI_SI_bbb
	.p2align	8
	.type	_ZN9rocsparseL38bsrgemm_block_per_row_atomic_multipassILj256ELj64ELj4Eii21rocsparse_complex_numIfEEEv20rocsparse_direction_T3_S4_PKS4_S6_NS_24const_host_device_scalarIT4_EEPKT2_S6_PKS8_SC_S6_SE_S9_SC_S6_SE_SC_PS4_PS8_PSA_21rocsparse_index_base_SI_SI_SI_bbb,@function
_ZN9rocsparseL38bsrgemm_block_per_row_atomic_multipassILj256ELj64ELj4Eii21rocsparse_complex_numIfEEEv20rocsparse_direction_T3_S4_PKS4_S6_NS_24const_host_device_scalarIT4_EEPKT2_S6_PKS8_SC_S6_SE_S9_SC_S6_SE_SC_PS4_PS8_PSA_21rocsparse_index_base_SI_SI_SI_bbb: ; @_ZN9rocsparseL38bsrgemm_block_per_row_atomic_multipassILj256ELj64ELj4Eii21rocsparse_complex_numIfEEEv20rocsparse_direction_T3_S4_PKS4_S6_NS_24const_host_device_scalarIT4_EEPKT2_S6_PKS8_SC_S6_SE_S9_SC_S6_SE_SC_PS4_PS8_PSA_21rocsparse_index_base_SI_SI_SI_bbb
; %bb.0:
	s_clause 0x5
	s_load_b32 s3, s[0:1], 0xa8
	s_load_b256 s[16:23], s[0:1], 0x88
	s_load_b256 s[24:31], s[0:1], 0x68
	;; [unrolled: 1-line block ×3, first 2 shown]
	s_load_b128 s[4:7], s[0:1], 0x10
	s_load_b256 s[44:51], s[0:1], 0x28
	s_mov_b32 s2, s15
	s_mov_b32 s15, 0
	;; [unrolled: 1-line block ×3, first 2 shown]
	s_waitcnt lgkmcnt(0)
	s_bitcmp1_b32 s3, 0
	s_cselect_b32 s11, -1, 0
	s_bitcmp1_b32 s3, 16
	s_cselect_b32 s8, -1, 0
	s_delay_alu instid0(SALU_CYCLE_1) | instskip(SKIP_2) | instid1(VALU_DEP_1)
	s_xor_b32 s8, s8, -1
	s_bitcmp0_b32 s3, 0
	v_cndmask_b32_e64 v1, 0, 1, s8
	v_cmp_ne_u32_e32 vcc_lo, 1, v1
	s_cbranch_scc1 .LBB56_5
; %bb.1:
	s_load_b64 s[14:15], s[0:1], 0x20
	s_and_b32 vcc_lo, exec_lo, vcc_lo
	s_waitcnt lgkmcnt(0)
	s_mov_b32 s33, s14
	s_cbranch_vccnz .LBB56_3
; %bb.2:
	s_load_b32 s33, s[14:15], 0x0
.LBB56_3:
	s_and_not1_b32 vcc_lo, exec_lo, s8
	s_cbranch_vccnz .LBB56_5
; %bb.4:
	s_load_b32 s15, s[14:15], 0x4
.LBB56_5:
	s_bitcmp1_b32 s3, 8
	s_mov_b32 s35, 0
	s_cselect_b32 s14, -1, 0
	s_bfe_u32 s3, s3, 0x10008
	s_mov_b32 s34, 0
	s_cmp_eq_u32 s3, 0
	s_cbranch_scc1 .LBB56_11
; %bb.6:
	v_cmp_ne_u32_e32 vcc_lo, 1, v1
	s_mov_b32 s34, s40
	s_cbranch_vccnz .LBB56_8
; %bb.7:
	s_load_b32 s34, s[40:41], 0x0
.LBB56_8:
	v_cmp_ne_u32_e32 vcc_lo, 1, v1
	s_cbranch_vccnz .LBB56_10
; %bb.9:
	s_load_b32 s41, s[40:41], 0x4
.LBB56_10:
	s_waitcnt lgkmcnt(0)
	s_mov_b32 s35, s41
.LBB56_11:
	s_cmp_eq_u64 s[6:7], 0
	s_cbranch_scc1 .LBB56_13
; %bb.12:
	s_load_b32 s3, s[4:5], 0x0
	s_waitcnt lgkmcnt(0)
	s_add_i32 s2, s3, s2
	s_mov_b32 s3, 0
	s_delay_alu instid0(SALU_CYCLE_1) | instskip(NEXT) | instid1(SALU_CYCLE_1)
	s_lshl_b64 s[2:3], s[2:3], 2
	s_add_u32 s2, s6, s2
	s_addc_u32 s3, s7, s3
	s_load_b32 s2, s[2:3], 0x0
.LBB56_13:
	s_mov_b32 s40, 0
	s_and_not1_b32 vcc_lo, exec_lo, s11
	s_mov_b32 s41, 0
	s_cbranch_vccz .LBB56_16
; %bb.14:
	s_and_not1_b32 vcc_lo, exec_lo, s11
	s_cbranch_vccz .LBB56_17
.LBB56_15:
	s_load_b128 s[52:55], s[0:1], 0x0
	s_waitcnt lgkmcnt(0)
	s_cmp_lt_i32 s53, 1
	s_cbranch_scc0 .LBB56_18
	s_branch .LBB56_101
.LBB56_16:
	s_waitcnt lgkmcnt(0)
	s_ashr_i32 s3, s2, 31
	s_delay_alu instid0(SALU_CYCLE_1) | instskip(NEXT) | instid1(SALU_CYCLE_1)
	s_lshl_b64 s[4:5], s[2:3], 2
	s_add_u32 s4, s44, s4
	s_addc_u32 s5, s45, s5
	s_load_b32 s3, s[4:5], 0x0
	s_waitcnt lgkmcnt(0)
	s_sub_i32 s41, s3, s20
	s_and_not1_b32 vcc_lo, exec_lo, s11
	s_cbranch_vccnz .LBB56_15
.LBB56_17:
	s_waitcnt lgkmcnt(0)
	s_ashr_i32 s3, s2, 31
	s_delay_alu instid0(SALU_CYCLE_1) | instskip(NEXT) | instid1(SALU_CYCLE_1)
	s_lshl_b64 s[4:5], s[2:3], 2
	s_add_u32 s4, s44, s4
	s_addc_u32 s5, s45, s5
	s_load_b32 s3, s[4:5], 0x4
	s_waitcnt lgkmcnt(0)
	s_sub_i32 s40, s3, s20
	s_load_b128 s[52:55], s[0:1], 0x0
	s_waitcnt lgkmcnt(0)
	s_cmp_lt_i32 s53, 1
	s_cbranch_scc1 .LBB56_101
.LBB56_18:
	s_ashr_i32 s3, s2, 31
	v_bfe_u32 v2, v0, 2, 2
	s_lshl_b64 s[6:7], s[2:3], 2
	v_and_b32_e32 v4, 63, v0
	s_add_u32 s0, s28, s6
	s_addc_u32 s1, s29, s7
	v_lshrrev_b32_e32 v12, 4, v0
	s_load_b32 s4, s[0:1], 0x0
	v_add_co_u32 v6, s44, v4, -1
	v_cmp_gt_u32_e64 s0, 64, v0
	v_cmp_eq_u32_e64 s1, 0, v0
	v_lshl_or_b32 v15, v0, 2, 0x2800
	s_delay_alu instid0(VALU_DEP_4)
	v_lshl_add_u32 v19, v6, 2, 0x2800
	v_lshlrev_b32_e32 v6, 3, v2
	v_subrev_nc_u32_e32 v17, s23, v12
	v_lshl_or_b32 v27, v12, 2, 0x2800
	s_mul_i32 s55, s54, s54
	v_mov_b32_e32 v31, 64
	v_mov_b32_e32 v29, 1
	s_waitcnt lgkmcnt(0)
	s_sub_i32 s12, s4, s22
	s_delay_alu instid0(SALU_CYCLE_1) | instskip(SKIP_2) | instid1(VALU_DEP_1)
	v_dual_mov_b32 v28, s12 :: v_dual_and_b32 v1, 3, v0
	s_cmp_lt_i32 s41, s40
	s_cselect_b32 s13, -1, 0
	v_max_i32_e32 v5, v1, v2
	s_cmp_eq_u32 s52, 0
	s_cselect_b32 vcc_lo, -1, 0
	v_and_b32_e32 v3, 15, v0
	s_delay_alu instid0(VALU_DEP_2)
	v_cmp_gt_i32_e64 s4, s54, v5
	v_cmp_le_i32_e64 s5, s54, v5
	v_lshlrev_b32_e32 v5, 7, v12
	s_cmp_lg_u32 s52, 0
	v_cmp_eq_u32_e64 s2, 15, v3
	s_cselect_b32 s45, -1, 0
	s_cmp_gt_i32 s54, 0
	v_or3_b32 v25, v5, v6, 0x2000
	v_mov_b32_e32 v5, 0
	v_lshlrev_b32_e32 v13, 3, v0
	v_lshlrev_b32_e32 v3, 2, v4
	s_cselect_b32 s52, -1, 0
	s_add_u32 s28, s42, s6
	v_mov_b32_e32 v30, v5
	s_addc_u32 s29, s43, s7
	s_and_b32 s42, s11, s13
	s_movk_i32 s11, 0x7e0
	v_and_b32_e32 v14, 12, v0
	v_cmp_ne_u32_e64 s3, 0, v4
	v_or_b32_e32 v18, 0x2800, v3
	v_cmp_lt_u32_e64 s6, 1, v4
	v_add_nc_u32_e32 v20, 0x27f8, v3
	v_cmp_lt_u32_e64 s7, 3, v4
	v_add_nc_u32_e32 v21, 0x27f0, v3
	;; [unrolled: 2-line block ×4, first 2 shown]
	v_cmp_lt_u32_e64 s10, 31, v4
	v_dual_cndmask_b32 v3, v1, v2 :: v_dual_add_nc_u32 v24, 0x2780, v3
	v_cndmask_b32_e32 v4, v2, v1, vcc_lo
	v_or_b32_e32 v0, 0xffffff00, v0
	v_mov_b32_e32 v6, v5
	v_or_b32_e32 v16, 0x2000, v13
	v_and_or_b32 v26, v13, s11, 0x2000
	s_add_u32 s43, s50, 4
	s_addc_u32 s56, s51, 0
	s_lshl_b32 s57, s55, 4
	s_branch .LBB56_20
.LBB56_19:                              ;   in Loop: Header=BB56_20 Depth=1
	s_set_inst_prefetch_distance 0x2
	s_or_b32 exec_lo, exec_lo, s11
	s_waitcnt_vscnt null, 0x0
	s_barrier
	buffer_gl0_inv
	ds_load_b32 v30, v5 offset:10496
	v_add_nc_u32_e32 v28, v9, v28
	s_waitcnt lgkmcnt(0)
	s_barrier
	buffer_gl0_inv
	v_cmp_le_i32_e32 vcc_lo, s53, v30
	v_add_nc_u32_e32 v31, 64, v30
	s_cbranch_vccnz .LBB56_101
.LBB56_20:                              ; =>This Loop Header: Depth=1
                                        ;     Child Loop BB56_23 Depth 2
                                        ;     Child Loop BB56_29 Depth 2
                                        ;       Child Loop BB56_43 Depth 3
                                        ;         Child Loop BB56_52 Depth 4
                                        ;         Child Loop BB56_57 Depth 4
                                        ;     Child Loop BB56_68 Depth 2
                                        ;     Child Loop BB56_77 Depth 2
	;; [unrolled: 1-line block ×3, first 2 shown]
	s_and_saveexec_b32 s11, s0
	s_cbranch_execz .LBB56_22
; %bb.21:                               ;   in Loop: Header=BB56_20 Depth=1
	ds_store_b32 v15, v5
.LBB56_22:                              ;   in Loop: Header=BB56_20 Depth=1
	s_or_b32 exec_lo, exec_lo, s11
	v_dual_mov_b32 v7, v13 :: v_dual_mov_b32 v8, v0
	s_mov_b32 s11, 0
.LBB56_23:                              ;   Parent Loop BB56_20 Depth=1
                                        ; =>  This Inner Loop Header: Depth=2
	s_delay_alu instid0(VALU_DEP_1) | instskip(SKIP_4) | instid1(SALU_CYCLE_1)
	v_add_nc_u32_e32 v8, 0x100, v8
	ds_store_b64 v7, v[5:6]
	v_add_nc_u32_e32 v7, 0x800, v7
	v_cmp_lt_u32_e32 vcc_lo, 0x2ff, v8
	s_or_b32 s11, vcc_lo, s11
	s_and_not1_b32 exec_lo, exec_lo, s11
	s_cbranch_execnz .LBB56_23
; %bb.24:                               ;   in Loop: Header=BB56_20 Depth=1
	s_or_b32 exec_lo, exec_lo, s11
	s_and_saveexec_b32 s11, s1
	s_cbranch_execz .LBB56_26
; %bb.25:                               ;   in Loop: Header=BB56_20 Depth=1
	v_mov_b32_e32 v7, s53
	ds_store_b32 v5, v7 offset:10496
.LBB56_26:                              ;   in Loop: Header=BB56_20 Depth=1
	s_or_b32 exec_lo, exec_lo, s11
	v_mov_b32_e32 v32, s53
	s_and_not1_b32 vcc_lo, exec_lo, s42
	s_waitcnt lgkmcnt(0)
	s_barrier
	buffer_gl0_inv
	s_cbranch_vccnz .LBB56_63
; %bb.27:                               ;   in Loop: Header=BB56_20 Depth=1
	v_cmp_ne_u32_e64 s11, 0, v30
	v_mov_b32_e32 v32, s53
	s_mov_b32 s58, s41
	s_branch .LBB56_29
.LBB56_28:                              ;   in Loop: Header=BB56_29 Depth=2
	s_or_b32 exec_lo, exec_lo, s13
	s_add_i32 s58, s58, 16
	s_delay_alu instid0(SALU_CYCLE_1)
	s_cmp_lt_i32 s58, s40
	s_cbranch_scc0 .LBB56_63
.LBB56_29:                              ;   Parent Loop BB56_20 Depth=1
                                        ; =>  This Loop Header: Depth=2
                                        ;       Child Loop BB56_43 Depth 3
                                        ;         Child Loop BB56_52 Depth 4
                                        ;         Child Loop BB56_57 Depth 4
	v_add_nc_u32_e32 v7, s58, v12
	s_waitcnt_vscnt null, 0x0
	s_barrier
	buffer_gl0_inv
	v_cmp_gt_i32_e64 s12, s40, v7
	s_delay_alu instid0(VALU_DEP_1)
	s_and_saveexec_b32 s13, s12
	s_cbranch_execz .LBB56_34
; %bb.30:                               ;   in Loop: Header=BB56_29 Depth=2
	s_and_saveexec_b32 s59, s5
	s_delay_alu instid0(SALU_CYCLE_1)
	s_xor_b32 s59, exec_lo, s59
	s_cbranch_execz .LBB56_32
; %bb.31:                               ;   in Loop: Header=BB56_29 Depth=2
	ds_store_b64 v16, v[5:6]
.LBB56_32:                              ;   in Loop: Header=BB56_29 Depth=2
	s_and_not1_saveexec_b32 s59, s59
	s_cbranch_execz .LBB56_34
; %bb.33:                               ;   in Loop: Header=BB56_29 Depth=2
	v_mad_u64_u32 v[8:9], null, v7, s54, v[2:3]
	s_delay_alu instid0(VALU_DEP_1) | instskip(NEXT) | instid1(VALU_DEP_1)
	v_mad_u64_u32 v[9:10], null, v8, s54, v[1:2]
	v_ashrrev_i32_e32 v10, 31, v9
	s_delay_alu instid0(VALU_DEP_1) | instskip(NEXT) | instid1(VALU_DEP_1)
	v_lshlrev_b64 v[8:9], 3, v[9:10]
	v_add_co_u32 v8, vcc_lo, s48, v8
	s_delay_alu instid0(VALU_DEP_2)
	v_add_co_ci_u32_e32 v9, vcc_lo, s49, v9, vcc_lo
	global_load_b64 v[8:9], v[8:9], off
	s_waitcnt vmcnt(0)
	ds_store_b64 v16, v[8:9]
.LBB56_34:                              ;   in Loop: Header=BB56_29 Depth=2
	s_or_b32 exec_lo, exec_lo, s13
	v_mov_b32_e32 v33, 0
	s_waitcnt lgkmcnt(0)
	s_barrier
	buffer_gl0_inv
	s_and_saveexec_b32 s59, s12
	s_cbranch_execz .LBB56_60
; %bb.35:                               ;   in Loop: Header=BB56_29 Depth=2
	v_ashrrev_i32_e32 v8, 31, v7
	s_delay_alu instid0(VALU_DEP_1) | instskip(NEXT) | instid1(VALU_DEP_1)
	v_lshlrev_b64 v[10:11], 2, v[7:8]
	v_add_co_u32 v8, vcc_lo, s46, v10
	s_delay_alu instid0(VALU_DEP_2) | instskip(SKIP_4) | instid1(VALU_DEP_1)
	v_add_co_ci_u32_e32 v9, vcc_lo, s47, v11, vcc_lo
	s_and_b32 vcc_lo, exec_lo, s11
	global_load_b32 v8, v[8:9], off
	s_waitcnt vmcnt(0)
	v_subrev_nc_u32_e32 v8, s20, v8
	v_ashrrev_i32_e32 v9, 31, v8
	s_cbranch_vccz .LBB56_62
; %bb.36:                               ;   in Loop: Header=BB56_29 Depth=2
	v_add_co_u32 v10, vcc_lo, s18, v10
	v_add_co_ci_u32_e32 v11, vcc_lo, s19, v11, vcc_lo
	global_load_b32 v33, v[10:11], off
	s_cbranch_execnz .LBB56_38
.LBB56_37:                              ;   in Loop: Header=BB56_29 Depth=2
	s_delay_alu instid0(VALU_DEP_1) | instskip(NEXT) | instid1(VALU_DEP_1)
	v_lshlrev_b64 v[10:11], 2, v[8:9]
	v_add_co_u32 v10, vcc_lo, s50, v10
	s_delay_alu instid0(VALU_DEP_2)
	v_add_co_ci_u32_e32 v11, vcc_lo, s51, v11, vcc_lo
	global_load_b32 v10, v[10:11], off
	s_waitcnt vmcnt(0)
	v_subrev_nc_u32_e32 v33, s21, v10
.LBB56_38:                              ;   in Loop: Header=BB56_29 Depth=2
	v_lshlrev_b64 v[8:9], 2, v[8:9]
	s_mov_b32 s60, exec_lo
	s_delay_alu instid0(VALU_DEP_1) | instskip(NEXT) | instid1(VALU_DEP_2)
	v_add_co_u32 v8, vcc_lo, s43, v8
	v_add_co_ci_u32_e32 v9, vcc_lo, s56, v9, vcc_lo
	global_load_b32 v8, v[8:9], off
	s_waitcnt vmcnt(0)
	v_subrev_nc_u32_e32 v34, s21, v8
	s_delay_alu instid0(VALU_DEP_1)
	v_cmpx_lt_i32_e64 v33, v34
	s_cbranch_execz .LBB56_59
; %bb.39:                               ;   in Loop: Header=BB56_29 Depth=2
	v_mad_u64_u32 v[8:9], null, s54, v33, v[1:2]
	s_mov_b32 s61, 0
	s_delay_alu instid0(VALU_DEP_1)
	v_mul_lo_u32 v35, s54, v8
	v_mad_u64_u32 v[8:9], null, s55, v33, v[1:2]
	v_mov_b32_e32 v9, v33
	s_branch .LBB56_43
.LBB56_40:                              ;   in Loop: Header=BB56_43 Depth=3
	s_delay_alu instid0(VALU_DEP_1) | instskip(SKIP_1) | instid1(VALU_DEP_2)
	v_mul_f32_e64 v11, v38, -s15
	v_lshlrev_b32_e32 v10, 4, v36
	v_dual_mul_f32 v36, s33, v38 :: v_dual_fmac_f32 v11, s33, v37
	s_delay_alu instid0(VALU_DEP_2) | instskip(NEXT) | instid1(VALU_DEP_2)
	v_or3_b32 v10, v10, v14, v1
	v_fmac_f32_e32 v36, s15, v37
	s_delay_alu instid0(VALU_DEP_2)
	v_lshlrev_b32_e32 v10, 3, v10
	ds_add_f32 v10, v11
	ds_add_f32 v10, v36 offset:4
.LBB56_41:                              ;   in Loop: Header=BB56_43 Depth=3
	s_or_b32 exec_lo, exec_lo, s64
	s_delay_alu instid0(SALU_CYCLE_1)
	s_or_b32 s62, s62, exec_lo
.LBB56_42:                              ;   in Loop: Header=BB56_43 Depth=3
	s_or_b32 exec_lo, exec_lo, s63
	v_add_nc_u32_e32 v9, 1, v9
	s_xor_b32 s13, s62, -1
	v_add_nc_u32_e32 v35, s55, v35
	v_add_nc_u32_e32 v8, s55, v8
	s_delay_alu instid0(VALU_DEP_3) | instskip(SKIP_1) | instid1(SALU_CYCLE_1)
	v_cmp_ge_i32_e32 vcc_lo, v9, v34
	s_or_b32 s13, s13, vcc_lo
	s_and_b32 s13, exec_lo, s13
	s_delay_alu instid0(SALU_CYCLE_1) | instskip(NEXT) | instid1(SALU_CYCLE_1)
	s_or_b32 s61, s13, s61
	s_and_not1_b32 exec_lo, exec_lo, s61
	s_cbranch_execz .LBB56_58
.LBB56_43:                              ;   Parent Loop BB56_20 Depth=1
                                        ;     Parent Loop BB56_29 Depth=2
                                        ; =>    This Loop Header: Depth=3
                                        ;         Child Loop BB56_52 Depth 4
                                        ;         Child Loop BB56_57 Depth 4
	s_delay_alu instid0(VALU_DEP_1) | instskip(NEXT) | instid1(VALU_DEP_1)
	v_ashrrev_i32_e32 v10, 31, v9
                                        ; implicit-def: $sgpr62
	v_lshlrev_b64 v[10:11], 2, v[9:10]
	s_delay_alu instid0(VALU_DEP_1) | instskip(NEXT) | instid1(VALU_DEP_2)
	v_add_co_u32 v10, vcc_lo, s36, v10
	v_add_co_ci_u32_e32 v11, vcc_lo, s37, v11, vcc_lo
	global_load_b32 v10, v[10:11], off
	s_waitcnt vmcnt(0)
	v_subrev_nc_u32_e32 v10, s21, v10
	s_delay_alu instid0(VALU_DEP_1) | instskip(SKIP_1) | instid1(VALU_DEP_2)
	v_cmp_lt_i32_e64 s13, v10, v30
	v_cmp_ge_i32_e32 vcc_lo, v10, v31
	s_or_b32 s13, s13, vcc_lo
	s_delay_alu instid0(SALU_CYCLE_1) | instskip(NEXT) | instid1(SALU_CYCLE_1)
	s_and_saveexec_b32 s63, s13
	s_xor_b32 s13, exec_lo, s63
	s_cbranch_execz .LBB56_47
; %bb.44:                               ;   in Loop: Header=BB56_43 Depth=3
	s_mov_b32 s62, -1
	s_and_saveexec_b32 s63, vcc_lo
; %bb.45:                               ;   in Loop: Header=BB56_43 Depth=3
	v_min_i32_e32 v32, v10, v32
	v_mov_b32_e32 v33, v9
	s_xor_b32 s62, exec_lo, -1
; %bb.46:                               ;   in Loop: Header=BB56_43 Depth=3
	s_or_b32 exec_lo, exec_lo, s63
	s_delay_alu instid0(SALU_CYCLE_1)
	s_and_b32 s62, s62, exec_lo
                                        ; implicit-def: $vgpr10
.LBB56_47:                              ;   in Loop: Header=BB56_43 Depth=3
	s_and_not1_saveexec_b32 s63, s13
	s_cbranch_execz .LBB56_42
; %bb.48:                               ;   in Loop: Header=BB56_43 Depth=3
	v_sub_nc_u32_e32 v36, v10, v30
	s_delay_alu instid0(VALU_DEP_1)
	v_lshlrev_b32_e32 v10, 2, v36
	ds_store_b32 v10, v29 offset:10240
	s_and_saveexec_b32 s64, s4
	s_cbranch_execz .LBB56_41
; %bb.49:                               ;   in Loop: Header=BB56_43 Depth=3
	v_cndmask_b32_e64 v10, 0, 1, s52
	s_and_not1_b32 vcc_lo, exec_lo, s45
	s_delay_alu instid0(VALU_DEP_1)
	v_cmp_ne_u32_e64 s13, 1, v10
	s_cbranch_vccnz .LBB56_54
; %bb.50:                               ;   in Loop: Header=BB56_43 Depth=3
	v_dual_mov_b32 v37, 0 :: v_dual_mov_b32 v38, 0
	s_delay_alu instid0(VALU_DEP_2)
	s_and_b32 vcc_lo, exec_lo, s13
	s_mov_b32 s13, 0
	s_cbranch_vccnz .LBB56_53
; %bb.51:                               ;   in Loop: Header=BB56_43 Depth=3
	v_dual_mov_b32 v37, 0 :: v_dual_mov_b32 v10, v35
	v_dual_mov_b32 v39, v25 :: v_dual_mov_b32 v38, 0
	s_mov_b32 s65, s54
	.p2align	6
.LBB56_52:                              ;   Parent Loop BB56_20 Depth=1
                                        ;     Parent Loop BB56_29 Depth=2
                                        ;       Parent Loop BB56_43 Depth=3
                                        ; =>      This Inner Loop Header: Depth=4
	s_delay_alu instid0(VALU_DEP_2)
	v_ashrrev_i32_e32 v11, 31, v10
	ds_load_b64 v[42:43], v39
	s_add_i32 s65, s65, -1
	v_add_nc_u32_e32 v39, 32, v39
	s_cmp_lg_u32 s65, 0
	v_lshlrev_b64 v[40:41], 3, v[10:11]
	v_add_nc_u32_e32 v10, 1, v10
	s_delay_alu instid0(VALU_DEP_2) | instskip(NEXT) | instid1(VALU_DEP_3)
	v_add_co_u32 v40, vcc_lo, s38, v40
	v_add_co_ci_u32_e32 v41, vcc_lo, s39, v41, vcc_lo
	global_load_b64 v[40:41], v[40:41], off
	s_waitcnt vmcnt(0) lgkmcnt(0)
	v_fmac_f32_e32 v37, v42, v40
	v_fmac_f32_e32 v38, v43, v40
	s_delay_alu instid0(VALU_DEP_2) | instskip(NEXT) | instid1(VALU_DEP_2)
	v_fma_f32 v37, -v43, v41, v37
	v_fmac_f32_e32 v38, v42, v41
	s_cbranch_scc1 .LBB56_52
.LBB56_53:                              ;   in Loop: Header=BB56_43 Depth=3
	s_and_not1_b32 vcc_lo, exec_lo, s13
	s_cbranch_vccnz .LBB56_40
	s_branch .LBB56_55
.LBB56_54:                              ;   in Loop: Header=BB56_43 Depth=3
                                        ; implicit-def: $vgpr37
                                        ; implicit-def: $vgpr38
.LBB56_55:                              ;   in Loop: Header=BB56_43 Depth=3
	v_dual_mov_b32 v37, 0 :: v_dual_mov_b32 v38, 0
	s_and_not1_b32 vcc_lo, exec_lo, s52
	s_cbranch_vccnz .LBB56_40
; %bb.56:                               ;   in Loop: Header=BB56_43 Depth=3
	v_dual_mov_b32 v37, 0 :: v_dual_mov_b32 v10, v8
	v_dual_mov_b32 v39, v26 :: v_dual_mov_b32 v38, 0
	s_mov_b32 s13, s54
	.p2align	6
.LBB56_57:                              ;   Parent Loop BB56_20 Depth=1
                                        ;     Parent Loop BB56_29 Depth=2
                                        ;       Parent Loop BB56_43 Depth=3
                                        ; =>      This Inner Loop Header: Depth=4
	s_delay_alu instid0(VALU_DEP_2)
	v_ashrrev_i32_e32 v11, 31, v10
	ds_load_b64 v[42:43], v39
	s_add_i32 s13, s13, -1
	v_add_nc_u32_e32 v39, 8, v39
	s_cmp_eq_u32 s13, 0
	v_lshlrev_b64 v[40:41], 3, v[10:11]
	v_add_nc_u32_e32 v10, s54, v10
	s_delay_alu instid0(VALU_DEP_2) | instskip(NEXT) | instid1(VALU_DEP_3)
	v_add_co_u32 v40, vcc_lo, s38, v40
	v_add_co_ci_u32_e32 v41, vcc_lo, s39, v41, vcc_lo
	global_load_b64 v[40:41], v[40:41], off
	s_waitcnt vmcnt(0) lgkmcnt(0)
	v_fmac_f32_e32 v37, v42, v40
	v_fmac_f32_e32 v38, v43, v40
	s_delay_alu instid0(VALU_DEP_2) | instskip(NEXT) | instid1(VALU_DEP_2)
	v_fma_f32 v37, -v43, v41, v37
	v_fmac_f32_e32 v38, v42, v41
	s_cbranch_scc0 .LBB56_57
	s_branch .LBB56_40
.LBB56_58:                              ;   in Loop: Header=BB56_29 Depth=2
	s_or_b32 exec_lo, exec_lo, s61
.LBB56_59:                              ;   in Loop: Header=BB56_29 Depth=2
	s_delay_alu instid0(SALU_CYCLE_1)
	s_or_b32 exec_lo, exec_lo, s60
.LBB56_60:                              ;   in Loop: Header=BB56_29 Depth=2
	s_delay_alu instid0(SALU_CYCLE_1)
	s_or_b32 exec_lo, exec_lo, s59
	s_waitcnt lgkmcnt(0)
	s_barrier
	buffer_gl0_inv
	s_and_saveexec_b32 s13, s12
	s_cbranch_execz .LBB56_28
; %bb.61:                               ;   in Loop: Header=BB56_29 Depth=2
	v_ashrrev_i32_e32 v8, 31, v7
	s_delay_alu instid0(VALU_DEP_1) | instskip(NEXT) | instid1(VALU_DEP_1)
	v_lshlrev_b64 v[7:8], 2, v[7:8]
	v_add_co_u32 v7, vcc_lo, s18, v7
	s_delay_alu instid0(VALU_DEP_2)
	v_add_co_ci_u32_e32 v8, vcc_lo, s19, v8, vcc_lo
	global_store_b32 v[7:8], v33, off
	s_branch .LBB56_28
.LBB56_62:                              ;   in Loop: Header=BB56_29 Depth=2
                                        ; implicit-def: $vgpr33
	s_branch .LBB56_37
.LBB56_63:                              ;   in Loop: Header=BB56_20 Depth=1
	s_and_not1_b32 vcc_lo, exec_lo, s14
	s_cbranch_vccnz .LBB56_75
; %bb.64:                               ;   in Loop: Header=BB56_20 Depth=1
	s_load_b64 s[12:13], s[28:29], 0x0
	s_waitcnt lgkmcnt(0)
	v_add_nc_u32_e32 v7, s12, v17
	s_sub_i32 s58, s13, s23
	s_mov_b32 s13, exec_lo
	s_delay_alu instid0(VALU_DEP_1)
	v_cmpx_gt_i32_e64 s58, v7
	s_cbranch_execz .LBB56_74
; %bb.65:                               ;   in Loop: Header=BB56_20 Depth=1
	v_mad_u64_u32 v[8:9], null, s54, v7, v[3:4]
	s_mov_b32 s59, 0
	s_delay_alu instid0(VALU_DEP_1)
	v_mad_u64_u32 v[9:10], null, s54, v8, v[4:5]
	s_branch .LBB56_68
.LBB56_66:                              ;   in Loop: Header=BB56_68 Depth=2
	s_or_b32 exec_lo, exec_lo, s60
	s_delay_alu instid0(SALU_CYCLE_1)
	s_or_b32 s11, s11, exec_lo
.LBB56_67:                              ;   in Loop: Header=BB56_68 Depth=2
	s_or_b32 exec_lo, exec_lo, s12
	v_add_nc_u32_e32 v7, 16, v7
	s_xor_b32 s11, s11, -1
	v_add_nc_u32_e32 v9, s57, v9
	s_delay_alu instid0(VALU_DEP_2) | instskip(SKIP_1) | instid1(SALU_CYCLE_1)
	v_cmp_le_i32_e32 vcc_lo, s58, v7
	s_or_b32 s11, vcc_lo, s11
	s_and_b32 s11, exec_lo, s11
	s_delay_alu instid0(SALU_CYCLE_1) | instskip(NEXT) | instid1(SALU_CYCLE_1)
	s_or_b32 s59, s11, s59
	s_and_not1_b32 exec_lo, exec_lo, s59
	s_cbranch_execz .LBB56_73
.LBB56_68:                              ;   Parent Loop BB56_20 Depth=1
                                        ; =>  This Inner Loop Header: Depth=2
	v_ashrrev_i32_e32 v8, 31, v7
	s_delay_alu instid0(VALU_DEP_1) | instskip(NEXT) | instid1(VALU_DEP_1)
	v_lshlrev_b64 v[10:11], 2, v[7:8]
	v_add_co_u32 v10, vcc_lo, s24, v10
	s_delay_alu instid0(VALU_DEP_2) | instskip(SKIP_3) | instid1(VALU_DEP_1)
	v_add_co_ci_u32_e32 v11, vcc_lo, s25, v11, vcc_lo
	global_load_b32 v8, v[10:11], off
	s_waitcnt vmcnt(0)
	v_subrev_nc_u32_e32 v8, s23, v8
	v_cmp_lt_i32_e64 s11, v8, v30
	v_cmp_ge_i32_e64 s12, v8, v31
	v_cmp_lt_i32_e32 vcc_lo, v8, v31
	s_delay_alu instid0(VALU_DEP_2) | instskip(NEXT) | instid1(SALU_CYCLE_1)
	s_or_b32 s12, s11, s12
                                        ; implicit-def: $sgpr11
	s_and_saveexec_b32 s60, s12
	s_delay_alu instid0(SALU_CYCLE_1)
	s_xor_b32 s12, exec_lo, s60
; %bb.69:                               ;   in Loop: Header=BB56_68 Depth=2
	v_min_i32_e32 v8, v8, v32
	s_and_b32 s11, vcc_lo, exec_lo
	s_delay_alu instid0(VALU_DEP_1)
	v_cndmask_b32_e32 v32, v8, v32, vcc_lo
                                        ; implicit-def: $vgpr8
; %bb.70:                               ;   in Loop: Header=BB56_68 Depth=2
	s_and_not1_saveexec_b32 s12, s12
	s_cbranch_execz .LBB56_67
; %bb.71:                               ;   in Loop: Header=BB56_68 Depth=2
	v_sub_nc_u32_e32 v8, v8, v30
	s_delay_alu instid0(VALU_DEP_1)
	v_lshlrev_b32_e32 v10, 2, v8
	ds_store_b32 v10, v29 offset:10240
	s_and_saveexec_b32 s60, s4
	s_cbranch_execz .LBB56_66
; %bb.72:                               ;   in Loop: Header=BB56_68 Depth=2
	v_ashrrev_i32_e32 v10, 31, v9
	s_delay_alu instid0(VALU_DEP_1) | instskip(NEXT) | instid1(VALU_DEP_1)
	v_lshlrev_b64 v[10:11], 3, v[9:10]
	v_add_co_u32 v10, vcc_lo, s26, v10
	s_delay_alu instid0(VALU_DEP_2)
	v_add_co_ci_u32_e32 v11, vcc_lo, s27, v11, vcc_lo
	global_load_b64 v[10:11], v[10:11], off
	v_lshlrev_b32_e32 v8, 4, v8
	s_waitcnt vmcnt(0)
	v_mul_f32_e64 v33, v11, -s35
	v_mul_f32_e32 v11, s34, v11
	s_delay_alu instid0(VALU_DEP_3) | instskip(NEXT) | instid1(VALU_DEP_3)
	v_or3_b32 v8, v8, v14, v1
	v_fmac_f32_e32 v33, s34, v10
	s_delay_alu instid0(VALU_DEP_2)
	v_dual_fmac_f32 v11, s35, v10 :: v_dual_lshlrev_b32 v8, 3, v8
	ds_add_f32 v8, v33
	ds_add_f32 v8, v11 offset:4
	s_branch .LBB56_66
.LBB56_73:                              ;   in Loop: Header=BB56_20 Depth=1
	s_or_b32 exec_lo, exec_lo, s59
.LBB56_74:                              ;   in Loop: Header=BB56_20 Depth=1
	s_delay_alu instid0(SALU_CYCLE_1)
	s_or_b32 exec_lo, exec_lo, s13
.LBB56_75:                              ;   in Loop: Header=BB56_20 Depth=1
	s_and_saveexec_b32 s11, s2
	s_cbranch_execz .LBB56_80
; %bb.76:                               ;   in Loop: Header=BB56_20 Depth=1
	s_mov_b32 s13, exec_lo
	s_brev_b32 s12, -2
.LBB56_77:                              ;   Parent Loop BB56_20 Depth=1
                                        ; =>  This Inner Loop Header: Depth=2
	s_ctz_i32_b32 s58, s13
	s_delay_alu instid0(SALU_CYCLE_1) | instskip(SKIP_1) | instid1(SALU_CYCLE_1)
	v_readlane_b32 s59, v32, s58
	s_lshl_b32 s58, 1, s58
	s_and_not1_b32 s13, s13, s58
	s_delay_alu instid0(VALU_DEP_1)
	s_min_i32 s12, s12, s59
	s_cmp_lg_u32 s13, 0
	s_cbranch_scc1 .LBB56_77
; %bb.78:                               ;   in Loop: Header=BB56_20 Depth=1
	v_mbcnt_lo_u32_b32 v7, exec_lo, 0
	s_mov_b32 s13, exec_lo
	s_delay_alu instid0(VALU_DEP_1)
	v_cmpx_eq_u32_e32 0, v7
	s_xor_b32 s13, exec_lo, s13
	s_cbranch_execz .LBB56_80
; %bb.79:                               ;   in Loop: Header=BB56_20 Depth=1
	v_mov_b32_e32 v7, s12
	ds_min_i32 v5, v7 offset:10496
.LBB56_80:                              ;   in Loop: Header=BB56_20 Depth=1
	s_or_b32 exec_lo, exec_lo, s11
	s_waitcnt lgkmcnt(0)
	s_waitcnt_vscnt null, 0x0
	s_barrier
	buffer_gl0_inv
	ds_load_b32 v7, v18
	s_waitcnt lgkmcnt(0)
	s_barrier
	buffer_gl0_inv
	s_and_saveexec_b32 s11, s3
	s_cbranch_execz .LBB56_82
; %bb.81:                               ;   in Loop: Header=BB56_20 Depth=1
	ds_load_b32 v8, v19
	s_waitcnt lgkmcnt(0)
	v_add_nc_u32_e32 v7, v8, v7
.LBB56_82:                              ;   in Loop: Header=BB56_20 Depth=1
	s_or_b32 exec_lo, exec_lo, s11
	s_barrier
	buffer_gl0_inv
	ds_store_b32 v18, v7
	s_waitcnt lgkmcnt(0)
	s_barrier
	buffer_gl0_inv
	s_and_saveexec_b32 s11, s6
	s_cbranch_execz .LBB56_84
; %bb.83:                               ;   in Loop: Header=BB56_20 Depth=1
	ds_load_b32 v8, v20
	s_waitcnt lgkmcnt(0)
	v_add_nc_u32_e32 v7, v8, v7
.LBB56_84:                              ;   in Loop: Header=BB56_20 Depth=1
	s_or_b32 exec_lo, exec_lo, s11
	s_barrier
	buffer_gl0_inv
	ds_store_b32 v18, v7
	;; [unrolled: 14-line block ×6, first 2 shown]
	s_waitcnt lgkmcnt(0)
	s_barrier
	buffer_gl0_inv
	ds_load_b32 v9, v5 offset:10492
	v_mov_b32_e32 v8, 0
	s_and_saveexec_b32 s11, s44
	s_cbranch_execz .LBB56_94
; %bb.93:                               ;   in Loop: Header=BB56_20 Depth=1
	ds_load_b32 v8, v19
.LBB56_94:                              ;   in Loop: Header=BB56_20 Depth=1
	s_or_b32 exec_lo, exec_lo, s11
	s_waitcnt lgkmcnt(0)
	v_cmp_eq_u32_e32 vcc_lo, v7, v8
	s_barrier
	buffer_gl0_inv
	s_and_b32 s12, s44, vcc_lo
	s_delay_alu instid0(SALU_CYCLE_1)
	s_and_saveexec_b32 s11, s12
	s_cbranch_execz .LBB56_96
; %bb.95:                               ;   in Loop: Header=BB56_20 Depth=1
	ds_store_b32 v18, v5
.LBB56_96:                              ;   in Loop: Header=BB56_20 Depth=1
	s_or_b32 exec_lo, exec_lo, s11
	v_dual_mov_b32 v31, v13 :: v_dual_add_nc_u32 v10, -1, v28
	v_dual_mov_b32 v30, v27 :: v_dual_add_nc_u32 v11, s22, v30
	v_mov_b32_e32 v32, v12
	s_mov_b32 s11, 0
	s_waitcnt lgkmcnt(0)
	s_barrier
	buffer_gl0_inv
	s_set_inst_prefetch_distance 0x1
	s_branch .LBB56_98
	.p2align	6
.LBB56_97:                              ;   in Loop: Header=BB56_98 Depth=2
	s_or_b32 exec_lo, exec_lo, s12
	v_add_nc_u32_e32 v7, 16, v32
	v_cmp_lt_u32_e32 vcc_lo, 47, v32
	v_add_nc_u32_e32 v31, 0x800, v31
	v_add_nc_u32_e32 v30, 64, v30
	s_delay_alu instid0(VALU_DEP_4) | instskip(SKIP_1) | instid1(SALU_CYCLE_1)
	v_mov_b32_e32 v32, v7
	s_or_b32 s11, vcc_lo, s11
	s_and_not1_b32 exec_lo, exec_lo, s11
	s_cbranch_execz .LBB56_19
.LBB56_98:                              ;   Parent Loop BB56_20 Depth=1
                                        ; =>  This Inner Loop Header: Depth=2
	ds_load_b32 v7, v30
	s_mov_b32 s12, exec_lo
	s_waitcnt lgkmcnt(0)
	v_cmpx_ne_u32_e32 0, v7
	s_cbranch_execz .LBB56_97
; %bb.99:                               ;   in Loop: Header=BB56_98 Depth=2
	v_add_nc_u32_e32 v7, v10, v7
	s_delay_alu instid0(VALU_DEP_1) | instskip(NEXT) | instid1(VALU_DEP_1)
	v_ashrrev_i32_e32 v8, 31, v7
	v_lshlrev_b64 v[33:34], 2, v[7:8]
	v_add_nc_u32_e32 v8, v11, v32
	s_delay_alu instid0(VALU_DEP_2) | instskip(NEXT) | instid1(VALU_DEP_3)
	v_add_co_u32 v33, vcc_lo, s30, v33
	v_add_co_ci_u32_e32 v34, vcc_lo, s31, v34, vcc_lo
	global_store_b32 v[33:34], v8, off
	s_and_b32 exec_lo, exec_lo, s4
	s_cbranch_execz .LBB56_97
; %bb.100:                              ;   in Loop: Header=BB56_98 Depth=2
	v_mad_u64_u32 v[33:34], null, v7, s54, v[3:4]
	s_delay_alu instid0(VALU_DEP_1) | instskip(SKIP_2) | instid1(VALU_DEP_1)
	v_mad_u64_u32 v[7:8], null, v33, s54, v[4:5]
	ds_load_b64 v[33:34], v31
	v_ashrrev_i32_e32 v8, 31, v7
	v_lshlrev_b64 v[7:8], 3, v[7:8]
	s_delay_alu instid0(VALU_DEP_1) | instskip(NEXT) | instid1(VALU_DEP_2)
	v_add_co_u32 v7, vcc_lo, s16, v7
	v_add_co_ci_u32_e32 v8, vcc_lo, s17, v8, vcc_lo
	s_waitcnt lgkmcnt(0)
	global_store_b64 v[7:8], v[33:34], off
	s_branch .LBB56_97
.LBB56_101:
	s_endpgm
	.section	.rodata,"a",@progbits
	.p2align	6, 0x0
	.amdhsa_kernel _ZN9rocsparseL38bsrgemm_block_per_row_atomic_multipassILj256ELj64ELj4Eii21rocsparse_complex_numIfEEEv20rocsparse_direction_T3_S4_PKS4_S6_NS_24const_host_device_scalarIT4_EEPKT2_S6_PKS8_SC_S6_SE_S9_SC_S6_SE_SC_PS4_PS8_PSA_21rocsparse_index_base_SI_SI_SI_bbb
		.amdhsa_group_segment_fixed_size 10500
		.amdhsa_private_segment_fixed_size 0
		.amdhsa_kernarg_size 172
		.amdhsa_user_sgpr_count 15
		.amdhsa_user_sgpr_dispatch_ptr 0
		.amdhsa_user_sgpr_queue_ptr 0
		.amdhsa_user_sgpr_kernarg_segment_ptr 1
		.amdhsa_user_sgpr_dispatch_id 0
		.amdhsa_user_sgpr_private_segment_size 0
		.amdhsa_wavefront_size32 1
		.amdhsa_uses_dynamic_stack 0
		.amdhsa_enable_private_segment 0
		.amdhsa_system_sgpr_workgroup_id_x 1
		.amdhsa_system_sgpr_workgroup_id_y 0
		.amdhsa_system_sgpr_workgroup_id_z 0
		.amdhsa_system_sgpr_workgroup_info 0
		.amdhsa_system_vgpr_workitem_id 0
		.amdhsa_next_free_vgpr 44
		.amdhsa_next_free_sgpr 66
		.amdhsa_reserve_vcc 1
		.amdhsa_float_round_mode_32 0
		.amdhsa_float_round_mode_16_64 0
		.amdhsa_float_denorm_mode_32 3
		.amdhsa_float_denorm_mode_16_64 3
		.amdhsa_dx10_clamp 1
		.amdhsa_ieee_mode 1
		.amdhsa_fp16_overflow 0
		.amdhsa_workgroup_processor_mode 1
		.amdhsa_memory_ordered 1
		.amdhsa_forward_progress 0
		.amdhsa_shared_vgpr_count 0
		.amdhsa_exception_fp_ieee_invalid_op 0
		.amdhsa_exception_fp_denorm_src 0
		.amdhsa_exception_fp_ieee_div_zero 0
		.amdhsa_exception_fp_ieee_overflow 0
		.amdhsa_exception_fp_ieee_underflow 0
		.amdhsa_exception_fp_ieee_inexact 0
		.amdhsa_exception_int_div_zero 0
	.end_amdhsa_kernel
	.section	.text._ZN9rocsparseL38bsrgemm_block_per_row_atomic_multipassILj256ELj64ELj4Eii21rocsparse_complex_numIfEEEv20rocsparse_direction_T3_S4_PKS4_S6_NS_24const_host_device_scalarIT4_EEPKT2_S6_PKS8_SC_S6_SE_S9_SC_S6_SE_SC_PS4_PS8_PSA_21rocsparse_index_base_SI_SI_SI_bbb,"axG",@progbits,_ZN9rocsparseL38bsrgemm_block_per_row_atomic_multipassILj256ELj64ELj4Eii21rocsparse_complex_numIfEEEv20rocsparse_direction_T3_S4_PKS4_S6_NS_24const_host_device_scalarIT4_EEPKT2_S6_PKS8_SC_S6_SE_S9_SC_S6_SE_SC_PS4_PS8_PSA_21rocsparse_index_base_SI_SI_SI_bbb,comdat
.Lfunc_end56:
	.size	_ZN9rocsparseL38bsrgemm_block_per_row_atomic_multipassILj256ELj64ELj4Eii21rocsparse_complex_numIfEEEv20rocsparse_direction_T3_S4_PKS4_S6_NS_24const_host_device_scalarIT4_EEPKT2_S6_PKS8_SC_S6_SE_S9_SC_S6_SE_SC_PS4_PS8_PSA_21rocsparse_index_base_SI_SI_SI_bbb, .Lfunc_end56-_ZN9rocsparseL38bsrgemm_block_per_row_atomic_multipassILj256ELj64ELj4Eii21rocsparse_complex_numIfEEEv20rocsparse_direction_T3_S4_PKS4_S6_NS_24const_host_device_scalarIT4_EEPKT2_S6_PKS8_SC_S6_SE_S9_SC_S6_SE_SC_PS4_PS8_PSA_21rocsparse_index_base_SI_SI_SI_bbb
                                        ; -- End function
	.section	.AMDGPU.csdata,"",@progbits
; Kernel info:
; codeLenInByte = 3444
; NumSgprs: 68
; NumVgprs: 44
; ScratchSize: 0
; MemoryBound: 0
; FloatMode: 240
; IeeeMode: 1
; LDSByteSize: 10500 bytes/workgroup (compile time only)
; SGPRBlocks: 8
; VGPRBlocks: 5
; NumSGPRsForWavesPerEU: 68
; NumVGPRsForWavesPerEU: 44
; Occupancy: 16
; WaveLimiterHint : 1
; COMPUTE_PGM_RSRC2:SCRATCH_EN: 0
; COMPUTE_PGM_RSRC2:USER_SGPR: 15
; COMPUTE_PGM_RSRC2:TRAP_HANDLER: 0
; COMPUTE_PGM_RSRC2:TGID_X_EN: 1
; COMPUTE_PGM_RSRC2:TGID_Y_EN: 0
; COMPUTE_PGM_RSRC2:TGID_Z_EN: 0
; COMPUTE_PGM_RSRC2:TIDIG_COMP_CNT: 0
	.section	.text._ZN9rocsparseL38bsrgemm_block_per_row_atomic_multipassILj256ELj128ELj4Eii21rocsparse_complex_numIfEEEv20rocsparse_direction_T3_S4_PKS4_S6_NS_24const_host_device_scalarIT4_EEPKT2_S6_PKS8_SC_S6_SE_S9_SC_S6_SE_SC_PS4_PS8_PSA_21rocsparse_index_base_SI_SI_SI_bbb,"axG",@progbits,_ZN9rocsparseL38bsrgemm_block_per_row_atomic_multipassILj256ELj128ELj4Eii21rocsparse_complex_numIfEEEv20rocsparse_direction_T3_S4_PKS4_S6_NS_24const_host_device_scalarIT4_EEPKT2_S6_PKS8_SC_S6_SE_S9_SC_S6_SE_SC_PS4_PS8_PSA_21rocsparse_index_base_SI_SI_SI_bbb,comdat
	.globl	_ZN9rocsparseL38bsrgemm_block_per_row_atomic_multipassILj256ELj128ELj4Eii21rocsparse_complex_numIfEEEv20rocsparse_direction_T3_S4_PKS4_S6_NS_24const_host_device_scalarIT4_EEPKT2_S6_PKS8_SC_S6_SE_S9_SC_S6_SE_SC_PS4_PS8_PSA_21rocsparse_index_base_SI_SI_SI_bbb ; -- Begin function _ZN9rocsparseL38bsrgemm_block_per_row_atomic_multipassILj256ELj128ELj4Eii21rocsparse_complex_numIfEEEv20rocsparse_direction_T3_S4_PKS4_S6_NS_24const_host_device_scalarIT4_EEPKT2_S6_PKS8_SC_S6_SE_S9_SC_S6_SE_SC_PS4_PS8_PSA_21rocsparse_index_base_SI_SI_SI_bbb
	.p2align	8
	.type	_ZN9rocsparseL38bsrgemm_block_per_row_atomic_multipassILj256ELj128ELj4Eii21rocsparse_complex_numIfEEEv20rocsparse_direction_T3_S4_PKS4_S6_NS_24const_host_device_scalarIT4_EEPKT2_S6_PKS8_SC_S6_SE_S9_SC_S6_SE_SC_PS4_PS8_PSA_21rocsparse_index_base_SI_SI_SI_bbb,@function
_ZN9rocsparseL38bsrgemm_block_per_row_atomic_multipassILj256ELj128ELj4Eii21rocsparse_complex_numIfEEEv20rocsparse_direction_T3_S4_PKS4_S6_NS_24const_host_device_scalarIT4_EEPKT2_S6_PKS8_SC_S6_SE_S9_SC_S6_SE_SC_PS4_PS8_PSA_21rocsparse_index_base_SI_SI_SI_bbb: ; @_ZN9rocsparseL38bsrgemm_block_per_row_atomic_multipassILj256ELj128ELj4Eii21rocsparse_complex_numIfEEEv20rocsparse_direction_T3_S4_PKS4_S6_NS_24const_host_device_scalarIT4_EEPKT2_S6_PKS8_SC_S6_SE_S9_SC_S6_SE_SC_PS4_PS8_PSA_21rocsparse_index_base_SI_SI_SI_bbb
; %bb.0:
	s_clause 0x5
	s_load_b32 s3, s[0:1], 0xa8
	s_load_b256 s[20:27], s[0:1], 0x88
	s_load_b256 s[36:43], s[0:1], 0x68
	;; [unrolled: 1-line block ×3, first 2 shown]
	s_load_b128 s[4:7], s[0:1], 0x10
	s_load_b256 s[52:59], s[0:1], 0x28
	s_mov_b32 s2, s15
	s_mov_b32 s19, 0
	;; [unrolled: 1-line block ×3, first 2 shown]
	s_waitcnt lgkmcnt(0)
	s_bitcmp1_b32 s3, 0
	s_cselect_b32 s15, -1, 0
	s_bitcmp1_b32 s3, 16
	s_cselect_b32 s8, -1, 0
	s_delay_alu instid0(SALU_CYCLE_1) | instskip(SKIP_2) | instid1(VALU_DEP_1)
	s_xor_b32 s8, s8, -1
	s_bitcmp0_b32 s3, 0
	v_cndmask_b32_e64 v1, 0, 1, s8
	v_cmp_ne_u32_e32 vcc_lo, 1, v1
	s_cbranch_scc1 .LBB57_5
; %bb.1:
	s_load_b64 s[18:19], s[0:1], 0x20
	s_and_b32 vcc_lo, exec_lo, vcc_lo
	s_waitcnt lgkmcnt(0)
	s_mov_b32 s33, s18
	s_cbranch_vccnz .LBB57_3
; %bb.2:
	s_load_b32 s33, s[18:19], 0x0
.LBB57_3:
	s_and_not1_b32 vcc_lo, exec_lo, s8
	s_cbranch_vccnz .LBB57_5
; %bb.4:
	s_load_b32 s19, s[18:19], 0x4
.LBB57_5:
	s_bitcmp1_b32 s3, 8
	s_mov_b32 s61, 0
	s_cselect_b32 s18, -1, 0
	s_bfe_u32 s3, s3, 0x10008
	s_mov_b32 s60, 0
	s_cmp_eq_u32 s3, 0
	s_cbranch_scc1 .LBB57_11
; %bb.6:
	v_cmp_ne_u32_e32 vcc_lo, 1, v1
	s_mov_b32 s60, s48
	s_cbranch_vccnz .LBB57_8
; %bb.7:
	s_load_b32 s60, s[48:49], 0x0
.LBB57_8:
	v_cmp_ne_u32_e32 vcc_lo, 1, v1
	s_cbranch_vccnz .LBB57_10
; %bb.9:
	s_load_b32 s49, s[48:49], 0x4
.LBB57_10:
	s_waitcnt lgkmcnt(0)
	s_mov_b32 s61, s49
.LBB57_11:
	s_cmp_eq_u64 s[6:7], 0
	s_cbranch_scc1 .LBB57_13
; %bb.12:
	s_load_b32 s3, s[4:5], 0x0
	s_waitcnt lgkmcnt(0)
	s_add_i32 s2, s3, s2
	s_mov_b32 s3, 0
	s_delay_alu instid0(SALU_CYCLE_1) | instskip(NEXT) | instid1(SALU_CYCLE_1)
	s_lshl_b64 s[2:3], s[2:3], 2
	s_add_u32 s2, s6, s2
	s_addc_u32 s3, s7, s3
	s_load_b32 s2, s[2:3], 0x0
.LBB57_13:
	s_mov_b32 s48, 0
	s_and_not1_b32 vcc_lo, exec_lo, s15
	s_mov_b32 s49, 0
	s_cbranch_vccz .LBB57_16
; %bb.14:
	s_and_not1_b32 vcc_lo, exec_lo, s15
	s_cbranch_vccz .LBB57_17
.LBB57_15:
	s_load_b128 s[28:31], s[0:1], 0x0
	s_waitcnt lgkmcnt(0)
	s_cmp_lt_i32 s29, 1
	s_cbranch_scc0 .LBB57_18
	s_branch .LBB57_107
.LBB57_16:
	s_waitcnt lgkmcnt(0)
	s_ashr_i32 s3, s2, 31
	s_delay_alu instid0(SALU_CYCLE_1) | instskip(NEXT) | instid1(SALU_CYCLE_1)
	s_lshl_b64 s[4:5], s[2:3], 2
	s_add_u32 s4, s52, s4
	s_addc_u32 s5, s53, s5
	s_load_b32 s3, s[4:5], 0x0
	s_waitcnt lgkmcnt(0)
	s_sub_i32 s49, s3, s24
	s_and_not1_b32 vcc_lo, exec_lo, s15
	s_cbranch_vccnz .LBB57_15
.LBB57_17:
	s_waitcnt lgkmcnt(0)
	s_ashr_i32 s3, s2, 31
	s_delay_alu instid0(SALU_CYCLE_1) | instskip(NEXT) | instid1(SALU_CYCLE_1)
	s_lshl_b64 s[4:5], s[2:3], 2
	s_add_u32 s4, s52, s4
	s_addc_u32 s5, s53, s5
	s_load_b32 s3, s[4:5], 0x4
	s_waitcnt lgkmcnt(0)
	s_sub_i32 s48, s3, s24
	s_load_b128 s[28:31], s[0:1], 0x0
	s_waitcnt lgkmcnt(0)
	s_cmp_lt_i32 s29, 1
	s_cbranch_scc1 .LBB57_107
.LBB57_18:
	s_ashr_i32 s3, s2, 31
	v_bfe_u32 v2, v0, 2, 2
	s_lshl_b64 s[6:7], s[2:3], 2
	v_and_b32_e32 v4, 0x7f, v0
	s_add_u32 s0, s40, s6
	s_addc_u32 s1, s41, s7
	v_lshrrev_b32_e32 v14, 4, v0
	s_load_b32 s3, s[0:1], 0x0
	v_add_co_u32 v6, s31, v4, -1
	s_mov_b32 s16, 0
	v_cmp_gt_u32_e64 s0, 0x80, v0
	v_cmp_eq_u32_e64 s1, 0, v0
	s_delay_alu instid0(VALU_DEP_3)
	v_lshl_add_u32 v21, v6, 2, 0x4800
	v_dual_mov_b32 v35, 0x80 :: v_dual_lshlrev_b32 v6, 3, v2
	v_lshl_or_b32 v17, v0, 2, 0x4800
	v_cmp_gt_u32_e64 s13, 0x200, v0
	v_cmp_gt_u32_e64 s14, 0x100, v0
	v_subrev_nc_u32_e32 v19, s27, v14
	v_lshl_or_b32 v29, v14, 2, 0x4800
	v_dual_mov_b32 v32, 1 :: v_dual_mov_b32 v31, 0
	v_mov_b32_e32 v34, 0
	s_waitcnt lgkmcnt(0)
	s_sub_i32 s17, s3, s26
	s_delay_alu instid0(SALU_CYCLE_1) | instskip(SKIP_3) | instid1(VALU_DEP_1)
	v_dual_mov_b32 v30, s17 :: v_dual_and_b32 v1, 3, v0
	s_cmp_lt_i32 s49, s48
	s_mov_b32 s17, s16
	s_cselect_b32 s41, -1, 0
	v_max_i32_e32 v5, v1, v2
	s_cmp_eq_u32 s28, 0
	v_lshlrev_b32_e32 v15, 3, v0
	s_cselect_b32 vcc_lo, -1, 0
	v_and_b32_e32 v3, 15, v0
	v_cmp_gt_i32_e64 s3, s30, v5
	v_cmp_le_i32_e64 s4, s30, v5
	v_or_b32_e32 v5, 0x400, v0
	s_cmp_lg_u32 s28, 0
	v_and_b32_e32 v16, 12, v0
	v_cmp_eq_u32_e64 s2, 15, v3
	s_cselect_b32 s28, -1, 0
	v_cmp_gt_u32_e64 s12, 0x700, v5
	v_lshlrev_b32_e32 v5, 7, v14
	s_cmp_gt_i32 s30, 0
	v_mov_b32_e32 v7, s16
	s_cselect_b32 s40, -1, 0
	s_add_u32 s34, s50, s6
	v_or3_b32 v0, v5, v6, 0x4000
	v_mov_b32_e32 v5, 0
	v_lshlrev_b32_e32 v3, 2, v4
	s_addc_u32 s35, s51, s7
	s_and_b32 s41, s15, s41
	s_movk_i32 s15, 0x7e0
	v_cmp_ne_u32_e64 s5, 0, v4
	v_add_nc_u32_e32 v24, 0x47e0, v3
	v_or_b32_e32 v20, 0x4800, v3
	v_cmp_lt_u32_e64 s6, 1, v4
	v_add_nc_u32_e32 v22, 0x47f8, v3
	v_cmp_lt_u32_e64 s7, 3, v4
	v_add_nc_u32_e32 v23, 0x47f0, v3
	v_cmp_lt_u32_e64 s8, 7, v4
	v_cmp_lt_u32_e64 s9, 15, v4
	v_add_nc_u32_e32 v25, 0x47c0, v3
	v_cmp_lt_u32_e64 s10, 31, v4
	v_add_nc_u32_e32 v26, 0x4780, v3
	v_cmp_lt_u32_e64 s11, 63, v4
	v_add_nc_u32_e32 v27, 0x4700, v3
	v_dual_cndmask_b32 v3, v1, v2 :: v_dual_cndmask_b32 v4, v2, v1
	v_mov_b32_e32 v8, s17
	v_or_b32_e32 v18, 0x4000, v15
	v_and_or_b32 v28, v15, s15, 0x4000
	v_cndmask_b32_e64 v33, 0, 1, s40
	s_mul_i32 s51, s30, s30
	s_add_u32 s50, s58, 4
	s_addc_u32 s52, s59, 0
	s_lshl_b32 s53, s51, 4
	s_branch .LBB57_20
.LBB57_19:                              ;   in Loop: Header=BB57_20 Depth=1
	s_set_inst_prefetch_distance 0x2
	s_or_b32 exec_lo, exec_lo, s15
	s_waitcnt_vscnt null, 0x0
	s_barrier
	buffer_gl0_inv
	ds_load_b32 v34, v31 offset:18944
	v_add_nc_u32_e32 v30, v11, v30
	s_waitcnt lgkmcnt(0)
	s_barrier
	buffer_gl0_inv
	v_cmp_le_i32_e32 vcc_lo, s29, v34
	v_add_nc_u32_e32 v35, 0x80, v34
	s_cbranch_vccnz .LBB57_107
.LBB57_20:                              ; =>This Loop Header: Depth=1
                                        ;     Child Loop BB57_33 Depth 2
                                        ;       Child Loop BB57_47 Depth 3
                                        ;         Child Loop BB57_56 Depth 4
                                        ;         Child Loop BB57_61 Depth 4
                                        ;     Child Loop BB57_72 Depth 2
                                        ;     Child Loop BB57_81 Depth 2
	;; [unrolled: 1-line block ×3, first 2 shown]
	s_and_saveexec_b32 s15, s0
	s_cbranch_execz .LBB57_22
; %bb.21:                               ;   in Loop: Header=BB57_20 Depth=1
	ds_store_b32 v17, v31
.LBB57_22:                              ;   in Loop: Header=BB57_20 Depth=1
	s_or_b32 exec_lo, exec_lo, s15
	ds_store_2addr_stride64_b64 v15, v[7:8], v[7:8] offset1:4
	ds_store_2addr_stride64_b64 v15, v[7:8], v[7:8] offset0:8 offset1:12
	ds_store_b64 v15, v[7:8] offset:8192
	s_and_saveexec_b32 s15, s12
	s_delay_alu instid0(SALU_CYCLE_1)
	s_xor_b32 s15, exec_lo, s15
	s_cbranch_execz .LBB57_28
; %bb.23:                               ;   in Loop: Header=BB57_20 Depth=1
	v_mov_b32_e32 v6, v5
	ds_store_b64 v15, v[5:6] offset:10240
	s_and_saveexec_b32 s16, s13
	s_delay_alu instid0(SALU_CYCLE_1)
	s_xor_b32 s16, exec_lo, s16
	s_cbranch_execz .LBB57_27
; %bb.24:                               ;   in Loop: Header=BB57_20 Depth=1
	ds_store_b64 v15, v[5:6] offset:12288
	s_and_saveexec_b32 s17, s14
	s_delay_alu instid0(SALU_CYCLE_1)
	s_xor_b32 s17, exec_lo, s17
	s_cbranch_execz .LBB57_26
; %bb.25:                               ;   in Loop: Header=BB57_20 Depth=1
	v_mov_b32_e32 v6, v5
	ds_store_b64 v15, v[5:6] offset:14336
.LBB57_26:                              ;   in Loop: Header=BB57_20 Depth=1
	s_or_b32 exec_lo, exec_lo, s17
.LBB57_27:                              ;   in Loop: Header=BB57_20 Depth=1
	s_delay_alu instid0(SALU_CYCLE_1)
	s_or_b32 exec_lo, exec_lo, s16
.LBB57_28:                              ;   in Loop: Header=BB57_20 Depth=1
	s_delay_alu instid0(SALU_CYCLE_1)
	s_or_b32 exec_lo, exec_lo, s15
	s_and_saveexec_b32 s15, s1
	s_cbranch_execz .LBB57_30
; %bb.29:                               ;   in Loop: Header=BB57_20 Depth=1
	v_mov_b32_e32 v6, s29
	ds_store_b32 v31, v6 offset:18944
.LBB57_30:                              ;   in Loop: Header=BB57_20 Depth=1
	s_or_b32 exec_lo, exec_lo, s15
	v_mov_b32_e32 v36, s29
	s_and_not1_b32 vcc_lo, exec_lo, s41
	s_waitcnt lgkmcnt(0)
	s_barrier
	buffer_gl0_inv
	s_cbranch_vccnz .LBB57_67
; %bb.31:                               ;   in Loop: Header=BB57_20 Depth=1
	v_cmp_ne_u32_e64 s15, 0, v34
	v_mov_b32_e32 v36, s29
	s_mov_b32 s62, s49
	s_branch .LBB57_33
.LBB57_32:                              ;   in Loop: Header=BB57_33 Depth=2
	s_or_b32 exec_lo, exec_lo, s17
	s_add_i32 s62, s62, 16
	s_delay_alu instid0(SALU_CYCLE_1)
	s_cmp_lt_i32 s62, s48
	s_cbranch_scc0 .LBB57_67
.LBB57_33:                              ;   Parent Loop BB57_20 Depth=1
                                        ; =>  This Loop Header: Depth=2
                                        ;       Child Loop BB57_47 Depth 3
                                        ;         Child Loop BB57_56 Depth 4
                                        ;         Child Loop BB57_61 Depth 4
	v_add_nc_u32_e32 v9, s62, v14
	s_waitcnt_vscnt null, 0x0
	s_barrier
	buffer_gl0_inv
	v_cmp_gt_i32_e64 s16, s48, v9
	s_delay_alu instid0(VALU_DEP_1)
	s_and_saveexec_b32 s17, s16
	s_cbranch_execz .LBB57_38
; %bb.34:                               ;   in Loop: Header=BB57_33 Depth=2
	s_and_saveexec_b32 s63, s4
	s_delay_alu instid0(SALU_CYCLE_1)
	s_xor_b32 s63, exec_lo, s63
	s_cbranch_execz .LBB57_36
; %bb.35:                               ;   in Loop: Header=BB57_33 Depth=2
	v_mov_b32_e32 v6, v5
	ds_store_b64 v18, v[5:6]
.LBB57_36:                              ;   in Loop: Header=BB57_33 Depth=2
	s_and_not1_saveexec_b32 s63, s63
	s_cbranch_execz .LBB57_38
; %bb.37:                               ;   in Loop: Header=BB57_33 Depth=2
	v_mad_u64_u32 v[10:11], null, v9, s30, v[2:3]
	s_delay_alu instid0(VALU_DEP_1) | instskip(NEXT) | instid1(VALU_DEP_1)
	v_mad_u64_u32 v[11:12], null, v10, s30, v[1:2]
	v_ashrrev_i32_e32 v12, 31, v11
	s_delay_alu instid0(VALU_DEP_1) | instskip(NEXT) | instid1(VALU_DEP_1)
	v_lshlrev_b64 v[10:11], 3, v[11:12]
	v_add_co_u32 v10, vcc_lo, s56, v10
	s_delay_alu instid0(VALU_DEP_2)
	v_add_co_ci_u32_e32 v11, vcc_lo, s57, v11, vcc_lo
	global_load_b64 v[10:11], v[10:11], off
	s_waitcnt vmcnt(0)
	ds_store_b64 v18, v[10:11]
.LBB57_38:                              ;   in Loop: Header=BB57_33 Depth=2
	s_or_b32 exec_lo, exec_lo, s17
	v_mov_b32_e32 v6, 0
	s_waitcnt lgkmcnt(0)
	s_barrier
	buffer_gl0_inv
	s_and_saveexec_b32 s63, s16
	s_cbranch_execz .LBB57_64
; %bb.39:                               ;   in Loop: Header=BB57_33 Depth=2
	v_ashrrev_i32_e32 v10, 31, v9
	s_delay_alu instid0(VALU_DEP_1) | instskip(NEXT) | instid1(VALU_DEP_1)
	v_lshlrev_b64 v[12:13], 2, v[9:10]
	v_add_co_u32 v10, vcc_lo, s54, v12
	s_delay_alu instid0(VALU_DEP_2) | instskip(SKIP_4) | instid1(VALU_DEP_1)
	v_add_co_ci_u32_e32 v11, vcc_lo, s55, v13, vcc_lo
	s_and_b32 vcc_lo, exec_lo, s15
	global_load_b32 v6, v[10:11], off
	s_waitcnt vmcnt(0)
	v_subrev_nc_u32_e32 v10, s24, v6
	v_ashrrev_i32_e32 v11, 31, v10
	s_cbranch_vccz .LBB57_66
; %bb.40:                               ;   in Loop: Header=BB57_33 Depth=2
	v_add_co_u32 v12, vcc_lo, s22, v12
	v_add_co_ci_u32_e32 v13, vcc_lo, s23, v13, vcc_lo
	global_load_b32 v6, v[12:13], off
	s_cbranch_execnz .LBB57_42
.LBB57_41:                              ;   in Loop: Header=BB57_33 Depth=2
	s_delay_alu instid0(VALU_DEP_1) | instskip(NEXT) | instid1(VALU_DEP_1)
	v_lshlrev_b64 v[12:13], 2, v[10:11]
	v_add_co_u32 v12, vcc_lo, s58, v12
	s_delay_alu instid0(VALU_DEP_2)
	v_add_co_ci_u32_e32 v13, vcc_lo, s59, v13, vcc_lo
	global_load_b32 v6, v[12:13], off
	s_waitcnt vmcnt(0)
	v_subrev_nc_u32_e32 v6, s25, v6
.LBB57_42:                              ;   in Loop: Header=BB57_33 Depth=2
	v_lshlrev_b64 v[10:11], 2, v[10:11]
	s_mov_b32 s64, exec_lo
	s_delay_alu instid0(VALU_DEP_1) | instskip(NEXT) | instid1(VALU_DEP_2)
	v_add_co_u32 v10, vcc_lo, s50, v10
	v_add_co_ci_u32_e32 v11, vcc_lo, s52, v11, vcc_lo
	global_load_b32 v10, v[10:11], off
	s_waitcnt vmcnt(0)
	v_subrev_nc_u32_e32 v37, s25, v10
	s_delay_alu instid0(VALU_DEP_1)
	v_cmpx_lt_i32_e64 v6, v37
	s_cbranch_execz .LBB57_63
; %bb.43:                               ;   in Loop: Header=BB57_33 Depth=2
	v_mad_u64_u32 v[10:11], null, s30, v6, v[1:2]
	s_mov_b32 s65, 0
	s_delay_alu instid0(VALU_DEP_1)
	v_mul_lo_u32 v38, s30, v10
	v_mad_u64_u32 v[10:11], null, s51, v6, v[1:2]
	v_mov_b32_e32 v11, v6
	s_branch .LBB57_47
.LBB57_44:                              ;   in Loop: Header=BB57_47 Depth=3
	s_delay_alu instid0(VALU_DEP_1) | instskip(SKIP_1) | instid1(VALU_DEP_2)
	v_dual_mul_f32 v39, s33, v41 :: v_dual_lshlrev_b32 v12, 4, v39
	v_mul_f32_e64 v13, v41, -s19
	v_or3_b32 v12, v12, v16, v1
	s_delay_alu instid0(VALU_DEP_3) | instskip(NEXT) | instid1(VALU_DEP_3)
	v_fmac_f32_e32 v39, s19, v40
	v_fmac_f32_e32 v13, s33, v40
	s_delay_alu instid0(VALU_DEP_3)
	v_lshlrev_b32_e32 v12, 3, v12
	ds_add_f32 v12, v13
	ds_add_f32 v12, v39 offset:4
.LBB57_45:                              ;   in Loop: Header=BB57_47 Depth=3
	s_or_b32 exec_lo, exec_lo, s68
	s_delay_alu instid0(SALU_CYCLE_1)
	s_or_b32 s66, s66, exec_lo
.LBB57_46:                              ;   in Loop: Header=BB57_47 Depth=3
	s_or_b32 exec_lo, exec_lo, s67
	v_add_nc_u32_e32 v11, 1, v11
	s_xor_b32 s17, s66, -1
	v_add_nc_u32_e32 v38, s51, v38
	v_add_nc_u32_e32 v10, s51, v10
	s_delay_alu instid0(VALU_DEP_3) | instskip(SKIP_1) | instid1(SALU_CYCLE_1)
	v_cmp_ge_i32_e32 vcc_lo, v11, v37
	s_or_b32 s17, s17, vcc_lo
	s_and_b32 s17, exec_lo, s17
	s_delay_alu instid0(SALU_CYCLE_1) | instskip(NEXT) | instid1(SALU_CYCLE_1)
	s_or_b32 s65, s17, s65
	s_and_not1_b32 exec_lo, exec_lo, s65
	s_cbranch_execz .LBB57_62
.LBB57_47:                              ;   Parent Loop BB57_20 Depth=1
                                        ;     Parent Loop BB57_33 Depth=2
                                        ; =>    This Loop Header: Depth=3
                                        ;         Child Loop BB57_56 Depth 4
                                        ;         Child Loop BB57_61 Depth 4
	s_delay_alu instid0(VALU_DEP_1) | instskip(NEXT) | instid1(VALU_DEP_1)
	v_ashrrev_i32_e32 v12, 31, v11
                                        ; implicit-def: $sgpr66
	v_lshlrev_b64 v[12:13], 2, v[11:12]
	s_delay_alu instid0(VALU_DEP_1) | instskip(NEXT) | instid1(VALU_DEP_2)
	v_add_co_u32 v12, vcc_lo, s44, v12
	v_add_co_ci_u32_e32 v13, vcc_lo, s45, v13, vcc_lo
	global_load_b32 v12, v[12:13], off
	s_waitcnt vmcnt(0)
	v_subrev_nc_u32_e32 v12, s25, v12
	s_delay_alu instid0(VALU_DEP_1) | instskip(SKIP_1) | instid1(VALU_DEP_2)
	v_cmp_lt_i32_e64 s17, v12, v34
	v_cmp_ge_i32_e32 vcc_lo, v12, v35
	s_or_b32 s17, s17, vcc_lo
	s_delay_alu instid0(SALU_CYCLE_1) | instskip(NEXT) | instid1(SALU_CYCLE_1)
	s_and_saveexec_b32 s67, s17
	s_xor_b32 s17, exec_lo, s67
	s_cbranch_execz .LBB57_51
; %bb.48:                               ;   in Loop: Header=BB57_47 Depth=3
	s_mov_b32 s66, -1
	s_and_saveexec_b32 s67, vcc_lo
; %bb.49:                               ;   in Loop: Header=BB57_47 Depth=3
	v_min_i32_e32 v36, v12, v36
	v_mov_b32_e32 v6, v11
	s_xor_b32 s66, exec_lo, -1
; %bb.50:                               ;   in Loop: Header=BB57_47 Depth=3
	s_or_b32 exec_lo, exec_lo, s67
	s_delay_alu instid0(SALU_CYCLE_1)
	s_and_b32 s66, s66, exec_lo
                                        ; implicit-def: $vgpr12
.LBB57_51:                              ;   in Loop: Header=BB57_47 Depth=3
	s_and_not1_saveexec_b32 s67, s17
	s_cbranch_execz .LBB57_46
; %bb.52:                               ;   in Loop: Header=BB57_47 Depth=3
	v_sub_nc_u32_e32 v39, v12, v34
	s_delay_alu instid0(VALU_DEP_1)
	v_lshlrev_b32_e32 v12, 2, v39
	ds_store_b32 v12, v32 offset:18432
	s_and_saveexec_b32 s68, s3
	s_cbranch_execz .LBB57_45
; %bb.53:                               ;   in Loop: Header=BB57_47 Depth=3
	v_cmp_ne_u32_e64 s17, 1, v33
	s_and_not1_b32 vcc_lo, exec_lo, s28
	s_cbranch_vccnz .LBB57_58
; %bb.54:                               ;   in Loop: Header=BB57_47 Depth=3
	v_dual_mov_b32 v40, 0 :: v_dual_mov_b32 v41, 0
	s_delay_alu instid0(VALU_DEP_2)
	s_and_b32 vcc_lo, exec_lo, s17
	s_mov_b32 s17, 0
	s_cbranch_vccnz .LBB57_57
; %bb.55:                               ;   in Loop: Header=BB57_47 Depth=3
	v_dual_mov_b32 v40, 0 :: v_dual_mov_b32 v41, 0
	v_mov_b32_e32 v12, v38
	v_mov_b32_e32 v42, v0
	s_mov_b32 s69, s30
	.p2align	6
.LBB57_56:                              ;   Parent Loop BB57_20 Depth=1
                                        ;     Parent Loop BB57_33 Depth=2
                                        ;       Parent Loop BB57_47 Depth=3
                                        ; =>      This Inner Loop Header: Depth=4
	s_delay_alu instid0(VALU_DEP_2)
	v_ashrrev_i32_e32 v13, 31, v12
	ds_load_b64 v[45:46], v42
	s_add_i32 s69, s69, -1
	v_add_nc_u32_e32 v42, 32, v42
	s_cmp_lg_u32 s69, 0
	v_lshlrev_b64 v[43:44], 3, v[12:13]
	v_add_nc_u32_e32 v12, 1, v12
	s_delay_alu instid0(VALU_DEP_2) | instskip(NEXT) | instid1(VALU_DEP_3)
	v_add_co_u32 v43, vcc_lo, s46, v43
	v_add_co_ci_u32_e32 v44, vcc_lo, s47, v44, vcc_lo
	global_load_b64 v[43:44], v[43:44], off
	s_waitcnt vmcnt(0) lgkmcnt(0)
	v_fmac_f32_e32 v40, v45, v43
	v_fmac_f32_e32 v41, v46, v43
	s_delay_alu instid0(VALU_DEP_2) | instskip(NEXT) | instid1(VALU_DEP_2)
	v_fma_f32 v40, -v46, v44, v40
	v_fmac_f32_e32 v41, v45, v44
	s_cbranch_scc1 .LBB57_56
.LBB57_57:                              ;   in Loop: Header=BB57_47 Depth=3
	s_and_not1_b32 vcc_lo, exec_lo, s17
	s_cbranch_vccnz .LBB57_44
	s_branch .LBB57_59
.LBB57_58:                              ;   in Loop: Header=BB57_47 Depth=3
                                        ; implicit-def: $vgpr40
                                        ; implicit-def: $vgpr41
.LBB57_59:                              ;   in Loop: Header=BB57_47 Depth=3
	v_dual_mov_b32 v40, 0 :: v_dual_mov_b32 v41, 0
	s_and_not1_b32 vcc_lo, exec_lo, s40
	s_cbranch_vccnz .LBB57_44
; %bb.60:                               ;   in Loop: Header=BB57_47 Depth=3
	v_dual_mov_b32 v40, 0 :: v_dual_mov_b32 v41, 0
	v_mov_b32_e32 v42, v28
	v_mov_b32_e32 v12, v10
	s_mov_b32 s17, s30
	.p2align	6
.LBB57_61:                              ;   Parent Loop BB57_20 Depth=1
                                        ;     Parent Loop BB57_33 Depth=2
                                        ;       Parent Loop BB57_47 Depth=3
                                        ; =>      This Inner Loop Header: Depth=4
	s_delay_alu instid0(VALU_DEP_1)
	v_ashrrev_i32_e32 v13, 31, v12
	ds_load_b64 v[45:46], v42
	s_add_i32 s17, s17, -1
	v_add_nc_u32_e32 v42, 8, v42
	s_cmp_eq_u32 s17, 0
	v_lshlrev_b64 v[43:44], 3, v[12:13]
	v_add_nc_u32_e32 v12, s30, v12
	s_delay_alu instid0(VALU_DEP_2) | instskip(NEXT) | instid1(VALU_DEP_3)
	v_add_co_u32 v43, vcc_lo, s46, v43
	v_add_co_ci_u32_e32 v44, vcc_lo, s47, v44, vcc_lo
	global_load_b64 v[43:44], v[43:44], off
	s_waitcnt vmcnt(0) lgkmcnt(0)
	v_fmac_f32_e32 v40, v45, v43
	v_fmac_f32_e32 v41, v46, v43
	s_delay_alu instid0(VALU_DEP_2) | instskip(NEXT) | instid1(VALU_DEP_2)
	v_fma_f32 v40, -v46, v44, v40
	v_fmac_f32_e32 v41, v45, v44
	s_cbranch_scc0 .LBB57_61
	s_branch .LBB57_44
.LBB57_62:                              ;   in Loop: Header=BB57_33 Depth=2
	s_or_b32 exec_lo, exec_lo, s65
.LBB57_63:                              ;   in Loop: Header=BB57_33 Depth=2
	s_delay_alu instid0(SALU_CYCLE_1)
	s_or_b32 exec_lo, exec_lo, s64
.LBB57_64:                              ;   in Loop: Header=BB57_33 Depth=2
	s_delay_alu instid0(SALU_CYCLE_1)
	s_or_b32 exec_lo, exec_lo, s63
	s_waitcnt lgkmcnt(0)
	s_barrier
	buffer_gl0_inv
	s_and_saveexec_b32 s17, s16
	s_cbranch_execz .LBB57_32
; %bb.65:                               ;   in Loop: Header=BB57_33 Depth=2
	v_ashrrev_i32_e32 v10, 31, v9
	s_delay_alu instid0(VALU_DEP_1) | instskip(NEXT) | instid1(VALU_DEP_1)
	v_lshlrev_b64 v[9:10], 2, v[9:10]
	v_add_co_u32 v9, vcc_lo, s22, v9
	s_delay_alu instid0(VALU_DEP_2)
	v_add_co_ci_u32_e32 v10, vcc_lo, s23, v10, vcc_lo
	global_store_b32 v[9:10], v6, off
	s_branch .LBB57_32
.LBB57_66:                              ;   in Loop: Header=BB57_33 Depth=2
                                        ; implicit-def: $vgpr6
	s_branch .LBB57_41
.LBB57_67:                              ;   in Loop: Header=BB57_20 Depth=1
	s_and_not1_b32 vcc_lo, exec_lo, s18
	s_cbranch_vccnz .LBB57_79
; %bb.68:                               ;   in Loop: Header=BB57_20 Depth=1
	s_load_b64 s[16:17], s[34:35], 0x0
	s_waitcnt lgkmcnt(0)
	v_add_nc_u32_e32 v9, s16, v19
	s_sub_i32 s62, s17, s27
	s_mov_b32 s17, exec_lo
	s_delay_alu instid0(VALU_DEP_1)
	v_cmpx_gt_i32_e64 s62, v9
	s_cbranch_execz .LBB57_78
; %bb.69:                               ;   in Loop: Header=BB57_20 Depth=1
	v_mad_u64_u32 v[10:11], null, s30, v9, v[3:4]
	s_mov_b32 s63, 0
	s_delay_alu instid0(VALU_DEP_1)
	v_mad_u64_u32 v[11:12], null, s30, v10, v[4:5]
	s_branch .LBB57_72
.LBB57_70:                              ;   in Loop: Header=BB57_72 Depth=2
	s_or_b32 exec_lo, exec_lo, s64
	s_delay_alu instid0(SALU_CYCLE_1)
	s_or_b32 s15, s15, exec_lo
.LBB57_71:                              ;   in Loop: Header=BB57_72 Depth=2
	s_or_b32 exec_lo, exec_lo, s16
	v_add_nc_u32_e32 v9, 16, v9
	s_xor_b32 s15, s15, -1
	v_add_nc_u32_e32 v11, s53, v11
	s_delay_alu instid0(VALU_DEP_2) | instskip(SKIP_1) | instid1(SALU_CYCLE_1)
	v_cmp_le_i32_e32 vcc_lo, s62, v9
	s_or_b32 s15, vcc_lo, s15
	s_and_b32 s15, exec_lo, s15
	s_delay_alu instid0(SALU_CYCLE_1) | instskip(NEXT) | instid1(SALU_CYCLE_1)
	s_or_b32 s63, s15, s63
	s_and_not1_b32 exec_lo, exec_lo, s63
	s_cbranch_execz .LBB57_77
.LBB57_72:                              ;   Parent Loop BB57_20 Depth=1
                                        ; =>  This Inner Loop Header: Depth=2
	v_ashrrev_i32_e32 v10, 31, v9
	s_delay_alu instid0(VALU_DEP_1) | instskip(NEXT) | instid1(VALU_DEP_1)
	v_lshlrev_b64 v[12:13], 2, v[9:10]
	v_add_co_u32 v12, vcc_lo, s36, v12
	s_delay_alu instid0(VALU_DEP_2) | instskip(SKIP_3) | instid1(VALU_DEP_1)
	v_add_co_ci_u32_e32 v13, vcc_lo, s37, v13, vcc_lo
	global_load_b32 v6, v[12:13], off
	s_waitcnt vmcnt(0)
	v_subrev_nc_u32_e32 v6, s27, v6
	v_cmp_lt_i32_e64 s15, v6, v34
	v_cmp_ge_i32_e64 s16, v6, v35
	v_cmp_lt_i32_e32 vcc_lo, v6, v35
	s_delay_alu instid0(VALU_DEP_2) | instskip(NEXT) | instid1(SALU_CYCLE_1)
	s_or_b32 s16, s15, s16
                                        ; implicit-def: $sgpr15
	s_and_saveexec_b32 s64, s16
	s_delay_alu instid0(SALU_CYCLE_1)
	s_xor_b32 s16, exec_lo, s64
; %bb.73:                               ;   in Loop: Header=BB57_72 Depth=2
	v_min_i32_e32 v6, v6, v36
	s_and_b32 s15, vcc_lo, exec_lo
	s_delay_alu instid0(VALU_DEP_1)
	v_cndmask_b32_e32 v36, v6, v36, vcc_lo
                                        ; implicit-def: $vgpr6
; %bb.74:                               ;   in Loop: Header=BB57_72 Depth=2
	s_and_not1_saveexec_b32 s16, s16
	s_cbranch_execz .LBB57_71
; %bb.75:                               ;   in Loop: Header=BB57_72 Depth=2
	v_sub_nc_u32_e32 v6, v6, v34
	s_delay_alu instid0(VALU_DEP_1)
	v_lshlrev_b32_e32 v10, 2, v6
	ds_store_b32 v10, v32 offset:18432
	s_and_saveexec_b32 s64, s3
	s_cbranch_execz .LBB57_70
; %bb.76:                               ;   in Loop: Header=BB57_72 Depth=2
	v_ashrrev_i32_e32 v12, 31, v11
	s_delay_alu instid0(VALU_DEP_1) | instskip(NEXT) | instid1(VALU_DEP_1)
	v_lshlrev_b64 v[12:13], 3, v[11:12]
	v_add_co_u32 v12, vcc_lo, s38, v12
	s_delay_alu instid0(VALU_DEP_2)
	v_add_co_ci_u32_e32 v13, vcc_lo, s39, v13, vcc_lo
	global_load_b64 v[12:13], v[12:13], off
	v_lshlrev_b32_e32 v6, 4, v6
	s_waitcnt vmcnt(0)
	v_mul_f32_e64 v10, v13, -s61
	v_mul_f32_e32 v13, s60, v13
	s_delay_alu instid0(VALU_DEP_3) | instskip(NEXT) | instid1(VALU_DEP_3)
	v_or3_b32 v6, v6, v16, v1
	v_fmac_f32_e32 v10, s60, v12
	s_delay_alu instid0(VALU_DEP_2)
	v_dual_fmac_f32 v13, s61, v12 :: v_dual_lshlrev_b32 v6, 3, v6
	ds_add_f32 v6, v10
	ds_add_f32 v6, v13 offset:4
	s_branch .LBB57_70
.LBB57_77:                              ;   in Loop: Header=BB57_20 Depth=1
	s_or_b32 exec_lo, exec_lo, s63
.LBB57_78:                              ;   in Loop: Header=BB57_20 Depth=1
	s_delay_alu instid0(SALU_CYCLE_1)
	s_or_b32 exec_lo, exec_lo, s17
.LBB57_79:                              ;   in Loop: Header=BB57_20 Depth=1
	s_and_saveexec_b32 s15, s2
	s_cbranch_execz .LBB57_84
; %bb.80:                               ;   in Loop: Header=BB57_20 Depth=1
	s_mov_b32 s17, exec_lo
	s_brev_b32 s16, -2
.LBB57_81:                              ;   Parent Loop BB57_20 Depth=1
                                        ; =>  This Inner Loop Header: Depth=2
	s_ctz_i32_b32 s62, s17
	s_delay_alu instid0(SALU_CYCLE_1) | instskip(SKIP_1) | instid1(SALU_CYCLE_1)
	v_readlane_b32 s63, v36, s62
	s_lshl_b32 s62, 1, s62
	s_and_not1_b32 s17, s17, s62
	s_delay_alu instid0(VALU_DEP_1)
	s_min_i32 s16, s16, s63
	s_cmp_lg_u32 s17, 0
	s_cbranch_scc1 .LBB57_81
; %bb.82:                               ;   in Loop: Header=BB57_20 Depth=1
	v_mbcnt_lo_u32_b32 v6, exec_lo, 0
	s_mov_b32 s17, exec_lo
	s_delay_alu instid0(VALU_DEP_1)
	v_cmpx_eq_u32_e32 0, v6
	s_xor_b32 s17, exec_lo, s17
	s_cbranch_execz .LBB57_84
; %bb.83:                               ;   in Loop: Header=BB57_20 Depth=1
	v_mov_b32_e32 v6, s16
	ds_min_i32 v31, v6 offset:18944
.LBB57_84:                              ;   in Loop: Header=BB57_20 Depth=1
	s_or_b32 exec_lo, exec_lo, s15
	s_waitcnt lgkmcnt(0)
	s_waitcnt_vscnt null, 0x0
	s_barrier
	buffer_gl0_inv
	ds_load_b32 v6, v20
	s_waitcnt lgkmcnt(0)
	s_barrier
	buffer_gl0_inv
	s_and_saveexec_b32 s15, s5
	s_cbranch_execz .LBB57_86
; %bb.85:                               ;   in Loop: Header=BB57_20 Depth=1
	ds_load_b32 v9, v21
	s_waitcnt lgkmcnt(0)
	v_add_nc_u32_e32 v6, v9, v6
.LBB57_86:                              ;   in Loop: Header=BB57_20 Depth=1
	s_or_b32 exec_lo, exec_lo, s15
	s_barrier
	buffer_gl0_inv
	ds_store_b32 v20, v6
	s_waitcnt lgkmcnt(0)
	s_barrier
	buffer_gl0_inv
	s_and_saveexec_b32 s15, s6
	s_cbranch_execz .LBB57_88
; %bb.87:                               ;   in Loop: Header=BB57_20 Depth=1
	ds_load_b32 v9, v22
	s_waitcnt lgkmcnt(0)
	v_add_nc_u32_e32 v6, v9, v6
.LBB57_88:                              ;   in Loop: Header=BB57_20 Depth=1
	s_or_b32 exec_lo, exec_lo, s15
	s_barrier
	buffer_gl0_inv
	ds_store_b32 v20, v6
	;; [unrolled: 14-line block ×7, first 2 shown]
	s_waitcnt lgkmcnt(0)
	s_barrier
	buffer_gl0_inv
	ds_load_b32 v11, v31 offset:18940
	v_mov_b32_e32 v9, 0
	s_and_saveexec_b32 s15, s31
	s_cbranch_execz .LBB57_100
; %bb.99:                               ;   in Loop: Header=BB57_20 Depth=1
	ds_load_b32 v9, v21
.LBB57_100:                             ;   in Loop: Header=BB57_20 Depth=1
	s_or_b32 exec_lo, exec_lo, s15
	s_waitcnt lgkmcnt(0)
	v_cmp_eq_u32_e32 vcc_lo, v6, v9
	s_barrier
	buffer_gl0_inv
	s_and_b32 s16, s31, vcc_lo
	s_delay_alu instid0(SALU_CYCLE_1)
	s_and_saveexec_b32 s15, s16
	s_cbranch_execz .LBB57_102
; %bb.101:                              ;   in Loop: Header=BB57_20 Depth=1
	ds_store_b32 v20, v31
.LBB57_102:                             ;   in Loop: Header=BB57_20 Depth=1
	s_or_b32 exec_lo, exec_lo, s15
	v_dual_mov_b32 v13, v29 :: v_dual_add_nc_u32 v6, -1, v30
	v_dual_mov_b32 v35, v14 :: v_dual_add_nc_u32 v12, s26, v34
	v_mov_b32_e32 v34, v15
	s_mov_b32 s15, 0
	s_waitcnt lgkmcnt(0)
	s_barrier
	buffer_gl0_inv
	s_set_inst_prefetch_distance 0x1
	s_branch .LBB57_104
	.p2align	6
.LBB57_103:                             ;   in Loop: Header=BB57_104 Depth=2
	s_or_b32 exec_lo, exec_lo, s16
	v_add_nc_u32_e32 v9, 16, v35
	v_cmp_lt_u32_e32 vcc_lo, 0x6f, v35
	v_add_nc_u32_e32 v34, 0x800, v34
	v_add_nc_u32_e32 v13, 64, v13
	s_delay_alu instid0(VALU_DEP_4) | instskip(SKIP_1) | instid1(SALU_CYCLE_1)
	v_mov_b32_e32 v35, v9
	s_or_b32 s15, vcc_lo, s15
	s_and_not1_b32 exec_lo, exec_lo, s15
	s_cbranch_execz .LBB57_19
.LBB57_104:                             ;   Parent Loop BB57_20 Depth=1
                                        ; =>  This Inner Loop Header: Depth=2
	ds_load_b32 v9, v13
	s_mov_b32 s16, exec_lo
	s_waitcnt lgkmcnt(0)
	v_cmpx_ne_u32_e32 0, v9
	s_cbranch_execz .LBB57_103
; %bb.105:                              ;   in Loop: Header=BB57_104 Depth=2
	v_add_nc_u32_e32 v9, v6, v9
	s_delay_alu instid0(VALU_DEP_1) | instskip(NEXT) | instid1(VALU_DEP_1)
	v_ashrrev_i32_e32 v10, 31, v9
	v_lshlrev_b64 v[36:37], 2, v[9:10]
	v_add_nc_u32_e32 v10, v12, v35
	s_delay_alu instid0(VALU_DEP_2) | instskip(NEXT) | instid1(VALU_DEP_3)
	v_add_co_u32 v36, vcc_lo, s42, v36
	v_add_co_ci_u32_e32 v37, vcc_lo, s43, v37, vcc_lo
	global_store_b32 v[36:37], v10, off
	s_and_b32 exec_lo, exec_lo, s3
	s_cbranch_execz .LBB57_103
; %bb.106:                              ;   in Loop: Header=BB57_104 Depth=2
	v_mad_u64_u32 v[36:37], null, v9, s30, v[3:4]
	s_delay_alu instid0(VALU_DEP_1) | instskip(SKIP_2) | instid1(VALU_DEP_1)
	v_mad_u64_u32 v[9:10], null, v36, s30, v[4:5]
	ds_load_b64 v[36:37], v34
	v_ashrrev_i32_e32 v10, 31, v9
	v_lshlrev_b64 v[9:10], 3, v[9:10]
	s_delay_alu instid0(VALU_DEP_1) | instskip(NEXT) | instid1(VALU_DEP_2)
	v_add_co_u32 v9, vcc_lo, s20, v9
	v_add_co_ci_u32_e32 v10, vcc_lo, s21, v10, vcc_lo
	s_waitcnt lgkmcnt(0)
	global_store_b64 v[9:10], v[36:37], off
	s_branch .LBB57_103
.LBB57_107:
	s_endpgm
	.section	.rodata,"a",@progbits
	.p2align	6, 0x0
	.amdhsa_kernel _ZN9rocsparseL38bsrgemm_block_per_row_atomic_multipassILj256ELj128ELj4Eii21rocsparse_complex_numIfEEEv20rocsparse_direction_T3_S4_PKS4_S6_NS_24const_host_device_scalarIT4_EEPKT2_S6_PKS8_SC_S6_SE_S9_SC_S6_SE_SC_PS4_PS8_PSA_21rocsparse_index_base_SI_SI_SI_bbb
		.amdhsa_group_segment_fixed_size 18948
		.amdhsa_private_segment_fixed_size 0
		.amdhsa_kernarg_size 172
		.amdhsa_user_sgpr_count 15
		.amdhsa_user_sgpr_dispatch_ptr 0
		.amdhsa_user_sgpr_queue_ptr 0
		.amdhsa_user_sgpr_kernarg_segment_ptr 1
		.amdhsa_user_sgpr_dispatch_id 0
		.amdhsa_user_sgpr_private_segment_size 0
		.amdhsa_wavefront_size32 1
		.amdhsa_uses_dynamic_stack 0
		.amdhsa_enable_private_segment 0
		.amdhsa_system_sgpr_workgroup_id_x 1
		.amdhsa_system_sgpr_workgroup_id_y 0
		.amdhsa_system_sgpr_workgroup_id_z 0
		.amdhsa_system_sgpr_workgroup_info 0
		.amdhsa_system_vgpr_workitem_id 0
		.amdhsa_next_free_vgpr 47
		.amdhsa_next_free_sgpr 70
		.amdhsa_reserve_vcc 1
		.amdhsa_float_round_mode_32 0
		.amdhsa_float_round_mode_16_64 0
		.amdhsa_float_denorm_mode_32 3
		.amdhsa_float_denorm_mode_16_64 3
		.amdhsa_dx10_clamp 1
		.amdhsa_ieee_mode 1
		.amdhsa_fp16_overflow 0
		.amdhsa_workgroup_processor_mode 1
		.amdhsa_memory_ordered 1
		.amdhsa_forward_progress 0
		.amdhsa_shared_vgpr_count 0
		.amdhsa_exception_fp_ieee_invalid_op 0
		.amdhsa_exception_fp_denorm_src 0
		.amdhsa_exception_fp_ieee_div_zero 0
		.amdhsa_exception_fp_ieee_overflow 0
		.amdhsa_exception_fp_ieee_underflow 0
		.amdhsa_exception_fp_ieee_inexact 0
		.amdhsa_exception_int_div_zero 0
	.end_amdhsa_kernel
	.section	.text._ZN9rocsparseL38bsrgemm_block_per_row_atomic_multipassILj256ELj128ELj4Eii21rocsparse_complex_numIfEEEv20rocsparse_direction_T3_S4_PKS4_S6_NS_24const_host_device_scalarIT4_EEPKT2_S6_PKS8_SC_S6_SE_S9_SC_S6_SE_SC_PS4_PS8_PSA_21rocsparse_index_base_SI_SI_SI_bbb,"axG",@progbits,_ZN9rocsparseL38bsrgemm_block_per_row_atomic_multipassILj256ELj128ELj4Eii21rocsparse_complex_numIfEEEv20rocsparse_direction_T3_S4_PKS4_S6_NS_24const_host_device_scalarIT4_EEPKT2_S6_PKS8_SC_S6_SE_S9_SC_S6_SE_SC_PS4_PS8_PSA_21rocsparse_index_base_SI_SI_SI_bbb,comdat
.Lfunc_end57:
	.size	_ZN9rocsparseL38bsrgemm_block_per_row_atomic_multipassILj256ELj128ELj4Eii21rocsparse_complex_numIfEEEv20rocsparse_direction_T3_S4_PKS4_S6_NS_24const_host_device_scalarIT4_EEPKT2_S6_PKS8_SC_S6_SE_S9_SC_S6_SE_SC_PS4_PS8_PSA_21rocsparse_index_base_SI_SI_SI_bbb, .Lfunc_end57-_ZN9rocsparseL38bsrgemm_block_per_row_atomic_multipassILj256ELj128ELj4Eii21rocsparse_complex_numIfEEEv20rocsparse_direction_T3_S4_PKS4_S6_NS_24const_host_device_scalarIT4_EEPKT2_S6_PKS8_SC_S6_SE_S9_SC_S6_SE_SC_PS4_PS8_PSA_21rocsparse_index_base_SI_SI_SI_bbb
                                        ; -- End function
	.section	.AMDGPU.csdata,"",@progbits
; Kernel info:
; codeLenInByte = 3652
; NumSgprs: 72
; NumVgprs: 47
; ScratchSize: 0
; MemoryBound: 0
; FloatMode: 240
; IeeeMode: 1
; LDSByteSize: 18948 bytes/workgroup (compile time only)
; SGPRBlocks: 8
; VGPRBlocks: 5
; NumSGPRsForWavesPerEU: 72
; NumVGPRsForWavesPerEU: 47
; Occupancy: 12
; WaveLimiterHint : 1
; COMPUTE_PGM_RSRC2:SCRATCH_EN: 0
; COMPUTE_PGM_RSRC2:USER_SGPR: 15
; COMPUTE_PGM_RSRC2:TRAP_HANDLER: 0
; COMPUTE_PGM_RSRC2:TGID_X_EN: 1
; COMPUTE_PGM_RSRC2:TGID_Y_EN: 0
; COMPUTE_PGM_RSRC2:TGID_Z_EN: 0
; COMPUTE_PGM_RSRC2:TIDIG_COMP_CNT: 0
	.section	.text._ZN9rocsparseL23bsrgemm_fill_wf_per_rowILj256ELj64ELj8ELj137ELj8Eii21rocsparse_complex_numIfEEEv20rocsparse_direction_T5_S4_S4_PKS4_S6_NS_24const_host_device_scalarIT6_EEPKT4_S6_PKS8_SC_S6_SE_S9_SC_S6_SE_SC_PS4_PS8_21rocsparse_index_base_SH_SH_SH_bbb,"axG",@progbits,_ZN9rocsparseL23bsrgemm_fill_wf_per_rowILj256ELj64ELj8ELj137ELj8Eii21rocsparse_complex_numIfEEEv20rocsparse_direction_T5_S4_S4_PKS4_S6_NS_24const_host_device_scalarIT6_EEPKT4_S6_PKS8_SC_S6_SE_S9_SC_S6_SE_SC_PS4_PS8_21rocsparse_index_base_SH_SH_SH_bbb,comdat
	.globl	_ZN9rocsparseL23bsrgemm_fill_wf_per_rowILj256ELj64ELj8ELj137ELj8Eii21rocsparse_complex_numIfEEEv20rocsparse_direction_T5_S4_S4_PKS4_S6_NS_24const_host_device_scalarIT6_EEPKT4_S6_PKS8_SC_S6_SE_S9_SC_S6_SE_SC_PS4_PS8_21rocsparse_index_base_SH_SH_SH_bbb ; -- Begin function _ZN9rocsparseL23bsrgemm_fill_wf_per_rowILj256ELj64ELj8ELj137ELj8Eii21rocsparse_complex_numIfEEEv20rocsparse_direction_T5_S4_S4_PKS4_S6_NS_24const_host_device_scalarIT6_EEPKT4_S6_PKS8_SC_S6_SE_S9_SC_S6_SE_SC_PS4_PS8_21rocsparse_index_base_SH_SH_SH_bbb
	.p2align	8
	.type	_ZN9rocsparseL23bsrgemm_fill_wf_per_rowILj256ELj64ELj8ELj137ELj8Eii21rocsparse_complex_numIfEEEv20rocsparse_direction_T5_S4_S4_PKS4_S6_NS_24const_host_device_scalarIT6_EEPKT4_S6_PKS8_SC_S6_SE_S9_SC_S6_SE_SC_PS4_PS8_21rocsparse_index_base_SH_SH_SH_bbb,@function
_ZN9rocsparseL23bsrgemm_fill_wf_per_rowILj256ELj64ELj8ELj137ELj8Eii21rocsparse_complex_numIfEEEv20rocsparse_direction_T5_S4_S4_PKS4_S6_NS_24const_host_device_scalarIT6_EEPKT4_S6_PKS8_SC_S6_SE_S9_SC_S6_SE_SC_PS4_PS8_21rocsparse_index_base_SH_SH_SH_bbb: ; @_ZN9rocsparseL23bsrgemm_fill_wf_per_rowILj256ELj64ELj8ELj137ELj8Eii21rocsparse_complex_numIfEEEv20rocsparse_direction_T5_S4_S4_PKS4_S6_NS_24const_host_device_scalarIT6_EEPKT4_S6_PKS8_SC_S6_SE_S9_SC_S6_SE_SC_PS4_PS8_21rocsparse_index_base_SH_SH_SH_bbb
; %bb.0:
	s_clause 0x6
	s_load_b32 s14, s[0:1], 0xa0
	s_load_b256 s[4:11], s[0:1], 0x68
	s_load_b256 s[16:23], s[0:1], 0x48
	s_load_b128 s[44:47], s[0:1], 0x10
	s_load_b256 s[24:31], s[0:1], 0x28
	s_load_b64 s[2:3], s[0:1], 0x88
	s_load_b128 s[36:39], s[0:1], 0x90
	s_mov_b32 s13, 0
	s_mov_b32 s33, 0
	s_waitcnt lgkmcnt(0)
	s_bitcmp1_b32 s14, 0
	s_cselect_b32 s35, -1, 0
	s_bitcmp1_b32 s14, 16
	s_cselect_b32 s12, -1, 0
	s_delay_alu instid0(SALU_CYCLE_1) | instskip(SKIP_2) | instid1(VALU_DEP_1)
	s_xor_b32 s34, s12, -1
	s_bitcmp0_b32 s14, 0
	v_cndmask_b32_e64 v1, 0, 1, s34
	v_cmp_ne_u32_e32 vcc_lo, 1, v1
	s_cbranch_scc1 .LBB58_5
; %bb.1:
	s_load_b64 s[12:13], s[0:1], 0x20
	s_and_b32 vcc_lo, exec_lo, vcc_lo
	s_waitcnt lgkmcnt(0)
	s_mov_b32 s33, s12
	s_cbranch_vccnz .LBB58_3
; %bb.2:
	s_load_b32 s33, s[12:13], 0x0
.LBB58_3:
	s_and_not1_b32 vcc_lo, exec_lo, s34
	s_cbranch_vccnz .LBB58_5
; %bb.4:
	s_load_b32 s13, s[12:13], 0x4
.LBB58_5:
	s_bitcmp1_b32 s14, 8
	s_cselect_b32 s34, -1, 0
	s_bfe_u32 s12, s14, 0x10008
	s_mov_b32 s14, 0
	s_cmp_eq_u32 s12, 0
	s_mov_b32 s12, 0
	s_cbranch_scc1 .LBB58_11
; %bb.6:
	v_cmp_ne_u32_e32 vcc_lo, 1, v1
	s_mov_b32 s12, s20
	s_cbranch_vccnz .LBB58_8
; %bb.7:
	s_load_b32 s12, s[20:21], 0x0
.LBB58_8:
	v_cmp_ne_u32_e32 vcc_lo, 1, v1
	s_cbranch_vccnz .LBB58_10
; %bb.9:
	s_load_b32 s21, s[20:21], 0x4
.LBB58_10:
	s_waitcnt lgkmcnt(0)
	s_mov_b32 s14, s21
.LBB58_11:
	s_load_b128 s[40:43], s[0:1], 0x0
	v_lshrrev_b32_e32 v4, 6, v0
	v_and_b32_e32 v3, 63, v0
	s_mov_b32 s0, exec_lo
	s_delay_alu instid0(VALU_DEP_2) | instskip(NEXT) | instid1(VALU_DEP_2)
	v_lshl_or_b32 v22, v4, 5, 0x4000
	v_cmpx_gt_u32_e32 8, v3
	s_cbranch_execz .LBB58_13
; %bb.12:
	s_delay_alu instid0(VALU_DEP_2)
	v_lshl_add_u32 v1, v3, 2, v22
	s_waitcnt lgkmcnt(0)
	v_mov_b32_e32 v2, s42
	ds_store_b32 v1, v2
.LBB58_13:
	s_or_b32 exec_lo, exec_lo, s0
	v_mov_b32_e32 v1, 0
	v_lshlrev_b32_e32 v23, 3, v3
	v_or_b32_e32 v5, 0xffffffc0, v3
	s_mov_b32 s0, 0
	s_delay_alu instid0(VALU_DEP_3) | instskip(NEXT) | instid1(VALU_DEP_3)
	v_mov_b32_e32 v2, v1
	v_lshl_or_b32 v6, v4, 12, v23
.LBB58_14:                              ; =>This Inner Loop Header: Depth=1
	s_delay_alu instid0(VALU_DEP_3) | instskip(SKIP_4) | instid1(SALU_CYCLE_1)
	v_add_nc_u32_e32 v5, 64, v5
	ds_store_b64 v6, v[1:2]
	v_add_nc_u32_e32 v6, 0x200, v6
	v_cmp_lt_u32_e32 vcc_lo, 0x1bf, v5
	s_or_b32 s0, vcc_lo, s0
	s_and_not1_b32 exec_lo, exec_lo, s0
	s_cbranch_execnz .LBB58_14
; %bb.15:
	s_or_b32 exec_lo, exec_lo, s0
	v_lshl_or_b32 v1, s15, 2, v4
	s_waitcnt lgkmcnt(0)
	s_barrier
	buffer_gl0_inv
	s_mov_b32 s0, exec_lo
	v_cmpx_gt_i32_e64 s41, v1
	s_cbranch_execz .LBB58_90
; %bb.16:
	s_cmp_eq_u64 s[46:47], 0
	s_cbranch_scc1 .LBB58_18
; %bb.17:
	s_load_b32 s0, s[44:45], 0x0
	s_waitcnt lgkmcnt(0)
	v_add_nc_u32_e32 v1, s0, v1
	s_delay_alu instid0(VALU_DEP_1) | instskip(NEXT) | instid1(VALU_DEP_1)
	v_ashrrev_i32_e32 v2, 31, v1
	v_lshlrev_b64 v[1:2], 2, v[1:2]
	s_delay_alu instid0(VALU_DEP_1) | instskip(NEXT) | instid1(VALU_DEP_2)
	v_add_co_u32 v1, vcc_lo, s46, v1
	v_add_co_ci_u32_e32 v2, vcc_lo, s47, v2, vcc_lo
	global_load_b32 v1, v[1:2], off
.LBB58_18:
	s_waitcnt vmcnt(0)
	v_ashrrev_i32_e32 v2, 31, v1
	v_lshlrev_b32_e32 v4, 6, v0
	v_and_b32_e32 v9, 7, v0
	v_lshrrev_b32_e32 v10, 3, v3
	s_and_not1_b32 vcc_lo, exec_lo, s35
	v_lshlrev_b64 v[1:2], 2, v[1:2]
	v_and_b32_e32 v21, 0x3000, v4
	s_cbranch_vccnz .LBB58_48
; %bb.19:
	s_delay_alu instid0(VALU_DEP_2) | instskip(NEXT) | instid1(VALU_DEP_3)
	v_add_co_u32 v3, vcc_lo, s24, v1
	v_add_co_ci_u32_e32 v4, vcc_lo, s25, v2, vcc_lo
	s_mov_b32 s15, exec_lo
	global_load_b64 v[3:4], v[3:4], off
	s_waitcnt vmcnt(0)
	v_cmpx_lt_i32_e64 v3, v4
	s_cbranch_execz .LBB58_47
; %bb.20:
	v_max_i32_e32 v5, v9, v10
	v_subrev_nc_u32_e32 v3, s36, v3
	v_subrev_nc_u32_e32 v24, s36, v4
	s_cmp_lg_u32 s40, 0
	s_mul_i32 s25, s43, s43
	v_cmp_gt_i32_e64 s0, s43, v5
	v_mad_u64_u32 v[4:5], null, s43, v3, v[10:11]
	s_cselect_b32 s20, -1, 0
	s_cmp_gt_i32 s43, 0
	v_mad_u64_u32 v[5:6], null, s25, v3, v[10:11]
	s_cselect_b32 s24, -1, 0
	s_add_u32 s35, s18, 4
	s_delay_alu instid0(VALU_DEP_2)
	v_mul_lo_u32 v6, s43, v4
	v_cndmask_b32_e64 v25, 0, 1, s24
	s_addc_u32 s41, s19, 0
	s_add_u32 s44, s28, 4
	s_mov_b32 s21, 0
	s_addc_u32 s45, s29, 0
	s_branch .LBB58_22
.LBB58_21:                              ;   in Loop: Header=BB58_22 Depth=1
	s_or_b32 exec_lo, exec_lo, s46
	v_add_nc_u32_e32 v3, 1, v3
	v_add_nc_u32_e32 v5, s25, v5
	;; [unrolled: 1-line block ×3, first 2 shown]
	s_delay_alu instid0(VALU_DEP_3) | instskip(SKIP_1) | instid1(SALU_CYCLE_1)
	v_cmp_ge_i32_e32 vcc_lo, v3, v24
	s_or_b32 s21, vcc_lo, s21
	s_and_not1_b32 exec_lo, exec_lo, s21
	s_cbranch_execz .LBB58_47
.LBB58_22:                              ; =>This Loop Header: Depth=1
                                        ;     Child Loop BB58_25 Depth 2
                                        ;       Child Loop BB58_29 Depth 3
                                        ;       Child Loop BB58_34 Depth 3
	;; [unrolled: 1-line block ×3, first 2 shown]
	v_ashrrev_i32_e32 v4, 31, v3
	s_mov_b32 s46, exec_lo
	s_delay_alu instid0(VALU_DEP_1) | instskip(NEXT) | instid1(VALU_DEP_1)
	v_lshlrev_b64 v[7:8], 2, v[3:4]
	v_add_co_u32 v7, vcc_lo, s26, v7
	s_delay_alu instid0(VALU_DEP_2) | instskip(SKIP_3) | instid1(VALU_DEP_1)
	v_add_co_ci_u32_e32 v8, vcc_lo, s27, v8, vcc_lo
	global_load_b32 v4, v[7:8], off
	s_waitcnt vmcnt(0)
	v_subrev_nc_u32_e32 v7, s36, v4
	v_ashrrev_i32_e32 v8, 31, v7
	s_delay_alu instid0(VALU_DEP_1) | instskip(NEXT) | instid1(VALU_DEP_1)
	v_lshlrev_b64 v[7:8], 2, v[7:8]
	v_add_co_u32 v7, vcc_lo, s30, v7
	s_delay_alu instid0(VALU_DEP_2)
	v_add_co_ci_u32_e32 v8, vcc_lo, s31, v8, vcc_lo
	global_load_b64 v[11:12], v[7:8], off
	s_waitcnt vmcnt(0)
	v_cmpx_lt_i32_e64 v11, v12
	s_cbranch_execz .LBB58_21
; %bb.23:                               ;   in Loop: Header=BB58_22 Depth=1
	v_subrev_nc_u32_e32 v11, s37, v11
	v_ashrrev_i32_e32 v7, 31, v6
	v_subrev_nc_u32_e32 v4, s37, v12
	s_mov_b32 s47, 0
	s_delay_alu instid0(VALU_DEP_3) | instskip(NEXT) | instid1(VALU_DEP_3)
	v_mad_u64_u32 v[13:14], null, s43, v11, v[9:10]
	v_lshlrev_b64 v[15:16], 3, v[6:7]
	v_mad_u64_u32 v[7:8], null, s25, v11, v[9:10]
	s_delay_alu instid0(VALU_DEP_2) | instskip(NEXT) | instid1(VALU_DEP_4)
	v_add_co_u32 v15, vcc_lo, s44, v15
	v_mul_lo_u32 v13, s43, v13
	s_delay_alu instid0(VALU_DEP_4)
	v_add_co_ci_u32_e32 v16, vcc_lo, s45, v16, vcc_lo
	s_branch .LBB58_25
.LBB58_24:                              ;   in Loop: Header=BB58_25 Depth=2
	s_or_b32 exec_lo, exec_lo, s48
	v_add_nc_u32_e32 v11, 1, v11
	s_delay_alu instid0(VALU_DEP_3) | instskip(SKIP_1) | instid1(VALU_DEP_3)
	v_add_nc_u32_e32 v13, s25, v13
	v_add_nc_u32_e32 v7, s25, v7
	v_cmp_ge_i32_e32 vcc_lo, v11, v4
	s_or_b32 s47, vcc_lo, s47
	s_delay_alu instid0(SALU_CYCLE_1)
	s_and_not1_b32 exec_lo, exec_lo, s47
	s_cbranch_execz .LBB58_21
.LBB58_25:                              ;   Parent Loop BB58_22 Depth=1
                                        ; =>  This Loop Header: Depth=2
                                        ;       Child Loop BB58_29 Depth 3
                                        ;       Child Loop BB58_34 Depth 3
	;; [unrolled: 1-line block ×3, first 2 shown]
	s_and_saveexec_b32 s48, s0
	s_cbranch_execz .LBB58_24
; %bb.26:                               ;   in Loop: Header=BB58_25 Depth=2
	v_ashrrev_i32_e32 v12, 31, v11
	v_cmp_ne_u32_e64 s1, 1, v25
	s_delay_alu instid0(VALU_DEP_2) | instskip(NEXT) | instid1(VALU_DEP_1)
	v_lshlrev_b64 v[17:18], 2, v[11:12]
	v_add_co_u32 v17, vcc_lo, s16, v17
	s_delay_alu instid0(VALU_DEP_2)
	v_add_co_ci_u32_e32 v18, vcc_lo, s17, v18, vcc_lo
	s_and_not1_b32 vcc_lo, exec_lo, s20
	global_load_b32 v8, v[17:18], off
	s_cbranch_vccnz .LBB58_31
; %bb.27:                               ;   in Loop: Header=BB58_25 Depth=2
	v_mov_b32_e32 v12, 0
	v_mov_b32_e32 v14, 0
	s_and_b32 vcc_lo, exec_lo, s1
	s_mov_b32 s1, 0
	s_cbranch_vccnz .LBB58_30
; %bb.28:                               ;   in Loop: Header=BB58_25 Depth=2
	v_ashrrev_i32_e32 v14, 31, v13
	v_dual_mov_b32 v12, 0 :: v_dual_mov_b32 v17, v5
	s_mov_b32 s49, s43
	s_delay_alu instid0(VALU_DEP_2) | instskip(SKIP_1) | instid1(VALU_DEP_2)
	v_lshlrev_b64 v[19:20], 3, v[13:14]
	v_mov_b32_e32 v14, 0
	v_add_co_u32 v19, vcc_lo, s35, v19
	s_delay_alu instid0(VALU_DEP_3)
	v_add_co_ci_u32_e32 v20, vcc_lo, s41, v20, vcc_lo
	.p2align	6
.LBB58_29:                              ;   Parent Loop BB58_22 Depth=1
                                        ;     Parent Loop BB58_25 Depth=2
                                        ; =>    This Inner Loop Header: Depth=3
	v_ashrrev_i32_e32 v18, 31, v17
	s_add_i32 s49, s49, -1
	s_delay_alu instid0(SALU_CYCLE_1) | instskip(NEXT) | instid1(VALU_DEP_1)
	s_cmp_lg_u32 s49, 0
	v_lshlrev_b64 v[26:27], 3, v[17:18]
	v_add_nc_u32_e32 v17, s43, v17
	s_delay_alu instid0(VALU_DEP_2) | instskip(NEXT) | instid1(VALU_DEP_3)
	v_add_co_u32 v26, vcc_lo, s28, v26
	v_add_co_ci_u32_e32 v27, vcc_lo, s29, v27, vcc_lo
	global_load_b64 v[28:29], v[19:20], off offset:-4
	global_load_b64 v[26:27], v[26:27], off
	v_add_co_u32 v19, vcc_lo, v19, 8
	v_add_co_ci_u32_e32 v20, vcc_lo, 0, v20, vcc_lo
	s_waitcnt vmcnt(0)
	v_fmac_f32_e32 v12, v26, v28
	v_fmac_f32_e32 v14, v27, v28
	s_delay_alu instid0(VALU_DEP_2) | instskip(NEXT) | instid1(VALU_DEP_2)
	v_fma_f32 v12, -v27, v29, v12
	v_fmac_f32_e32 v14, v26, v29
	s_cbranch_scc1 .LBB58_29
.LBB58_30:                              ;   in Loop: Header=BB58_25 Depth=2
	s_and_not1_b32 vcc_lo, exec_lo, s1
	s_cbranch_vccz .LBB58_32
	s_branch .LBB58_35
.LBB58_31:                              ;   in Loop: Header=BB58_25 Depth=2
                                        ; implicit-def: $vgpr12
                                        ; implicit-def: $vgpr14
.LBB58_32:                              ;   in Loop: Header=BB58_25 Depth=2
	v_mov_b32_e32 v12, 0
	v_mov_b32_e32 v14, 0
	s_and_not1_b32 vcc_lo, exec_lo, s24
	s_cbranch_vccnz .LBB58_35
; %bb.33:                               ;   in Loop: Header=BB58_25 Depth=2
	v_dual_mov_b32 v18, v16 :: v_dual_mov_b32 v19, v7
	v_dual_mov_b32 v12, 0 :: v_dual_mov_b32 v17, v15
	v_mov_b32_e32 v14, 0
	s_mov_b32 s1, s43
	.p2align	6
.LBB58_34:                              ;   Parent Loop BB58_22 Depth=1
                                        ;     Parent Loop BB58_25 Depth=2
                                        ; =>    This Inner Loop Header: Depth=3
	s_delay_alu instid0(VALU_DEP_3) | instskip(SKIP_1) | instid1(SALU_CYCLE_1)
	v_ashrrev_i32_e32 v20, 31, v19
	s_add_i32 s1, s1, -1
	s_cmp_eq_u32 s1, 0
	s_delay_alu instid0(VALU_DEP_1) | instskip(SKIP_1) | instid1(VALU_DEP_2)
	v_lshlrev_b64 v[26:27], 3, v[19:20]
	v_add_nc_u32_e32 v19, s43, v19
	v_add_co_u32 v26, vcc_lo, s18, v26
	s_delay_alu instid0(VALU_DEP_3)
	v_add_co_ci_u32_e32 v27, vcc_lo, s19, v27, vcc_lo
	global_load_b64 v[28:29], v[17:18], off offset:-4
	global_load_b64 v[26:27], v[26:27], off
	v_add_co_u32 v17, vcc_lo, v17, 8
	v_add_co_ci_u32_e32 v18, vcc_lo, 0, v18, vcc_lo
	s_waitcnt vmcnt(0)
	v_fmac_f32_e32 v12, v28, v26
	v_fmac_f32_e32 v14, v29, v26
	s_delay_alu instid0(VALU_DEP_2) | instskip(NEXT) | instid1(VALU_DEP_2)
	v_fma_f32 v12, -v29, v27, v12
	v_fmac_f32_e32 v14, v28, v27
	s_cbranch_scc0 .LBB58_34
.LBB58_35:                              ;   in Loop: Header=BB58_25 Depth=2
	s_delay_alu instid0(VALU_DEP_1)
	v_mul_f32_e64 v17, v14, -s13
	v_mul_f32_e32 v14, s33, v14
	s_waitcnt vmcnt(0)
	v_subrev_nc_u32_e32 v8, s37, v8
	s_mov_b32 s1, 0
	v_fmac_f32_e32 v17, s33, v12
	v_fmac_f32_e32 v14, s13, v12
	s_delay_alu instid0(VALU_DEP_3)
	v_and_b32_e32 v12, 7, v8
	s_branch .LBB58_37
.LBB58_36:                              ;   in Loop: Header=BB58_37 Depth=3
	s_or_b32 exec_lo, exec_lo, s49
	s_xor_b32 s49, s50, -1
	s_delay_alu instid0(SALU_CYCLE_1) | instskip(NEXT) | instid1(SALU_CYCLE_1)
	s_and_b32 s49, exec_lo, s49
	s_or_b32 s1, s49, s1
	s_delay_alu instid0(SALU_CYCLE_1)
	s_and_not1_b32 exec_lo, exec_lo, s1
	s_cbranch_execz .LBB58_24
.LBB58_37:                              ;   Parent Loop BB58_22 Depth=1
                                        ;     Parent Loop BB58_25 Depth=2
                                        ; =>    This Inner Loop Header: Depth=3
	s_delay_alu instid0(VALU_DEP_1)
	v_lshl_add_u32 v18, v12, 2, v22
	s_mov_b32 s49, exec_lo
                                        ; implicit-def: $sgpr50
	ds_load_b32 v19, v18
	s_waitcnt lgkmcnt(0)
	v_cmpx_ne_u32_e64 v19, v8
	s_xor_b32 s49, exec_lo, s49
	s_cbranch_execz .LBB58_45
; %bb.38:                               ;   in Loop: Header=BB58_37 Depth=3
	s_mov_b32 s51, exec_lo
                                        ; implicit-def: $sgpr50
	v_cmpx_ne_u32_e64 s42, v19
	s_xor_b32 s51, exec_lo, s51
; %bb.39:                               ;   in Loop: Header=BB58_37 Depth=3
	v_add_nc_u32_e32 v12, 1, v12
	s_mov_b32 s50, -1
                                        ; implicit-def: $vgpr18
	s_delay_alu instid0(VALU_DEP_1)
	v_and_b32_e32 v12, 7, v12
; %bb.40:                               ;   in Loop: Header=BB58_37 Depth=3
	s_and_not1_saveexec_b32 s51, s51
	s_cbranch_execz .LBB58_44
; %bb.41:                               ;   in Loop: Header=BB58_37 Depth=3
	v_mov_b32_e32 v19, s42
	s_mov_b32 s53, -1
	s_mov_b32 s52, exec_lo
	ds_cmpstore_rtn_b32 v18, v18, v8, v19
	s_waitcnt lgkmcnt(0)
	v_cmpx_eq_u32_e64 s42, v18
	s_cbranch_execz .LBB58_43
; %bb.42:                               ;   in Loop: Header=BB58_37 Depth=3
	v_lshl_or_b32 v18, v12, 9, v23
	s_xor_b32 s53, exec_lo, -1
	s_delay_alu instid0(VALU_DEP_1)
	v_add_nc_u32_e32 v18, v21, v18
	ds_add_f32 v18, v17
	ds_add_f32 v18, v14 offset:4
.LBB58_43:                              ;   in Loop: Header=BB58_37 Depth=3
	s_or_b32 exec_lo, exec_lo, s52
	s_delay_alu instid0(SALU_CYCLE_1) | instskip(SKIP_1) | instid1(SALU_CYCLE_1)
	s_and_not1_b32 s50, s50, exec_lo
	s_and_b32 s52, s53, exec_lo
	s_or_b32 s50, s50, s52
.LBB58_44:                              ;   in Loop: Header=BB58_37 Depth=3
	s_or_b32 exec_lo, exec_lo, s51
	s_delay_alu instid0(SALU_CYCLE_1)
	s_and_b32 s50, s50, exec_lo
.LBB58_45:                              ;   in Loop: Header=BB58_37 Depth=3
	s_and_not1_saveexec_b32 s49, s49
	s_cbranch_execz .LBB58_36
; %bb.46:                               ;   in Loop: Header=BB58_37 Depth=3
	v_lshl_or_b32 v18, v12, 9, v23
	s_and_not1_b32 s50, s50, exec_lo
	s_delay_alu instid0(VALU_DEP_1)
	v_add_nc_u32_e32 v18, v21, v18
	ds_add_f32 v18, v17
	ds_add_f32 v18, v14 offset:4
	s_branch .LBB58_36
.LBB58_47:
	s_or_b32 exec_lo, exec_lo, s15
.LBB58_48:
	s_delay_alu instid0(SALU_CYCLE_1)
	s_and_not1_b32 vcc_lo, exec_lo, s34
	s_waitcnt lgkmcnt(0)
	s_barrier
	buffer_gl0_inv
	s_cbranch_vccnz .LBB58_66
; %bb.49:
	v_add_co_u32 v3, vcc_lo, s22, v1
	v_add_co_ci_u32_e32 v4, vcc_lo, s23, v2, vcc_lo
	s_mov_b32 s1, exec_lo
	global_load_b64 v[3:4], v[3:4], off
	s_waitcnt vmcnt(0)
	v_cmpx_lt_i32_e64 v3, v4
	s_cbranch_execz .LBB58_65
; %bb.50:
	v_max_i32_e32 v5, v9, v10
	s_cmp_eq_u32 s40, 0
	v_subrev_nc_u32_e32 v7, s39, v4
	s_cselect_b32 s0, -1, 0
	v_subrev_nc_u32_e32 v3, s39, v3
	v_cmp_gt_i32_e32 vcc_lo, s43, v5
	v_cndmask_b32_e64 v5, v9, v10, s0
	v_cndmask_b32_e64 v6, v10, v9, s0
	s_mov_b32 s13, 0
	s_branch .LBB58_52
.LBB58_51:                              ;   in Loop: Header=BB58_52 Depth=1
	s_or_b32 exec_lo, exec_lo, s15
	v_add_nc_u32_e32 v3, 1, v3
	s_delay_alu instid0(VALU_DEP_1) | instskip(NEXT) | instid1(VALU_DEP_1)
	v_cmp_ge_i32_e64 s0, v3, v7
	s_or_b32 s13, s0, s13
	s_delay_alu instid0(SALU_CYCLE_1)
	s_and_not1_b32 exec_lo, exec_lo, s13
	s_cbranch_execz .LBB58_65
.LBB58_52:                              ; =>This Loop Header: Depth=1
                                        ;     Child Loop BB58_55 Depth 2
	s_and_saveexec_b32 s15, vcc_lo
	s_cbranch_execz .LBB58_51
; %bb.53:                               ;   in Loop: Header=BB58_52 Depth=1
	v_mad_u64_u32 v[11:12], null, v3, s43, v[5:6]
	v_ashrrev_i32_e32 v4, 31, v3
	s_mov_b32 s16, 0
	s_delay_alu instid0(VALU_DEP_2) | instskip(NEXT) | instid1(VALU_DEP_1)
	v_mad_u64_u32 v[12:13], null, v11, s43, v[6:7]
	v_ashrrev_i32_e32 v13, 31, v12
	s_delay_alu instid0(VALU_DEP_1) | instskip(SKIP_1) | instid1(VALU_DEP_2)
	v_lshlrev_b64 v[11:12], 3, v[12:13]
	v_lshlrev_b64 v[13:14], 2, v[3:4]
	v_add_co_u32 v11, s0, s6, v11
	s_delay_alu instid0(VALU_DEP_1) | instskip(NEXT) | instid1(VALU_DEP_3)
	v_add_co_ci_u32_e64 v12, s0, s7, v12, s0
	v_add_co_u32 v13, s0, s4, v13
	s_delay_alu instid0(VALU_DEP_1)
	v_add_co_ci_u32_e64 v14, s0, s5, v14, s0
	global_load_b64 v[15:16], v[11:12], off
	global_load_b32 v11, v[13:14], off
	s_waitcnt vmcnt(1)
	v_mul_f32_e64 v4, v16, -s14
	v_mul_f32_e32 v8, s12, v16
	s_waitcnt vmcnt(0)
	v_subrev_nc_u32_e32 v11, s39, v11
	s_delay_alu instid0(VALU_DEP_3) | instskip(NEXT) | instid1(VALU_DEP_3)
	v_fmac_f32_e32 v4, s12, v15
	v_fmac_f32_e32 v8, s14, v15
	s_delay_alu instid0(VALU_DEP_3)
	v_and_b32_e32 v12, 7, v11
	s_branch .LBB58_55
.LBB58_54:                              ;   in Loop: Header=BB58_55 Depth=2
	s_or_b32 exec_lo, exec_lo, s0
	s_xor_b32 s0, s18, -1
	s_delay_alu instid0(SALU_CYCLE_1) | instskip(NEXT) | instid1(SALU_CYCLE_1)
	s_and_b32 s0, exec_lo, s0
	s_or_b32 s16, s0, s16
	s_delay_alu instid0(SALU_CYCLE_1)
	s_and_not1_b32 exec_lo, exec_lo, s16
	s_cbranch_execz .LBB58_51
.LBB58_55:                              ;   Parent Loop BB58_52 Depth=1
                                        ; =>  This Inner Loop Header: Depth=2
	s_delay_alu instid0(VALU_DEP_1)
	v_lshl_add_u32 v13, v12, 2, v22
	s_mov_b32 s17, exec_lo
                                        ; implicit-def: $sgpr18
	ds_load_b32 v14, v13
	s_waitcnt lgkmcnt(0)
	v_cmpx_ne_u32_e64 v14, v11
	s_xor_b32 s17, exec_lo, s17
	s_cbranch_execz .LBB58_63
; %bb.56:                               ;   in Loop: Header=BB58_55 Depth=2
	v_cmp_ne_u32_e64 s0, s42, v14
                                        ; implicit-def: $sgpr18
	s_delay_alu instid0(VALU_DEP_1) | instskip(NEXT) | instid1(SALU_CYCLE_1)
	s_and_saveexec_b32 s19, s0
	s_xor_b32 s0, exec_lo, s19
; %bb.57:                               ;   in Loop: Header=BB58_55 Depth=2
	v_add_nc_u32_e32 v12, 1, v12
	s_mov_b32 s18, -1
                                        ; implicit-def: $vgpr13
	s_delay_alu instid0(VALU_DEP_1)
	v_and_b32_e32 v12, 7, v12
; %bb.58:                               ;   in Loop: Header=BB58_55 Depth=2
	s_and_not1_saveexec_b32 s19, s0
	s_cbranch_execz .LBB58_62
; %bb.59:                               ;   in Loop: Header=BB58_55 Depth=2
	v_mov_b32_e32 v14, s42
	s_mov_b32 s21, -1
	s_mov_b32 s20, exec_lo
	ds_cmpstore_rtn_b32 v13, v13, v11, v14
	s_waitcnt lgkmcnt(0)
	v_cmpx_eq_u32_e64 s42, v13
	s_cbranch_execz .LBB58_61
; %bb.60:                               ;   in Loop: Header=BB58_55 Depth=2
	v_lshl_or_b32 v13, v12, 9, v23
	s_xor_b32 s21, exec_lo, -1
	s_delay_alu instid0(VALU_DEP_1)
	v_add_nc_u32_e32 v13, v21, v13
	ds_add_f32 v13, v4
	ds_add_f32 v13, v8 offset:4
.LBB58_61:                              ;   in Loop: Header=BB58_55 Depth=2
	s_or_b32 exec_lo, exec_lo, s20
	s_delay_alu instid0(SALU_CYCLE_1) | instskip(SKIP_1) | instid1(SALU_CYCLE_1)
	s_and_not1_b32 s0, s18, exec_lo
	s_and_b32 s18, s21, exec_lo
	s_or_b32 s18, s0, s18
.LBB58_62:                              ;   in Loop: Header=BB58_55 Depth=2
	s_or_b32 exec_lo, exec_lo, s19
	s_delay_alu instid0(SALU_CYCLE_1)
	s_and_b32 s18, s18, exec_lo
.LBB58_63:                              ;   in Loop: Header=BB58_55 Depth=2
	s_and_not1_saveexec_b32 s0, s17
	s_cbranch_execz .LBB58_54
; %bb.64:                               ;   in Loop: Header=BB58_55 Depth=2
	v_lshl_or_b32 v13, v12, 9, v23
	s_and_not1_b32 s18, s18, exec_lo
	s_delay_alu instid0(VALU_DEP_1)
	v_add_nc_u32_e32 v13, v21, v13
	ds_add_f32 v13, v4
	ds_add_f32 v13, v8 offset:4
	s_branch .LBB58_54
.LBB58_65:
	s_or_b32 exec_lo, exec_lo, s1
.LBB58_66:
	v_add_co_u32 v1, vcc_lo, s8, v1
	v_add_co_ci_u32_e32 v2, vcc_lo, s9, v2, vcc_lo
	s_waitcnt lgkmcnt(0)
	s_barrier
	buffer_gl0_inv
	global_load_b32 v11, v[1:2], off
	ds_load_b128 v[5:8], v22
	ds_load_b128 v[1:4], v22 offset:16
	v_max_i32_e32 v12, v9, v10
	v_lshlrev_b32_e32 v13, 3, v9
	v_and_b32_e32 v0, 56, v0
	s_cmp_eq_u32 s40, 0
	s_mov_b32 s1, exec_lo
	s_cselect_b32 s0, -1, 0
	v_cmp_gt_i32_e32 vcc_lo, s43, v12
	v_cndmask_b32_e64 v13, v13, v0, s0
	v_cndmask_b32_e64 v14, v10, v9, s0
	s_waitcnt vmcnt(0)
	v_subrev_nc_u32_e32 v0, s38, v11
	s_waitcnt lgkmcnt(1)
	v_cmpx_gt_i32_e64 s42, v5
	s_cbranch_execz .LBB58_69
; %bb.67:
	v_cmp_gt_i32_e64 s0, v5, v6
	s_delay_alu instid0(VALU_DEP_1) | instskip(SKIP_1) | instid1(VALU_DEP_1)
	v_add_co_ci_u32_e64 v11, s0, 0, v0, s0
	v_cmp_gt_i32_e64 s0, v5, v7
	v_cndmask_b32_e64 v12, 0, 1, s0
	v_cmp_gt_i32_e64 s0, v5, v8
	s_delay_alu instid0(VALU_DEP_1) | instskip(SKIP_2) | instid1(VALU_DEP_1)
	v_add_co_ci_u32_e64 v11, s0, v11, v12, s0
	s_waitcnt lgkmcnt(0)
	v_cmp_gt_i32_e64 s0, v5, v1
	v_cndmask_b32_e64 v12, 0, 1, s0
	v_cmp_gt_i32_e64 s0, v5, v2
	s_delay_alu instid0(VALU_DEP_1) | instskip(SKIP_1) | instid1(VALU_DEP_1)
	v_add_co_ci_u32_e64 v11, s0, v11, v12, s0
	v_cmp_gt_i32_e64 s0, v5, v3
	v_cndmask_b32_e64 v12, 0, 1, s0
	v_cmp_gt_i32_e64 s0, v5, v4
	s_delay_alu instid0(VALU_DEP_1) | instskip(NEXT) | instid1(VALU_DEP_1)
	v_add_co_ci_u32_e64 v11, s0, v11, v12, s0
	v_ashrrev_i32_e32 v12, 31, v11
	s_delay_alu instid0(VALU_DEP_1) | instskip(SKIP_1) | instid1(VALU_DEP_2)
	v_lshlrev_b64 v[15:16], 2, v[11:12]
	v_add_nc_u32_e32 v12, s38, v5
	v_add_co_u32 v15, s0, s10, v15
	s_delay_alu instid0(VALU_DEP_1)
	v_add_co_ci_u32_e64 v16, s0, s11, v16, s0
	global_store_b32 v[15:16], v12, off
	s_and_b32 exec_lo, exec_lo, vcc_lo
	s_cbranch_execz .LBB58_69
; %bb.68:
	v_mad_u64_u32 v[15:16], null, v11, s43, v[10:11]
	v_or_b32_e32 v16, v13, v14
	s_delay_alu instid0(VALU_DEP_2) | instskip(NEXT) | instid1(VALU_DEP_2)
	v_mad_u64_u32 v[11:12], null, v15, s43, v[9:10]
	v_lshl_add_u32 v12, v16, 3, v21
	ds_load_b64 v[15:16], v12
	v_ashrrev_i32_e32 v12, 31, v11
	s_delay_alu instid0(VALU_DEP_1) | instskip(NEXT) | instid1(VALU_DEP_1)
	v_lshlrev_b64 v[11:12], 3, v[11:12]
	v_add_co_u32 v11, s0, s2, v11
	s_delay_alu instid0(VALU_DEP_1)
	v_add_co_ci_u32_e64 v12, s0, s3, v12, s0
	s_waitcnt lgkmcnt(0)
	global_store_b64 v[11:12], v[15:16], off
.LBB58_69:
	s_or_b32 exec_lo, exec_lo, s1
	s_delay_alu instid0(SALU_CYCLE_1)
	s_mov_b32 s1, exec_lo
	v_cmpx_gt_i32_e64 s42, v6
	s_cbranch_execz .LBB58_72
; %bb.70:
	v_cmp_gt_i32_e64 s0, v6, v5
	s_delay_alu instid0(VALU_DEP_1) | instskip(SKIP_1) | instid1(VALU_DEP_1)
	v_add_co_ci_u32_e64 v11, s0, 0, v0, s0
	v_cmp_gt_i32_e64 s0, v6, v7
	v_cndmask_b32_e64 v12, 0, 1, s0
	v_cmp_gt_i32_e64 s0, v6, v8
	s_delay_alu instid0(VALU_DEP_1) | instskip(SKIP_2) | instid1(VALU_DEP_1)
	v_add_co_ci_u32_e64 v11, s0, v11, v12, s0
	s_waitcnt lgkmcnt(0)
	v_cmp_gt_i32_e64 s0, v6, v1
	v_cndmask_b32_e64 v12, 0, 1, s0
	v_cmp_gt_i32_e64 s0, v6, v2
	s_delay_alu instid0(VALU_DEP_1) | instskip(SKIP_1) | instid1(VALU_DEP_1)
	v_add_co_ci_u32_e64 v11, s0, v11, v12, s0
	v_cmp_gt_i32_e64 s0, v6, v3
	v_cndmask_b32_e64 v12, 0, 1, s0
	v_cmp_gt_i32_e64 s0, v6, v4
	s_delay_alu instid0(VALU_DEP_1) | instskip(NEXT) | instid1(VALU_DEP_1)
	v_add_co_ci_u32_e64 v11, s0, v11, v12, s0
	v_ashrrev_i32_e32 v12, 31, v11
	s_delay_alu instid0(VALU_DEP_1) | instskip(SKIP_1) | instid1(VALU_DEP_2)
	v_lshlrev_b64 v[15:16], 2, v[11:12]
	v_add_nc_u32_e32 v12, s38, v6
	v_add_co_u32 v15, s0, s10, v15
	s_delay_alu instid0(VALU_DEP_1)
	v_add_co_ci_u32_e64 v16, s0, s11, v16, s0
	global_store_b32 v[15:16], v12, off
	s_and_b32 exec_lo, exec_lo, vcc_lo
	s_cbranch_execz .LBB58_72
; %bb.71:
	v_mad_u64_u32 v[15:16], null, v11, s43, v[10:11]
	v_or_b32_e32 v16, v13, v14
	s_delay_alu instid0(VALU_DEP_2) | instskip(NEXT) | instid1(VALU_DEP_2)
	v_mad_u64_u32 v[11:12], null, v15, s43, v[9:10]
	v_lshl_add_u32 v12, v16, 3, v21
	ds_load_b64 v[15:16], v12 offset:512
	v_ashrrev_i32_e32 v12, 31, v11
	s_delay_alu instid0(VALU_DEP_1) | instskip(NEXT) | instid1(VALU_DEP_1)
	v_lshlrev_b64 v[11:12], 3, v[11:12]
	v_add_co_u32 v11, s0, s2, v11
	s_delay_alu instid0(VALU_DEP_1)
	v_add_co_ci_u32_e64 v12, s0, s3, v12, s0
	s_waitcnt lgkmcnt(0)
	global_store_b64 v[11:12], v[15:16], off
.LBB58_72:
	s_or_b32 exec_lo, exec_lo, s1
	s_delay_alu instid0(SALU_CYCLE_1)
	s_mov_b32 s1, exec_lo
	v_cmpx_gt_i32_e64 s42, v7
	s_cbranch_execz .LBB58_75
; %bb.73:
	v_cmp_gt_i32_e64 s0, v7, v5
	s_delay_alu instid0(VALU_DEP_1) | instskip(SKIP_1) | instid1(VALU_DEP_1)
	v_add_co_ci_u32_e64 v11, s0, 0, v0, s0
	v_cmp_gt_i32_e64 s0, v7, v6
	v_cndmask_b32_e64 v12, 0, 1, s0
	v_cmp_gt_i32_e64 s0, v7, v8
	s_delay_alu instid0(VALU_DEP_1) | instskip(SKIP_2) | instid1(VALU_DEP_1)
	v_add_co_ci_u32_e64 v11, s0, v11, v12, s0
	s_waitcnt lgkmcnt(0)
	v_cmp_gt_i32_e64 s0, v7, v1
	v_cndmask_b32_e64 v12, 0, 1, s0
	v_cmp_gt_i32_e64 s0, v7, v2
	s_delay_alu instid0(VALU_DEP_1) | instskip(SKIP_1) | instid1(VALU_DEP_1)
	v_add_co_ci_u32_e64 v11, s0, v11, v12, s0
	v_cmp_gt_i32_e64 s0, v7, v3
	v_cndmask_b32_e64 v12, 0, 1, s0
	v_cmp_gt_i32_e64 s0, v7, v4
	s_delay_alu instid0(VALU_DEP_1) | instskip(NEXT) | instid1(VALU_DEP_1)
	v_add_co_ci_u32_e64 v11, s0, v11, v12, s0
	v_ashrrev_i32_e32 v12, 31, v11
	s_delay_alu instid0(VALU_DEP_1) | instskip(SKIP_1) | instid1(VALU_DEP_2)
	v_lshlrev_b64 v[15:16], 2, v[11:12]
	v_add_nc_u32_e32 v12, s38, v7
	v_add_co_u32 v15, s0, s10, v15
	s_delay_alu instid0(VALU_DEP_1)
	v_add_co_ci_u32_e64 v16, s0, s11, v16, s0
	global_store_b32 v[15:16], v12, off
	s_and_b32 exec_lo, exec_lo, vcc_lo
	s_cbranch_execz .LBB58_75
; %bb.74:
	v_mad_u64_u32 v[15:16], null, v11, s43, v[10:11]
	v_or_b32_e32 v16, v13, v14
	s_delay_alu instid0(VALU_DEP_2) | instskip(NEXT) | instid1(VALU_DEP_2)
	v_mad_u64_u32 v[11:12], null, v15, s43, v[9:10]
	v_lshl_add_u32 v12, v16, 3, v21
	ds_load_b64 v[15:16], v12 offset:1024
	v_ashrrev_i32_e32 v12, 31, v11
	s_delay_alu instid0(VALU_DEP_1) | instskip(NEXT) | instid1(VALU_DEP_1)
	v_lshlrev_b64 v[11:12], 3, v[11:12]
	v_add_co_u32 v11, s0, s2, v11
	s_delay_alu instid0(VALU_DEP_1)
	v_add_co_ci_u32_e64 v12, s0, s3, v12, s0
	s_waitcnt lgkmcnt(0)
	global_store_b64 v[11:12], v[15:16], off
.LBB58_75:
	;; [unrolled: 51-line block ×3, first 2 shown]
	s_or_b32 exec_lo, exec_lo, s1
	s_delay_alu instid0(SALU_CYCLE_1)
	s_mov_b32 s1, exec_lo
	s_waitcnt lgkmcnt(0)
	v_cmpx_gt_i32_e64 s42, v1
	s_cbranch_execz .LBB58_81
; %bb.79:
	v_cmp_gt_i32_e64 s0, v1, v5
	s_delay_alu instid0(VALU_DEP_1) | instskip(SKIP_1) | instid1(VALU_DEP_1)
	v_add_co_ci_u32_e64 v11, s0, 0, v0, s0
	v_cmp_gt_i32_e64 s0, v1, v6
	v_cndmask_b32_e64 v12, 0, 1, s0
	v_cmp_gt_i32_e64 s0, v1, v7
	s_delay_alu instid0(VALU_DEP_1) | instskip(SKIP_1) | instid1(VALU_DEP_1)
	v_add_co_ci_u32_e64 v11, s0, v11, v12, s0
	v_cmp_gt_i32_e64 s0, v1, v8
	v_cndmask_b32_e64 v12, 0, 1, s0
	;; [unrolled: 5-line block ×3, first 2 shown]
	v_cmp_gt_i32_e64 s0, v1, v4
	s_delay_alu instid0(VALU_DEP_1) | instskip(NEXT) | instid1(VALU_DEP_1)
	v_add_co_ci_u32_e64 v11, s0, v11, v12, s0
	v_ashrrev_i32_e32 v12, 31, v11
	s_delay_alu instid0(VALU_DEP_1) | instskip(SKIP_1) | instid1(VALU_DEP_2)
	v_lshlrev_b64 v[15:16], 2, v[11:12]
	v_add_nc_u32_e32 v12, s38, v1
	v_add_co_u32 v15, s0, s10, v15
	s_delay_alu instid0(VALU_DEP_1)
	v_add_co_ci_u32_e64 v16, s0, s11, v16, s0
	global_store_b32 v[15:16], v12, off
	s_and_b32 exec_lo, exec_lo, vcc_lo
	s_cbranch_execz .LBB58_81
; %bb.80:
	v_mad_u64_u32 v[15:16], null, v11, s43, v[10:11]
	v_or_b32_e32 v16, v13, v14
	s_delay_alu instid0(VALU_DEP_2) | instskip(NEXT) | instid1(VALU_DEP_2)
	v_mad_u64_u32 v[11:12], null, v15, s43, v[9:10]
	v_lshl_add_u32 v12, v16, 3, v21
	ds_load_b64 v[15:16], v12 offset:2048
	v_ashrrev_i32_e32 v12, 31, v11
	s_delay_alu instid0(VALU_DEP_1) | instskip(NEXT) | instid1(VALU_DEP_1)
	v_lshlrev_b64 v[11:12], 3, v[11:12]
	v_add_co_u32 v11, s0, s2, v11
	s_delay_alu instid0(VALU_DEP_1)
	v_add_co_ci_u32_e64 v12, s0, s3, v12, s0
	s_waitcnt lgkmcnt(0)
	global_store_b64 v[11:12], v[15:16], off
.LBB58_81:
	s_or_b32 exec_lo, exec_lo, s1
	s_delay_alu instid0(SALU_CYCLE_1)
	s_mov_b32 s1, exec_lo
	v_cmpx_gt_i32_e64 s42, v2
	s_cbranch_execz .LBB58_84
; %bb.82:
	v_cmp_gt_i32_e64 s0, v2, v5
	s_delay_alu instid0(VALU_DEP_1) | instskip(SKIP_1) | instid1(VALU_DEP_1)
	v_add_co_ci_u32_e64 v11, s0, 0, v0, s0
	v_cmp_gt_i32_e64 s0, v2, v6
	v_cndmask_b32_e64 v12, 0, 1, s0
	v_cmp_gt_i32_e64 s0, v2, v7
	s_delay_alu instid0(VALU_DEP_1) | instskip(SKIP_1) | instid1(VALU_DEP_1)
	v_add_co_ci_u32_e64 v11, s0, v11, v12, s0
	v_cmp_gt_i32_e64 s0, v2, v8
	v_cndmask_b32_e64 v12, 0, 1, s0
	;; [unrolled: 5-line block ×3, first 2 shown]
	v_cmp_gt_i32_e64 s0, v2, v4
	s_delay_alu instid0(VALU_DEP_1) | instskip(NEXT) | instid1(VALU_DEP_1)
	v_add_co_ci_u32_e64 v11, s0, v11, v12, s0
	v_ashrrev_i32_e32 v12, 31, v11
	s_delay_alu instid0(VALU_DEP_1) | instskip(SKIP_1) | instid1(VALU_DEP_2)
	v_lshlrev_b64 v[15:16], 2, v[11:12]
	v_add_nc_u32_e32 v12, s38, v2
	v_add_co_u32 v15, s0, s10, v15
	s_delay_alu instid0(VALU_DEP_1)
	v_add_co_ci_u32_e64 v16, s0, s11, v16, s0
	global_store_b32 v[15:16], v12, off
	s_and_b32 exec_lo, exec_lo, vcc_lo
	s_cbranch_execz .LBB58_84
; %bb.83:
	v_mad_u64_u32 v[15:16], null, v11, s43, v[10:11]
	v_or_b32_e32 v16, v13, v14
	s_delay_alu instid0(VALU_DEP_2) | instskip(NEXT) | instid1(VALU_DEP_2)
	v_mad_u64_u32 v[11:12], null, v15, s43, v[9:10]
	v_lshl_add_u32 v12, v16, 3, v21
	ds_load_b64 v[15:16], v12 offset:2560
	v_ashrrev_i32_e32 v12, 31, v11
	s_delay_alu instid0(VALU_DEP_1) | instskip(NEXT) | instid1(VALU_DEP_1)
	v_lshlrev_b64 v[11:12], 3, v[11:12]
	v_add_co_u32 v11, s0, s2, v11
	s_delay_alu instid0(VALU_DEP_1)
	v_add_co_ci_u32_e64 v12, s0, s3, v12, s0
	s_waitcnt lgkmcnt(0)
	global_store_b64 v[11:12], v[15:16], off
.LBB58_84:
	s_or_b32 exec_lo, exec_lo, s1
	s_delay_alu instid0(SALU_CYCLE_1)
	s_mov_b32 s1, exec_lo
	v_cmpx_gt_i32_e64 s42, v3
	s_cbranch_execz .LBB58_87
; %bb.85:
	v_cmp_gt_i32_e64 s0, v3, v5
	s_delay_alu instid0(VALU_DEP_1) | instskip(SKIP_1) | instid1(VALU_DEP_1)
	v_add_co_ci_u32_e64 v11, s0, 0, v0, s0
	v_cmp_gt_i32_e64 s0, v3, v6
	v_cndmask_b32_e64 v12, 0, 1, s0
	v_cmp_gt_i32_e64 s0, v3, v7
	s_delay_alu instid0(VALU_DEP_1) | instskip(SKIP_1) | instid1(VALU_DEP_1)
	v_add_co_ci_u32_e64 v11, s0, v11, v12, s0
	v_cmp_gt_i32_e64 s0, v3, v8
	v_cndmask_b32_e64 v12, 0, 1, s0
	;; [unrolled: 5-line block ×3, first 2 shown]
	v_cmp_gt_i32_e64 s0, v3, v4
	s_delay_alu instid0(VALU_DEP_1) | instskip(NEXT) | instid1(VALU_DEP_1)
	v_add_co_ci_u32_e64 v11, s0, v11, v12, s0
	v_ashrrev_i32_e32 v12, 31, v11
	s_delay_alu instid0(VALU_DEP_1) | instskip(SKIP_1) | instid1(VALU_DEP_2)
	v_lshlrev_b64 v[15:16], 2, v[11:12]
	v_add_nc_u32_e32 v12, s38, v3
	v_add_co_u32 v15, s0, s10, v15
	s_delay_alu instid0(VALU_DEP_1)
	v_add_co_ci_u32_e64 v16, s0, s11, v16, s0
	global_store_b32 v[15:16], v12, off
	s_and_b32 exec_lo, exec_lo, vcc_lo
	s_cbranch_execz .LBB58_87
; %bb.86:
	v_mad_u64_u32 v[15:16], null, v11, s43, v[10:11]
	v_or_b32_e32 v16, v13, v14
	s_delay_alu instid0(VALU_DEP_2) | instskip(NEXT) | instid1(VALU_DEP_2)
	v_mad_u64_u32 v[11:12], null, v15, s43, v[9:10]
	v_lshl_add_u32 v12, v16, 3, v21
	ds_load_b64 v[15:16], v12 offset:3072
	v_ashrrev_i32_e32 v12, 31, v11
	s_delay_alu instid0(VALU_DEP_1) | instskip(NEXT) | instid1(VALU_DEP_1)
	v_lshlrev_b64 v[11:12], 3, v[11:12]
	v_add_co_u32 v11, s0, s2, v11
	s_delay_alu instid0(VALU_DEP_1)
	v_add_co_ci_u32_e64 v12, s0, s3, v12, s0
	s_waitcnt lgkmcnt(0)
	global_store_b64 v[11:12], v[15:16], off
.LBB58_87:
	s_or_b32 exec_lo, exec_lo, s1
	v_cmp_gt_i32_e64 s0, s42, v4
	s_delay_alu instid0(VALU_DEP_1)
	s_and_b32 exec_lo, exec_lo, s0
	s_cbranch_execz .LBB58_90
; %bb.88:
	v_cmp_gt_i32_e64 s0, v4, v5
	s_delay_alu instid0(VALU_DEP_1) | instskip(SKIP_1) | instid1(VALU_DEP_1)
	v_add_co_ci_u32_e64 v0, s0, 0, v0, s0
	v_cmp_gt_i32_e64 s0, v4, v6
	v_cndmask_b32_e64 v5, 0, 1, s0
	v_cmp_gt_i32_e64 s0, v4, v7
	s_delay_alu instid0(VALU_DEP_1) | instskip(SKIP_1) | instid1(VALU_DEP_1)
	v_add_co_ci_u32_e64 v0, s0, v0, v5, s0
	v_cmp_gt_i32_e64 s0, v4, v8
	v_cndmask_b32_e64 v5, 0, 1, s0
	;; [unrolled: 5-line block ×3, first 2 shown]
	v_cmp_gt_i32_e64 s0, v4, v3
	v_add_nc_u32_e32 v3, s38, v4
	s_delay_alu instid0(VALU_DEP_2) | instskip(NEXT) | instid1(VALU_DEP_1)
	v_add_co_ci_u32_e64 v0, s0, v0, v1, s0
	v_ashrrev_i32_e32 v1, 31, v0
	s_delay_alu instid0(VALU_DEP_1) | instskip(NEXT) | instid1(VALU_DEP_1)
	v_lshlrev_b64 v[1:2], 2, v[0:1]
	v_add_co_u32 v1, s0, s10, v1
	s_delay_alu instid0(VALU_DEP_1)
	v_add_co_ci_u32_e64 v2, s0, s11, v2, s0
	global_store_b32 v[1:2], v3, off
	s_and_b32 exec_lo, exec_lo, vcc_lo
	s_cbranch_execz .LBB58_90
; %bb.89:
	v_mad_u64_u32 v[1:2], null, v0, s43, v[10:11]
	v_or_b32_e32 v0, v13, v14
	s_delay_alu instid0(VALU_DEP_1) | instskip(NEXT) | instid1(VALU_DEP_3)
	v_lshl_add_u32 v0, v0, 3, v21
	v_mad_u64_u32 v[2:3], null, v1, s43, v[9:10]
	ds_load_b64 v[0:1], v0 offset:3584
	v_ashrrev_i32_e32 v3, 31, v2
	s_delay_alu instid0(VALU_DEP_1) | instskip(NEXT) | instid1(VALU_DEP_1)
	v_lshlrev_b64 v[2:3], 3, v[2:3]
	v_add_co_u32 v2, vcc_lo, s2, v2
	s_delay_alu instid0(VALU_DEP_2)
	v_add_co_ci_u32_e32 v3, vcc_lo, s3, v3, vcc_lo
	s_waitcnt lgkmcnt(0)
	global_store_b64 v[2:3], v[0:1], off
.LBB58_90:
	s_nop 0
	s_sendmsg sendmsg(MSG_DEALLOC_VGPRS)
	s_endpgm
	.section	.rodata,"a",@progbits
	.p2align	6, 0x0
	.amdhsa_kernel _ZN9rocsparseL23bsrgemm_fill_wf_per_rowILj256ELj64ELj8ELj137ELj8Eii21rocsparse_complex_numIfEEEv20rocsparse_direction_T5_S4_S4_PKS4_S6_NS_24const_host_device_scalarIT6_EEPKT4_S6_PKS8_SC_S6_SE_S9_SC_S6_SE_SC_PS4_PS8_21rocsparse_index_base_SH_SH_SH_bbb
		.amdhsa_group_segment_fixed_size 16512
		.amdhsa_private_segment_fixed_size 0
		.amdhsa_kernarg_size 164
		.amdhsa_user_sgpr_count 15
		.amdhsa_user_sgpr_dispatch_ptr 0
		.amdhsa_user_sgpr_queue_ptr 0
		.amdhsa_user_sgpr_kernarg_segment_ptr 1
		.amdhsa_user_sgpr_dispatch_id 0
		.amdhsa_user_sgpr_private_segment_size 0
		.amdhsa_wavefront_size32 1
		.amdhsa_uses_dynamic_stack 0
		.amdhsa_enable_private_segment 0
		.amdhsa_system_sgpr_workgroup_id_x 1
		.amdhsa_system_sgpr_workgroup_id_y 0
		.amdhsa_system_sgpr_workgroup_id_z 0
		.amdhsa_system_sgpr_workgroup_info 0
		.amdhsa_system_vgpr_workitem_id 0
		.amdhsa_next_free_vgpr 30
		.amdhsa_next_free_sgpr 54
		.amdhsa_reserve_vcc 1
		.amdhsa_float_round_mode_32 0
		.amdhsa_float_round_mode_16_64 0
		.amdhsa_float_denorm_mode_32 3
		.amdhsa_float_denorm_mode_16_64 3
		.amdhsa_dx10_clamp 1
		.amdhsa_ieee_mode 1
		.amdhsa_fp16_overflow 0
		.amdhsa_workgroup_processor_mode 1
		.amdhsa_memory_ordered 1
		.amdhsa_forward_progress 0
		.amdhsa_shared_vgpr_count 0
		.amdhsa_exception_fp_ieee_invalid_op 0
		.amdhsa_exception_fp_denorm_src 0
		.amdhsa_exception_fp_ieee_div_zero 0
		.amdhsa_exception_fp_ieee_overflow 0
		.amdhsa_exception_fp_ieee_underflow 0
		.amdhsa_exception_fp_ieee_inexact 0
		.amdhsa_exception_int_div_zero 0
	.end_amdhsa_kernel
	.section	.text._ZN9rocsparseL23bsrgemm_fill_wf_per_rowILj256ELj64ELj8ELj137ELj8Eii21rocsparse_complex_numIfEEEv20rocsparse_direction_T5_S4_S4_PKS4_S6_NS_24const_host_device_scalarIT6_EEPKT4_S6_PKS8_SC_S6_SE_S9_SC_S6_SE_SC_PS4_PS8_21rocsparse_index_base_SH_SH_SH_bbb,"axG",@progbits,_ZN9rocsparseL23bsrgemm_fill_wf_per_rowILj256ELj64ELj8ELj137ELj8Eii21rocsparse_complex_numIfEEEv20rocsparse_direction_T5_S4_S4_PKS4_S6_NS_24const_host_device_scalarIT6_EEPKT4_S6_PKS8_SC_S6_SE_S9_SC_S6_SE_SC_PS4_PS8_21rocsparse_index_base_SH_SH_SH_bbb,comdat
.Lfunc_end58:
	.size	_ZN9rocsparseL23bsrgemm_fill_wf_per_rowILj256ELj64ELj8ELj137ELj8Eii21rocsparse_complex_numIfEEEv20rocsparse_direction_T5_S4_S4_PKS4_S6_NS_24const_host_device_scalarIT6_EEPKT4_S6_PKS8_SC_S6_SE_S9_SC_S6_SE_SC_PS4_PS8_21rocsparse_index_base_SH_SH_SH_bbb, .Lfunc_end58-_ZN9rocsparseL23bsrgemm_fill_wf_per_rowILj256ELj64ELj8ELj137ELj8Eii21rocsparse_complex_numIfEEEv20rocsparse_direction_T5_S4_S4_PKS4_S6_NS_24const_host_device_scalarIT6_EEPKT4_S6_PKS8_SC_S6_SE_S9_SC_S6_SE_SC_PS4_PS8_21rocsparse_index_base_SH_SH_SH_bbb
                                        ; -- End function
	.section	.AMDGPU.csdata,"",@progbits
; Kernel info:
; codeLenInByte = 4752
; NumSgprs: 56
; NumVgprs: 30
; ScratchSize: 0
; MemoryBound: 0
; FloatMode: 240
; IeeeMode: 1
; LDSByteSize: 16512 bytes/workgroup (compile time only)
; SGPRBlocks: 6
; VGPRBlocks: 3
; NumSGPRsForWavesPerEU: 56
; NumVGPRsForWavesPerEU: 30
; Occupancy: 14
; WaveLimiterHint : 1
; COMPUTE_PGM_RSRC2:SCRATCH_EN: 0
; COMPUTE_PGM_RSRC2:USER_SGPR: 15
; COMPUTE_PGM_RSRC2:TRAP_HANDLER: 0
; COMPUTE_PGM_RSRC2:TGID_X_EN: 1
; COMPUTE_PGM_RSRC2:TGID_Y_EN: 0
; COMPUTE_PGM_RSRC2:TGID_Z_EN: 0
; COMPUTE_PGM_RSRC2:TIDIG_COMP_CNT: 0
	.section	.text._ZN9rocsparseL38bsrgemm_block_per_row_atomic_multipassILj256ELj16ELj8Eii21rocsparse_complex_numIfEEEv20rocsparse_direction_T3_S4_PKS4_S6_NS_24const_host_device_scalarIT4_EEPKT2_S6_PKS8_SC_S6_SE_S9_SC_S6_SE_SC_PS4_PS8_PSA_21rocsparse_index_base_SI_SI_SI_bbb,"axG",@progbits,_ZN9rocsparseL38bsrgemm_block_per_row_atomic_multipassILj256ELj16ELj8Eii21rocsparse_complex_numIfEEEv20rocsparse_direction_T3_S4_PKS4_S6_NS_24const_host_device_scalarIT4_EEPKT2_S6_PKS8_SC_S6_SE_S9_SC_S6_SE_SC_PS4_PS8_PSA_21rocsparse_index_base_SI_SI_SI_bbb,comdat
	.globl	_ZN9rocsparseL38bsrgemm_block_per_row_atomic_multipassILj256ELj16ELj8Eii21rocsparse_complex_numIfEEEv20rocsparse_direction_T3_S4_PKS4_S6_NS_24const_host_device_scalarIT4_EEPKT2_S6_PKS8_SC_S6_SE_S9_SC_S6_SE_SC_PS4_PS8_PSA_21rocsparse_index_base_SI_SI_SI_bbb ; -- Begin function _ZN9rocsparseL38bsrgemm_block_per_row_atomic_multipassILj256ELj16ELj8Eii21rocsparse_complex_numIfEEEv20rocsparse_direction_T3_S4_PKS4_S6_NS_24const_host_device_scalarIT4_EEPKT2_S6_PKS8_SC_S6_SE_S9_SC_S6_SE_SC_PS4_PS8_PSA_21rocsparse_index_base_SI_SI_SI_bbb
	.p2align	8
	.type	_ZN9rocsparseL38bsrgemm_block_per_row_atomic_multipassILj256ELj16ELj8Eii21rocsparse_complex_numIfEEEv20rocsparse_direction_T3_S4_PKS4_S6_NS_24const_host_device_scalarIT4_EEPKT2_S6_PKS8_SC_S6_SE_S9_SC_S6_SE_SC_PS4_PS8_PSA_21rocsparse_index_base_SI_SI_SI_bbb,@function
_ZN9rocsparseL38bsrgemm_block_per_row_atomic_multipassILj256ELj16ELj8Eii21rocsparse_complex_numIfEEEv20rocsparse_direction_T3_S4_PKS4_S6_NS_24const_host_device_scalarIT4_EEPKT2_S6_PKS8_SC_S6_SE_S9_SC_S6_SE_SC_PS4_PS8_PSA_21rocsparse_index_base_SI_SI_SI_bbb: ; @_ZN9rocsparseL38bsrgemm_block_per_row_atomic_multipassILj256ELj16ELj8Eii21rocsparse_complex_numIfEEEv20rocsparse_direction_T3_S4_PKS4_S6_NS_24const_host_device_scalarIT4_EEPKT2_S6_PKS8_SC_S6_SE_S9_SC_S6_SE_SC_PS4_PS8_PSA_21rocsparse_index_base_SI_SI_SI_bbb
; %bb.0:
	s_mov_b32 s2, s15
	s_clause 0x5
	s_load_b32 s3, s[0:1], 0xa8
	s_load_b256 s[12:19], s[0:1], 0x88
	s_load_b256 s[20:27], s[0:1], 0x68
	;; [unrolled: 1-line block ×3, first 2 shown]
	s_load_b128 s[4:7], s[0:1], 0x10
	s_load_b256 s[44:51], s[0:1], 0x28
	s_mov_b32 s35, 0
	s_mov_b32 s33, 0
	s_waitcnt lgkmcnt(0)
	s_bitcmp1_b32 s3, 0
	s_cselect_b32 s9, -1, 0
	s_bitcmp1_b32 s3, 16
	s_cselect_b32 s8, -1, 0
	s_delay_alu instid0(SALU_CYCLE_1) | instskip(SKIP_2) | instid1(VALU_DEP_1)
	s_xor_b32 s8, s8, -1
	s_bitcmp0_b32 s3, 0
	v_cndmask_b32_e64 v1, 0, 1, s8
	v_cmp_ne_u32_e32 vcc_lo, 1, v1
	s_cbranch_scc1 .LBB59_5
; %bb.1:
	s_load_b64 s[34:35], s[0:1], 0x20
	s_and_b32 vcc_lo, exec_lo, vcc_lo
	s_waitcnt lgkmcnt(0)
	s_mov_b32 s33, s34
	s_cbranch_vccnz .LBB59_3
; %bb.2:
	s_load_b32 s33, s[34:35], 0x0
.LBB59_3:
	s_and_not1_b32 vcc_lo, exec_lo, s8
	s_cbranch_vccnz .LBB59_5
; %bb.4:
	s_load_b32 s35, s[34:35], 0x4
.LBB59_5:
	s_bitcmp1_b32 s3, 8
	s_mov_b32 s53, 0
	s_cselect_b32 s34, -1, 0
	s_bfe_u32 s3, s3, 0x10008
	s_mov_b32 s52, 0
	s_cmp_eq_u32 s3, 0
	s_cbranch_scc1 .LBB59_11
; %bb.6:
	v_cmp_ne_u32_e32 vcc_lo, 1, v1
	s_mov_b32 s52, s40
	s_cbranch_vccnz .LBB59_8
; %bb.7:
	s_load_b32 s52, s[40:41], 0x0
.LBB59_8:
	v_cmp_ne_u32_e32 vcc_lo, 1, v1
	s_cbranch_vccnz .LBB59_10
; %bb.9:
	s_load_b32 s41, s[40:41], 0x4
.LBB59_10:
	s_waitcnt lgkmcnt(0)
	s_mov_b32 s53, s41
.LBB59_11:
	s_cmp_eq_u64 s[6:7], 0
	s_cbranch_scc1 .LBB59_13
; %bb.12:
	s_load_b32 s3, s[4:5], 0x0
	s_waitcnt lgkmcnt(0)
	s_add_i32 s2, s3, s2
	s_mov_b32 s3, 0
	s_delay_alu instid0(SALU_CYCLE_1) | instskip(NEXT) | instid1(SALU_CYCLE_1)
	s_lshl_b64 s[2:3], s[2:3], 2
	s_add_u32 s2, s6, s2
	s_addc_u32 s3, s7, s3
	s_load_b32 s2, s[2:3], 0x0
.LBB59_13:
	s_mov_b32 s40, 0
	s_and_not1_b32 vcc_lo, exec_lo, s9
	s_mov_b32 s41, 0
	s_cbranch_vccz .LBB59_16
; %bb.14:
	s_and_not1_b32 vcc_lo, exec_lo, s9
	s_cbranch_vccz .LBB59_17
.LBB59_15:
	s_load_b128 s[28:31], s[0:1], 0x0
	s_waitcnt lgkmcnt(0)
	s_cmp_lt_i32 s29, 1
	s_cbranch_scc0 .LBB59_18
	s_branch .LBB59_97
.LBB59_16:
	s_waitcnt lgkmcnt(0)
	s_ashr_i32 s3, s2, 31
	s_delay_alu instid0(SALU_CYCLE_1) | instskip(NEXT) | instid1(SALU_CYCLE_1)
	s_lshl_b64 s[4:5], s[2:3], 2
	s_add_u32 s4, s44, s4
	s_addc_u32 s5, s45, s5
	s_load_b32 s3, s[4:5], 0x0
	s_waitcnt lgkmcnt(0)
	s_sub_i32 s41, s3, s16
	s_and_not1_b32 vcc_lo, exec_lo, s9
	s_cbranch_vccnz .LBB59_15
.LBB59_17:
	s_waitcnt lgkmcnt(0)
	s_ashr_i32 s3, s2, 31
	s_delay_alu instid0(SALU_CYCLE_1) | instskip(NEXT) | instid1(SALU_CYCLE_1)
	s_lshl_b64 s[4:5], s[2:3], 2
	s_add_u32 s4, s44, s4
	s_addc_u32 s5, s45, s5
	s_load_b32 s3, s[4:5], 0x4
	s_waitcnt lgkmcnt(0)
	s_sub_i32 s40, s3, s16
	s_load_b128 s[28:31], s[0:1], 0x0
	s_waitcnt lgkmcnt(0)
	s_cmp_lt_i32 s29, 1
	s_cbranch_scc1 .LBB59_97
.LBB59_18:
	s_ashr_i32 s3, s2, 31
	v_bfe_u32 v2, v0, 3, 3
	s_lshl_b64 s[6:7], s[2:3], 2
	v_lshrrev_b32_e32 v12, 6, v0
	s_add_u32 s0, s24, s6
	s_addc_u32 s1, s25, s7
	v_and_b32_e32 v4, 15, v0
	s_load_b32 s4, s[0:1], 0x0
	v_cmp_gt_u32_e64 s0, 16, v0
	v_cmp_eq_u32_e64 s1, 0, v0
	v_lshl_or_b32 v15, v0, 2, 0x2800
	v_subrev_nc_u32_e32 v17, s19, v12
	v_lshl_or_b32 v25, v12, 2, 0x2800
	s_mul_i32 s45, s30, s30
	v_mov_b32_e32 v29, 16
	v_mov_b32_e32 v27, 1
	s_waitcnt lgkmcnt(0)
	s_sub_i32 s10, s4, s18
	s_delay_alu instid0(SALU_CYCLE_1) | instskip(SKIP_3) | instid1(VALU_DEP_1)
	v_dual_mov_b32 v26, s10 :: v_dual_and_b32 v1, 7, v0
	s_cmp_lt_i32 s41, s40
	s_cselect_b32 s11, -1, 0
	s_cmp_eq_u32 s28, 0
	v_max_i32_e32 v5, v1, v2
	s_cselect_b32 vcc_lo, -1, 0
	v_and_b32_e32 v3, 63, v0
	v_and_b32_e32 v14, 56, v0
	s_cmp_lg_u32 s28, 0
	v_cmp_gt_i32_e64 s4, s30, v5
	v_cmp_le_i32_e64 s5, s30, v5
	v_cmp_eq_u32_e64 s2, 63, v3
	v_lshlrev_b32_e32 v3, 2, v4
	v_lshlrev_b32_e32 v5, 9, v12
	s_cselect_b32 s28, -1, 0
	s_cmp_gt_i32 s30, 0
	s_delay_alu instid0(VALU_DEP_2)
	v_or_b32_e32 v18, 0x2800, v3
	v_add_nc_u32_e32 v20, 0x27f8, v3
	v_add_nc_u32_e32 v21, 0x27f0, v3
	v_dual_cndmask_b32 v3, v1, v2 :: v_dual_add_nc_u32 v22, 0x27e0, v3
	v_or3_b32 v23, v5, v14, 0x2000
	v_mov_b32_e32 v5, 0
	v_lshlrev_b32_e32 v13, 3, v0
	v_add_co_u32 v6, s31, v4, -1
	s_cselect_b32 s44, -1, 0
	s_add_u32 s24, s42, s6
	s_addc_u32 s25, s43, s7
	s_and_b32 s42, s9, s11
	s_movk_i32 s9, 0x7c0
	v_cmp_ne_u32_e64 s3, 0, v4
	v_lshl_add_u32 v19, v6, 2, 0x2800
	v_mov_b32_e32 v6, v5
	v_or_b32_e32 v16, 0x2000, v13
	v_cmp_lt_u32_e64 s6, 1, v4
	v_cmp_lt_u32_e64 s7, 3, v4
	;; [unrolled: 1-line block ×3, first 2 shown]
	v_cndmask_b32_e32 v4, v2, v1, vcc_lo
	v_or_b32_e32 v0, 0xffffff00, v0
	v_and_or_b32 v24, v13, s9, 0x2000
	v_mov_b32_e32 v28, v5
	s_add_u32 s43, s50, 4
	s_addc_u32 s54, s51, 0
	s_lshl_b32 s55, s45, 2
	s_branch .LBB59_20
.LBB59_19:                              ;   in Loop: Header=BB59_20 Depth=1
	s_set_inst_prefetch_distance 0x2
	s_or_b32 exec_lo, exec_lo, s9
	s_waitcnt_vscnt null, 0x0
	s_barrier
	buffer_gl0_inv
	ds_load_b32 v28, v5 offset:10304
	v_add_nc_u32_e32 v26, v9, v26
	s_waitcnt lgkmcnt(0)
	s_barrier
	buffer_gl0_inv
	v_cmp_le_i32_e32 vcc_lo, s29, v28
	v_add_nc_u32_e32 v29, 16, v28
	s_cbranch_vccnz .LBB59_97
.LBB59_20:                              ; =>This Loop Header: Depth=1
                                        ;     Child Loop BB59_23 Depth 2
                                        ;     Child Loop BB59_29 Depth 2
                                        ;       Child Loop BB59_43 Depth 3
                                        ;         Child Loop BB59_52 Depth 4
                                        ;         Child Loop BB59_57 Depth 4
                                        ;     Child Loop BB59_68 Depth 2
                                        ;     Child Loop BB59_77 Depth 2
	;; [unrolled: 1-line block ×3, first 2 shown]
	s_and_saveexec_b32 s9, s0
	s_cbranch_execz .LBB59_22
; %bb.21:                               ;   in Loop: Header=BB59_20 Depth=1
	ds_store_b32 v15, v5
.LBB59_22:                              ;   in Loop: Header=BB59_20 Depth=1
	s_or_b32 exec_lo, exec_lo, s9
	v_dual_mov_b32 v7, v13 :: v_dual_mov_b32 v8, v0
	s_mov_b32 s9, 0
.LBB59_23:                              ;   Parent Loop BB59_20 Depth=1
                                        ; =>  This Inner Loop Header: Depth=2
	s_delay_alu instid0(VALU_DEP_1) | instskip(SKIP_4) | instid1(SALU_CYCLE_1)
	v_add_nc_u32_e32 v8, 0x100, v8
	ds_store_b64 v7, v[5:6]
	v_add_nc_u32_e32 v7, 0x800, v7
	v_cmp_lt_u32_e32 vcc_lo, 0x2ff, v8
	s_or_b32 s9, vcc_lo, s9
	s_and_not1_b32 exec_lo, exec_lo, s9
	s_cbranch_execnz .LBB59_23
; %bb.24:                               ;   in Loop: Header=BB59_20 Depth=1
	s_or_b32 exec_lo, exec_lo, s9
	s_and_saveexec_b32 s9, s1
	s_cbranch_execz .LBB59_26
; %bb.25:                               ;   in Loop: Header=BB59_20 Depth=1
	v_mov_b32_e32 v7, s29
	ds_store_b32 v5, v7 offset:10304
.LBB59_26:                              ;   in Loop: Header=BB59_20 Depth=1
	s_or_b32 exec_lo, exec_lo, s9
	v_mov_b32_e32 v30, s29
	s_and_not1_b32 vcc_lo, exec_lo, s42
	s_waitcnt lgkmcnt(0)
	s_barrier
	buffer_gl0_inv
	s_cbranch_vccnz .LBB59_63
; %bb.27:                               ;   in Loop: Header=BB59_20 Depth=1
	v_cmp_ne_u32_e64 s9, 0, v28
	v_mov_b32_e32 v30, s29
	s_mov_b32 s56, s41
	s_branch .LBB59_29
.LBB59_28:                              ;   in Loop: Header=BB59_29 Depth=2
	s_or_b32 exec_lo, exec_lo, s11
	s_add_i32 s56, s56, 4
	s_delay_alu instid0(SALU_CYCLE_1)
	s_cmp_lt_i32 s56, s40
	s_cbranch_scc0 .LBB59_63
.LBB59_29:                              ;   Parent Loop BB59_20 Depth=1
                                        ; =>  This Loop Header: Depth=2
                                        ;       Child Loop BB59_43 Depth 3
                                        ;         Child Loop BB59_52 Depth 4
                                        ;         Child Loop BB59_57 Depth 4
	v_add_nc_u32_e32 v7, s56, v12
	s_waitcnt_vscnt null, 0x0
	s_barrier
	buffer_gl0_inv
	v_cmp_gt_i32_e64 s10, s40, v7
	s_delay_alu instid0(VALU_DEP_1)
	s_and_saveexec_b32 s11, s10
	s_cbranch_execz .LBB59_34
; %bb.30:                               ;   in Loop: Header=BB59_29 Depth=2
	s_and_saveexec_b32 s57, s5
	s_delay_alu instid0(SALU_CYCLE_1)
	s_xor_b32 s57, exec_lo, s57
	s_cbranch_execz .LBB59_32
; %bb.31:                               ;   in Loop: Header=BB59_29 Depth=2
	ds_store_b64 v16, v[5:6]
.LBB59_32:                              ;   in Loop: Header=BB59_29 Depth=2
	s_and_not1_saveexec_b32 s57, s57
	s_cbranch_execz .LBB59_34
; %bb.33:                               ;   in Loop: Header=BB59_29 Depth=2
	v_mad_u64_u32 v[8:9], null, v7, s30, v[2:3]
	s_delay_alu instid0(VALU_DEP_1) | instskip(NEXT) | instid1(VALU_DEP_1)
	v_mad_u64_u32 v[9:10], null, v8, s30, v[1:2]
	v_ashrrev_i32_e32 v10, 31, v9
	s_delay_alu instid0(VALU_DEP_1) | instskip(NEXT) | instid1(VALU_DEP_1)
	v_lshlrev_b64 v[8:9], 3, v[9:10]
	v_add_co_u32 v8, vcc_lo, s48, v8
	s_delay_alu instid0(VALU_DEP_2)
	v_add_co_ci_u32_e32 v9, vcc_lo, s49, v9, vcc_lo
	global_load_b64 v[8:9], v[8:9], off
	s_waitcnt vmcnt(0)
	ds_store_b64 v16, v[8:9]
.LBB59_34:                              ;   in Loop: Header=BB59_29 Depth=2
	s_or_b32 exec_lo, exec_lo, s11
	v_mov_b32_e32 v31, 0
	s_waitcnt lgkmcnt(0)
	s_barrier
	buffer_gl0_inv
	s_and_saveexec_b32 s57, s10
	s_cbranch_execz .LBB59_60
; %bb.35:                               ;   in Loop: Header=BB59_29 Depth=2
	v_ashrrev_i32_e32 v8, 31, v7
	s_delay_alu instid0(VALU_DEP_1) | instskip(NEXT) | instid1(VALU_DEP_1)
	v_lshlrev_b64 v[10:11], 2, v[7:8]
	v_add_co_u32 v8, vcc_lo, s46, v10
	s_delay_alu instid0(VALU_DEP_2) | instskip(SKIP_4) | instid1(VALU_DEP_1)
	v_add_co_ci_u32_e32 v9, vcc_lo, s47, v11, vcc_lo
	s_and_b32 vcc_lo, exec_lo, s9
	global_load_b32 v8, v[8:9], off
	s_waitcnt vmcnt(0)
	v_subrev_nc_u32_e32 v8, s16, v8
	v_ashrrev_i32_e32 v9, 31, v8
	s_cbranch_vccz .LBB59_62
; %bb.36:                               ;   in Loop: Header=BB59_29 Depth=2
	v_add_co_u32 v10, vcc_lo, s14, v10
	v_add_co_ci_u32_e32 v11, vcc_lo, s15, v11, vcc_lo
	global_load_b32 v31, v[10:11], off
	s_cbranch_execnz .LBB59_38
.LBB59_37:                              ;   in Loop: Header=BB59_29 Depth=2
	s_delay_alu instid0(VALU_DEP_1) | instskip(NEXT) | instid1(VALU_DEP_1)
	v_lshlrev_b64 v[10:11], 2, v[8:9]
	v_add_co_u32 v10, vcc_lo, s50, v10
	s_delay_alu instid0(VALU_DEP_2)
	v_add_co_ci_u32_e32 v11, vcc_lo, s51, v11, vcc_lo
	global_load_b32 v10, v[10:11], off
	s_waitcnt vmcnt(0)
	v_subrev_nc_u32_e32 v31, s17, v10
.LBB59_38:                              ;   in Loop: Header=BB59_29 Depth=2
	v_lshlrev_b64 v[8:9], 2, v[8:9]
	s_mov_b32 s58, exec_lo
	s_delay_alu instid0(VALU_DEP_1) | instskip(NEXT) | instid1(VALU_DEP_2)
	v_add_co_u32 v8, vcc_lo, s43, v8
	v_add_co_ci_u32_e32 v9, vcc_lo, s54, v9, vcc_lo
	global_load_b32 v8, v[8:9], off
	s_waitcnt vmcnt(0)
	v_subrev_nc_u32_e32 v32, s17, v8
	s_delay_alu instid0(VALU_DEP_1)
	v_cmpx_lt_i32_e64 v31, v32
	s_cbranch_execz .LBB59_59
; %bb.39:                               ;   in Loop: Header=BB59_29 Depth=2
	v_mad_u64_u32 v[8:9], null, s30, v31, v[1:2]
	s_mov_b32 s59, 0
	s_delay_alu instid0(VALU_DEP_1)
	v_mul_lo_u32 v33, s30, v8
	v_mad_u64_u32 v[8:9], null, s45, v31, v[1:2]
	v_mov_b32_e32 v9, v31
	s_branch .LBB59_43
.LBB59_40:                              ;   in Loop: Header=BB59_43 Depth=3
	s_delay_alu instid0(VALU_DEP_1) | instskip(SKIP_1) | instid1(VALU_DEP_2)
	v_mul_f32_e64 v11, v36, -s35
	v_lshlrev_b32_e32 v10, 6, v34
	v_dual_mul_f32 v34, s33, v36 :: v_dual_fmac_f32 v11, s33, v35
	s_delay_alu instid0(VALU_DEP_2) | instskip(NEXT) | instid1(VALU_DEP_2)
	v_or3_b32 v10, v10, v14, v1
	v_fmac_f32_e32 v34, s35, v35
	s_delay_alu instid0(VALU_DEP_2)
	v_lshlrev_b32_e32 v10, 3, v10
	ds_add_f32 v10, v11
	ds_add_f32 v10, v34 offset:4
.LBB59_41:                              ;   in Loop: Header=BB59_43 Depth=3
	s_or_b32 exec_lo, exec_lo, s62
	s_delay_alu instid0(SALU_CYCLE_1)
	s_or_b32 s60, s60, exec_lo
.LBB59_42:                              ;   in Loop: Header=BB59_43 Depth=3
	s_or_b32 exec_lo, exec_lo, s61
	v_add_nc_u32_e32 v9, 1, v9
	s_xor_b32 s11, s60, -1
	v_add_nc_u32_e32 v33, s45, v33
	v_add_nc_u32_e32 v8, s45, v8
	s_delay_alu instid0(VALU_DEP_3) | instskip(SKIP_1) | instid1(SALU_CYCLE_1)
	v_cmp_ge_i32_e32 vcc_lo, v9, v32
	s_or_b32 s11, s11, vcc_lo
	s_and_b32 s11, exec_lo, s11
	s_delay_alu instid0(SALU_CYCLE_1) | instskip(NEXT) | instid1(SALU_CYCLE_1)
	s_or_b32 s59, s11, s59
	s_and_not1_b32 exec_lo, exec_lo, s59
	s_cbranch_execz .LBB59_58
.LBB59_43:                              ;   Parent Loop BB59_20 Depth=1
                                        ;     Parent Loop BB59_29 Depth=2
                                        ; =>    This Loop Header: Depth=3
                                        ;         Child Loop BB59_52 Depth 4
                                        ;         Child Loop BB59_57 Depth 4
	s_delay_alu instid0(VALU_DEP_1) | instskip(NEXT) | instid1(VALU_DEP_1)
	v_ashrrev_i32_e32 v10, 31, v9
                                        ; implicit-def: $sgpr60
	v_lshlrev_b64 v[10:11], 2, v[9:10]
	s_delay_alu instid0(VALU_DEP_1) | instskip(NEXT) | instid1(VALU_DEP_2)
	v_add_co_u32 v10, vcc_lo, s36, v10
	v_add_co_ci_u32_e32 v11, vcc_lo, s37, v11, vcc_lo
	global_load_b32 v10, v[10:11], off
	s_waitcnt vmcnt(0)
	v_subrev_nc_u32_e32 v10, s17, v10
	s_delay_alu instid0(VALU_DEP_1) | instskip(SKIP_1) | instid1(VALU_DEP_2)
	v_cmp_lt_i32_e64 s11, v10, v28
	v_cmp_ge_i32_e32 vcc_lo, v10, v29
	s_or_b32 s11, s11, vcc_lo
	s_delay_alu instid0(SALU_CYCLE_1) | instskip(NEXT) | instid1(SALU_CYCLE_1)
	s_and_saveexec_b32 s61, s11
	s_xor_b32 s11, exec_lo, s61
	s_cbranch_execz .LBB59_47
; %bb.44:                               ;   in Loop: Header=BB59_43 Depth=3
	s_mov_b32 s60, -1
	s_and_saveexec_b32 s61, vcc_lo
; %bb.45:                               ;   in Loop: Header=BB59_43 Depth=3
	v_min_i32_e32 v30, v10, v30
	v_mov_b32_e32 v31, v9
	s_xor_b32 s60, exec_lo, -1
; %bb.46:                               ;   in Loop: Header=BB59_43 Depth=3
	s_or_b32 exec_lo, exec_lo, s61
	s_delay_alu instid0(SALU_CYCLE_1)
	s_and_b32 s60, s60, exec_lo
                                        ; implicit-def: $vgpr10
.LBB59_47:                              ;   in Loop: Header=BB59_43 Depth=3
	s_and_not1_saveexec_b32 s61, s11
	s_cbranch_execz .LBB59_42
; %bb.48:                               ;   in Loop: Header=BB59_43 Depth=3
	v_sub_nc_u32_e32 v34, v10, v28
	s_delay_alu instid0(VALU_DEP_1)
	v_lshlrev_b32_e32 v10, 2, v34
	ds_store_b32 v10, v27 offset:10240
	s_and_saveexec_b32 s62, s4
	s_cbranch_execz .LBB59_41
; %bb.49:                               ;   in Loop: Header=BB59_43 Depth=3
	v_cndmask_b32_e64 v10, 0, 1, s44
	s_and_not1_b32 vcc_lo, exec_lo, s28
	s_delay_alu instid0(VALU_DEP_1)
	v_cmp_ne_u32_e64 s11, 1, v10
	s_cbranch_vccnz .LBB59_54
; %bb.50:                               ;   in Loop: Header=BB59_43 Depth=3
	v_dual_mov_b32 v35, 0 :: v_dual_mov_b32 v36, 0
	s_delay_alu instid0(VALU_DEP_2)
	s_and_b32 vcc_lo, exec_lo, s11
	s_mov_b32 s11, 0
	s_cbranch_vccnz .LBB59_53
; %bb.51:                               ;   in Loop: Header=BB59_43 Depth=3
	v_dual_mov_b32 v35, 0 :: v_dual_mov_b32 v10, v33
	v_dual_mov_b32 v37, v23 :: v_dual_mov_b32 v36, 0
	s_mov_b32 s63, s30
	.p2align	6
.LBB59_52:                              ;   Parent Loop BB59_20 Depth=1
                                        ;     Parent Loop BB59_29 Depth=2
                                        ;       Parent Loop BB59_43 Depth=3
                                        ; =>      This Inner Loop Header: Depth=4
	s_delay_alu instid0(VALU_DEP_2)
	v_ashrrev_i32_e32 v11, 31, v10
	ds_load_b64 v[40:41], v37
	s_add_i32 s63, s63, -1
	v_add_nc_u32_e32 v37, 64, v37
	s_cmp_lg_u32 s63, 0
	v_lshlrev_b64 v[38:39], 3, v[10:11]
	v_add_nc_u32_e32 v10, 1, v10
	s_delay_alu instid0(VALU_DEP_2) | instskip(NEXT) | instid1(VALU_DEP_3)
	v_add_co_u32 v38, vcc_lo, s38, v38
	v_add_co_ci_u32_e32 v39, vcc_lo, s39, v39, vcc_lo
	global_load_b64 v[38:39], v[38:39], off
	s_waitcnt vmcnt(0) lgkmcnt(0)
	v_fmac_f32_e32 v35, v40, v38
	v_fmac_f32_e32 v36, v41, v38
	s_delay_alu instid0(VALU_DEP_2) | instskip(NEXT) | instid1(VALU_DEP_2)
	v_fma_f32 v35, -v41, v39, v35
	v_fmac_f32_e32 v36, v40, v39
	s_cbranch_scc1 .LBB59_52
.LBB59_53:                              ;   in Loop: Header=BB59_43 Depth=3
	s_and_not1_b32 vcc_lo, exec_lo, s11
	s_cbranch_vccnz .LBB59_40
	s_branch .LBB59_55
.LBB59_54:                              ;   in Loop: Header=BB59_43 Depth=3
                                        ; implicit-def: $vgpr35
                                        ; implicit-def: $vgpr36
.LBB59_55:                              ;   in Loop: Header=BB59_43 Depth=3
	v_dual_mov_b32 v35, 0 :: v_dual_mov_b32 v36, 0
	s_and_not1_b32 vcc_lo, exec_lo, s44
	s_cbranch_vccnz .LBB59_40
; %bb.56:                               ;   in Loop: Header=BB59_43 Depth=3
	v_dual_mov_b32 v35, 0 :: v_dual_mov_b32 v10, v8
	v_dual_mov_b32 v37, v24 :: v_dual_mov_b32 v36, 0
	s_mov_b32 s11, s30
	.p2align	6
.LBB59_57:                              ;   Parent Loop BB59_20 Depth=1
                                        ;     Parent Loop BB59_29 Depth=2
                                        ;       Parent Loop BB59_43 Depth=3
                                        ; =>      This Inner Loop Header: Depth=4
	s_delay_alu instid0(VALU_DEP_2)
	v_ashrrev_i32_e32 v11, 31, v10
	ds_load_b64 v[40:41], v37
	s_add_i32 s11, s11, -1
	v_add_nc_u32_e32 v37, 8, v37
	s_cmp_eq_u32 s11, 0
	v_lshlrev_b64 v[38:39], 3, v[10:11]
	v_add_nc_u32_e32 v10, s30, v10
	s_delay_alu instid0(VALU_DEP_2) | instskip(NEXT) | instid1(VALU_DEP_3)
	v_add_co_u32 v38, vcc_lo, s38, v38
	v_add_co_ci_u32_e32 v39, vcc_lo, s39, v39, vcc_lo
	global_load_b64 v[38:39], v[38:39], off
	s_waitcnt vmcnt(0) lgkmcnt(0)
	v_fmac_f32_e32 v35, v40, v38
	v_fmac_f32_e32 v36, v41, v38
	s_delay_alu instid0(VALU_DEP_2) | instskip(NEXT) | instid1(VALU_DEP_2)
	v_fma_f32 v35, -v41, v39, v35
	v_fmac_f32_e32 v36, v40, v39
	s_cbranch_scc0 .LBB59_57
	s_branch .LBB59_40
.LBB59_58:                              ;   in Loop: Header=BB59_29 Depth=2
	s_or_b32 exec_lo, exec_lo, s59
.LBB59_59:                              ;   in Loop: Header=BB59_29 Depth=2
	s_delay_alu instid0(SALU_CYCLE_1)
	s_or_b32 exec_lo, exec_lo, s58
.LBB59_60:                              ;   in Loop: Header=BB59_29 Depth=2
	s_delay_alu instid0(SALU_CYCLE_1)
	s_or_b32 exec_lo, exec_lo, s57
	s_waitcnt lgkmcnt(0)
	s_barrier
	buffer_gl0_inv
	s_and_saveexec_b32 s11, s10
	s_cbranch_execz .LBB59_28
; %bb.61:                               ;   in Loop: Header=BB59_29 Depth=2
	v_ashrrev_i32_e32 v8, 31, v7
	s_delay_alu instid0(VALU_DEP_1) | instskip(NEXT) | instid1(VALU_DEP_1)
	v_lshlrev_b64 v[7:8], 2, v[7:8]
	v_add_co_u32 v7, vcc_lo, s14, v7
	s_delay_alu instid0(VALU_DEP_2)
	v_add_co_ci_u32_e32 v8, vcc_lo, s15, v8, vcc_lo
	global_store_b32 v[7:8], v31, off
	s_branch .LBB59_28
.LBB59_62:                              ;   in Loop: Header=BB59_29 Depth=2
                                        ; implicit-def: $vgpr31
	s_branch .LBB59_37
.LBB59_63:                              ;   in Loop: Header=BB59_20 Depth=1
	s_and_not1_b32 vcc_lo, exec_lo, s34
	s_cbranch_vccnz .LBB59_75
; %bb.64:                               ;   in Loop: Header=BB59_20 Depth=1
	s_load_b64 s[10:11], s[24:25], 0x0
	s_waitcnt lgkmcnt(0)
	v_add_nc_u32_e32 v7, s10, v17
	s_sub_i32 s56, s11, s19
	s_mov_b32 s11, exec_lo
	s_delay_alu instid0(VALU_DEP_1)
	v_cmpx_gt_i32_e64 s56, v7
	s_cbranch_execz .LBB59_74
; %bb.65:                               ;   in Loop: Header=BB59_20 Depth=1
	v_mad_u64_u32 v[8:9], null, s30, v7, v[3:4]
	s_mov_b32 s57, 0
	s_delay_alu instid0(VALU_DEP_1)
	v_mad_u64_u32 v[9:10], null, s30, v8, v[4:5]
	s_branch .LBB59_68
.LBB59_66:                              ;   in Loop: Header=BB59_68 Depth=2
	s_or_b32 exec_lo, exec_lo, s58
	s_delay_alu instid0(SALU_CYCLE_1)
	s_or_b32 s9, s9, exec_lo
.LBB59_67:                              ;   in Loop: Header=BB59_68 Depth=2
	s_or_b32 exec_lo, exec_lo, s10
	v_add_nc_u32_e32 v7, 4, v7
	s_xor_b32 s9, s9, -1
	v_add_nc_u32_e32 v9, s55, v9
	s_delay_alu instid0(VALU_DEP_2) | instskip(SKIP_1) | instid1(SALU_CYCLE_1)
	v_cmp_le_i32_e32 vcc_lo, s56, v7
	s_or_b32 s9, vcc_lo, s9
	s_and_b32 s9, exec_lo, s9
	s_delay_alu instid0(SALU_CYCLE_1) | instskip(NEXT) | instid1(SALU_CYCLE_1)
	s_or_b32 s57, s9, s57
	s_and_not1_b32 exec_lo, exec_lo, s57
	s_cbranch_execz .LBB59_73
.LBB59_68:                              ;   Parent Loop BB59_20 Depth=1
                                        ; =>  This Inner Loop Header: Depth=2
	v_ashrrev_i32_e32 v8, 31, v7
	s_delay_alu instid0(VALU_DEP_1) | instskip(NEXT) | instid1(VALU_DEP_1)
	v_lshlrev_b64 v[10:11], 2, v[7:8]
	v_add_co_u32 v10, vcc_lo, s20, v10
	s_delay_alu instid0(VALU_DEP_2) | instskip(SKIP_3) | instid1(VALU_DEP_1)
	v_add_co_ci_u32_e32 v11, vcc_lo, s21, v11, vcc_lo
	global_load_b32 v8, v[10:11], off
	s_waitcnt vmcnt(0)
	v_subrev_nc_u32_e32 v8, s19, v8
	v_cmp_lt_i32_e64 s9, v8, v28
	v_cmp_ge_i32_e64 s10, v8, v29
	v_cmp_lt_i32_e32 vcc_lo, v8, v29
	s_delay_alu instid0(VALU_DEP_2) | instskip(NEXT) | instid1(SALU_CYCLE_1)
	s_or_b32 s10, s9, s10
                                        ; implicit-def: $sgpr9
	s_and_saveexec_b32 s58, s10
	s_delay_alu instid0(SALU_CYCLE_1)
	s_xor_b32 s10, exec_lo, s58
; %bb.69:                               ;   in Loop: Header=BB59_68 Depth=2
	v_min_i32_e32 v8, v8, v30
	s_and_b32 s9, vcc_lo, exec_lo
	s_delay_alu instid0(VALU_DEP_1)
	v_cndmask_b32_e32 v30, v8, v30, vcc_lo
                                        ; implicit-def: $vgpr8
; %bb.70:                               ;   in Loop: Header=BB59_68 Depth=2
	s_and_not1_saveexec_b32 s10, s10
	s_cbranch_execz .LBB59_67
; %bb.71:                               ;   in Loop: Header=BB59_68 Depth=2
	v_sub_nc_u32_e32 v8, v8, v28
	s_delay_alu instid0(VALU_DEP_1)
	v_lshlrev_b32_e32 v10, 2, v8
	ds_store_b32 v10, v27 offset:10240
	s_and_saveexec_b32 s58, s4
	s_cbranch_execz .LBB59_66
; %bb.72:                               ;   in Loop: Header=BB59_68 Depth=2
	v_ashrrev_i32_e32 v10, 31, v9
	s_delay_alu instid0(VALU_DEP_1) | instskip(NEXT) | instid1(VALU_DEP_1)
	v_lshlrev_b64 v[10:11], 3, v[9:10]
	v_add_co_u32 v10, vcc_lo, s22, v10
	s_delay_alu instid0(VALU_DEP_2)
	v_add_co_ci_u32_e32 v11, vcc_lo, s23, v11, vcc_lo
	global_load_b64 v[10:11], v[10:11], off
	v_lshlrev_b32_e32 v8, 6, v8
	s_waitcnt vmcnt(0)
	v_mul_f32_e64 v31, v11, -s53
	v_mul_f32_e32 v11, s52, v11
	s_delay_alu instid0(VALU_DEP_3) | instskip(NEXT) | instid1(VALU_DEP_3)
	v_or3_b32 v8, v8, v14, v1
	v_fmac_f32_e32 v31, s52, v10
	s_delay_alu instid0(VALU_DEP_2)
	v_dual_fmac_f32 v11, s53, v10 :: v_dual_lshlrev_b32 v8, 3, v8
	ds_add_f32 v8, v31
	ds_add_f32 v8, v11 offset:4
	s_branch .LBB59_66
.LBB59_73:                              ;   in Loop: Header=BB59_20 Depth=1
	s_or_b32 exec_lo, exec_lo, s57
.LBB59_74:                              ;   in Loop: Header=BB59_20 Depth=1
	s_delay_alu instid0(SALU_CYCLE_1)
	s_or_b32 exec_lo, exec_lo, s11
.LBB59_75:                              ;   in Loop: Header=BB59_20 Depth=1
	s_and_saveexec_b32 s9, s2
	s_cbranch_execz .LBB59_80
; %bb.76:                               ;   in Loop: Header=BB59_20 Depth=1
	s_mov_b32 s11, exec_lo
	s_brev_b32 s10, -2
.LBB59_77:                              ;   Parent Loop BB59_20 Depth=1
                                        ; =>  This Inner Loop Header: Depth=2
	s_ctz_i32_b32 s56, s11
	s_delay_alu instid0(SALU_CYCLE_1) | instskip(SKIP_1) | instid1(SALU_CYCLE_1)
	v_readlane_b32 s57, v30, s56
	s_lshl_b32 s56, 1, s56
	s_and_not1_b32 s11, s11, s56
	s_delay_alu instid0(VALU_DEP_1)
	s_min_i32 s10, s10, s57
	s_cmp_lg_u32 s11, 0
	s_cbranch_scc1 .LBB59_77
; %bb.78:                               ;   in Loop: Header=BB59_20 Depth=1
	v_mbcnt_lo_u32_b32 v7, exec_lo, 0
	s_mov_b32 s11, exec_lo
	s_delay_alu instid0(VALU_DEP_1)
	v_cmpx_eq_u32_e32 0, v7
	s_xor_b32 s11, exec_lo, s11
	s_cbranch_execz .LBB59_80
; %bb.79:                               ;   in Loop: Header=BB59_20 Depth=1
	v_mov_b32_e32 v7, s10
	ds_min_i32 v5, v7 offset:10304
.LBB59_80:                              ;   in Loop: Header=BB59_20 Depth=1
	s_or_b32 exec_lo, exec_lo, s9
	s_waitcnt lgkmcnt(0)
	s_waitcnt_vscnt null, 0x0
	s_barrier
	buffer_gl0_inv
	ds_load_b32 v7, v18
	s_waitcnt lgkmcnt(0)
	s_barrier
	buffer_gl0_inv
	s_and_saveexec_b32 s9, s3
	s_cbranch_execz .LBB59_82
; %bb.81:                               ;   in Loop: Header=BB59_20 Depth=1
	ds_load_b32 v8, v19
	s_waitcnt lgkmcnt(0)
	v_add_nc_u32_e32 v7, v8, v7
.LBB59_82:                              ;   in Loop: Header=BB59_20 Depth=1
	s_or_b32 exec_lo, exec_lo, s9
	s_barrier
	buffer_gl0_inv
	ds_store_b32 v18, v7
	s_waitcnt lgkmcnt(0)
	s_barrier
	buffer_gl0_inv
	s_and_saveexec_b32 s9, s6
	s_cbranch_execz .LBB59_84
; %bb.83:                               ;   in Loop: Header=BB59_20 Depth=1
	ds_load_b32 v8, v20
	s_waitcnt lgkmcnt(0)
	v_add_nc_u32_e32 v7, v8, v7
.LBB59_84:                              ;   in Loop: Header=BB59_20 Depth=1
	s_or_b32 exec_lo, exec_lo, s9
	s_barrier
	buffer_gl0_inv
	ds_store_b32 v18, v7
	;; [unrolled: 14-line block ×4, first 2 shown]
	s_waitcnt lgkmcnt(0)
	s_barrier
	buffer_gl0_inv
	ds_load_b32 v9, v5 offset:10300
	v_mov_b32_e32 v8, 0
	s_and_saveexec_b32 s9, s31
	s_cbranch_execz .LBB59_90
; %bb.89:                               ;   in Loop: Header=BB59_20 Depth=1
	ds_load_b32 v8, v19
.LBB59_90:                              ;   in Loop: Header=BB59_20 Depth=1
	s_or_b32 exec_lo, exec_lo, s9
	s_waitcnt lgkmcnt(0)
	v_cmp_eq_u32_e32 vcc_lo, v7, v8
	s_barrier
	buffer_gl0_inv
	s_and_b32 s10, s31, vcc_lo
	s_delay_alu instid0(SALU_CYCLE_1)
	s_and_saveexec_b32 s9, s10
	s_cbranch_execz .LBB59_92
; %bb.91:                               ;   in Loop: Header=BB59_20 Depth=1
	ds_store_b32 v18, v5
.LBB59_92:                              ;   in Loop: Header=BB59_20 Depth=1
	s_or_b32 exec_lo, exec_lo, s9
	v_dual_mov_b32 v29, v13 :: v_dual_add_nc_u32 v10, -1, v26
	v_dual_mov_b32 v28, v25 :: v_dual_add_nc_u32 v11, s18, v28
	v_mov_b32_e32 v30, v12
	s_mov_b32 s9, 0
	s_waitcnt lgkmcnt(0)
	s_barrier
	buffer_gl0_inv
	s_set_inst_prefetch_distance 0x1
	s_branch .LBB59_94
	.p2align	6
.LBB59_93:                              ;   in Loop: Header=BB59_94 Depth=2
	s_or_b32 exec_lo, exec_lo, s10
	v_add_nc_u32_e32 v7, 4, v30
	v_cmp_lt_u32_e32 vcc_lo, 11, v30
	v_add_nc_u32_e32 v29, 0x800, v29
	v_add_nc_u32_e32 v28, 16, v28
	s_delay_alu instid0(VALU_DEP_4) | instskip(SKIP_1) | instid1(SALU_CYCLE_1)
	v_mov_b32_e32 v30, v7
	s_or_b32 s9, vcc_lo, s9
	s_and_not1_b32 exec_lo, exec_lo, s9
	s_cbranch_execz .LBB59_19
.LBB59_94:                              ;   Parent Loop BB59_20 Depth=1
                                        ; =>  This Inner Loop Header: Depth=2
	ds_load_b32 v7, v28
	s_mov_b32 s10, exec_lo
	s_waitcnt lgkmcnt(0)
	v_cmpx_ne_u32_e32 0, v7
	s_cbranch_execz .LBB59_93
; %bb.95:                               ;   in Loop: Header=BB59_94 Depth=2
	v_add_nc_u32_e32 v7, v10, v7
	s_delay_alu instid0(VALU_DEP_1) | instskip(NEXT) | instid1(VALU_DEP_1)
	v_ashrrev_i32_e32 v8, 31, v7
	v_lshlrev_b64 v[31:32], 2, v[7:8]
	v_add_nc_u32_e32 v8, v11, v30
	s_delay_alu instid0(VALU_DEP_2) | instskip(NEXT) | instid1(VALU_DEP_3)
	v_add_co_u32 v31, vcc_lo, s26, v31
	v_add_co_ci_u32_e32 v32, vcc_lo, s27, v32, vcc_lo
	global_store_b32 v[31:32], v8, off
	s_and_b32 exec_lo, exec_lo, s4
	s_cbranch_execz .LBB59_93
; %bb.96:                               ;   in Loop: Header=BB59_94 Depth=2
	v_mad_u64_u32 v[31:32], null, v7, s30, v[3:4]
	s_delay_alu instid0(VALU_DEP_1) | instskip(SKIP_2) | instid1(VALU_DEP_1)
	v_mad_u64_u32 v[7:8], null, v31, s30, v[4:5]
	ds_load_b64 v[31:32], v29
	v_ashrrev_i32_e32 v8, 31, v7
	v_lshlrev_b64 v[7:8], 3, v[7:8]
	s_delay_alu instid0(VALU_DEP_1) | instskip(NEXT) | instid1(VALU_DEP_2)
	v_add_co_u32 v7, vcc_lo, s12, v7
	v_add_co_ci_u32_e32 v8, vcc_lo, s13, v8, vcc_lo
	s_waitcnt lgkmcnt(0)
	global_store_b64 v[7:8], v[31:32], off
	s_branch .LBB59_93
.LBB59_97:
	s_endpgm
	.section	.rodata,"a",@progbits
	.p2align	6, 0x0
	.amdhsa_kernel _ZN9rocsparseL38bsrgemm_block_per_row_atomic_multipassILj256ELj16ELj8Eii21rocsparse_complex_numIfEEEv20rocsparse_direction_T3_S4_PKS4_S6_NS_24const_host_device_scalarIT4_EEPKT2_S6_PKS8_SC_S6_SE_S9_SC_S6_SE_SC_PS4_PS8_PSA_21rocsparse_index_base_SI_SI_SI_bbb
		.amdhsa_group_segment_fixed_size 10308
		.amdhsa_private_segment_fixed_size 0
		.amdhsa_kernarg_size 172
		.amdhsa_user_sgpr_count 15
		.amdhsa_user_sgpr_dispatch_ptr 0
		.amdhsa_user_sgpr_queue_ptr 0
		.amdhsa_user_sgpr_kernarg_segment_ptr 1
		.amdhsa_user_sgpr_dispatch_id 0
		.amdhsa_user_sgpr_private_segment_size 0
		.amdhsa_wavefront_size32 1
		.amdhsa_uses_dynamic_stack 0
		.amdhsa_enable_private_segment 0
		.amdhsa_system_sgpr_workgroup_id_x 1
		.amdhsa_system_sgpr_workgroup_id_y 0
		.amdhsa_system_sgpr_workgroup_id_z 0
		.amdhsa_system_sgpr_workgroup_info 0
		.amdhsa_system_vgpr_workitem_id 0
		.amdhsa_next_free_vgpr 42
		.amdhsa_next_free_sgpr 64
		.amdhsa_reserve_vcc 1
		.amdhsa_float_round_mode_32 0
		.amdhsa_float_round_mode_16_64 0
		.amdhsa_float_denorm_mode_32 3
		.amdhsa_float_denorm_mode_16_64 3
		.amdhsa_dx10_clamp 1
		.amdhsa_ieee_mode 1
		.amdhsa_fp16_overflow 0
		.amdhsa_workgroup_processor_mode 1
		.amdhsa_memory_ordered 1
		.amdhsa_forward_progress 0
		.amdhsa_shared_vgpr_count 0
		.amdhsa_exception_fp_ieee_invalid_op 0
		.amdhsa_exception_fp_denorm_src 0
		.amdhsa_exception_fp_ieee_div_zero 0
		.amdhsa_exception_fp_ieee_overflow 0
		.amdhsa_exception_fp_ieee_underflow 0
		.amdhsa_exception_fp_ieee_inexact 0
		.amdhsa_exception_int_div_zero 0
	.end_amdhsa_kernel
	.section	.text._ZN9rocsparseL38bsrgemm_block_per_row_atomic_multipassILj256ELj16ELj8Eii21rocsparse_complex_numIfEEEv20rocsparse_direction_T3_S4_PKS4_S6_NS_24const_host_device_scalarIT4_EEPKT2_S6_PKS8_SC_S6_SE_S9_SC_S6_SE_SC_PS4_PS8_PSA_21rocsparse_index_base_SI_SI_SI_bbb,"axG",@progbits,_ZN9rocsparseL38bsrgemm_block_per_row_atomic_multipassILj256ELj16ELj8Eii21rocsparse_complex_numIfEEEv20rocsparse_direction_T3_S4_PKS4_S6_NS_24const_host_device_scalarIT4_EEPKT2_S6_PKS8_SC_S6_SE_S9_SC_S6_SE_SC_PS4_PS8_PSA_21rocsparse_index_base_SI_SI_SI_bbb,comdat
.Lfunc_end59:
	.size	_ZN9rocsparseL38bsrgemm_block_per_row_atomic_multipassILj256ELj16ELj8Eii21rocsparse_complex_numIfEEEv20rocsparse_direction_T3_S4_PKS4_S6_NS_24const_host_device_scalarIT4_EEPKT2_S6_PKS8_SC_S6_SE_S9_SC_S6_SE_SC_PS4_PS8_PSA_21rocsparse_index_base_SI_SI_SI_bbb, .Lfunc_end59-_ZN9rocsparseL38bsrgemm_block_per_row_atomic_multipassILj256ELj16ELj8Eii21rocsparse_complex_numIfEEEv20rocsparse_direction_T3_S4_PKS4_S6_NS_24const_host_device_scalarIT4_EEPKT2_S6_PKS8_SC_S6_SE_S9_SC_S6_SE_SC_PS4_PS8_PSA_21rocsparse_index_base_SI_SI_SI_bbb
                                        ; -- End function
	.section	.AMDGPU.csdata,"",@progbits
; Kernel info:
; codeLenInByte = 3276
; NumSgprs: 66
; NumVgprs: 42
; ScratchSize: 0
; MemoryBound: 0
; FloatMode: 240
; IeeeMode: 1
; LDSByteSize: 10308 bytes/workgroup (compile time only)
; SGPRBlocks: 8
; VGPRBlocks: 5
; NumSGPRsForWavesPerEU: 66
; NumVGPRsForWavesPerEU: 42
; Occupancy: 16
; WaveLimiterHint : 1
; COMPUTE_PGM_RSRC2:SCRATCH_EN: 0
; COMPUTE_PGM_RSRC2:USER_SGPR: 15
; COMPUTE_PGM_RSRC2:TRAP_HANDLER: 0
; COMPUTE_PGM_RSRC2:TGID_X_EN: 1
; COMPUTE_PGM_RSRC2:TGID_Y_EN: 0
; COMPUTE_PGM_RSRC2:TGID_Z_EN: 0
; COMPUTE_PGM_RSRC2:TIDIG_COMP_CNT: 0
	.section	.text._ZN9rocsparseL38bsrgemm_block_per_row_atomic_multipassILj256ELj32ELj8Eii21rocsparse_complex_numIfEEEv20rocsparse_direction_T3_S4_PKS4_S6_NS_24const_host_device_scalarIT4_EEPKT2_S6_PKS8_SC_S6_SE_S9_SC_S6_SE_SC_PS4_PS8_PSA_21rocsparse_index_base_SI_SI_SI_bbb,"axG",@progbits,_ZN9rocsparseL38bsrgemm_block_per_row_atomic_multipassILj256ELj32ELj8Eii21rocsparse_complex_numIfEEEv20rocsparse_direction_T3_S4_PKS4_S6_NS_24const_host_device_scalarIT4_EEPKT2_S6_PKS8_SC_S6_SE_S9_SC_S6_SE_SC_PS4_PS8_PSA_21rocsparse_index_base_SI_SI_SI_bbb,comdat
	.globl	_ZN9rocsparseL38bsrgemm_block_per_row_atomic_multipassILj256ELj32ELj8Eii21rocsparse_complex_numIfEEEv20rocsparse_direction_T3_S4_PKS4_S6_NS_24const_host_device_scalarIT4_EEPKT2_S6_PKS8_SC_S6_SE_S9_SC_S6_SE_SC_PS4_PS8_PSA_21rocsparse_index_base_SI_SI_SI_bbb ; -- Begin function _ZN9rocsparseL38bsrgemm_block_per_row_atomic_multipassILj256ELj32ELj8Eii21rocsparse_complex_numIfEEEv20rocsparse_direction_T3_S4_PKS4_S6_NS_24const_host_device_scalarIT4_EEPKT2_S6_PKS8_SC_S6_SE_S9_SC_S6_SE_SC_PS4_PS8_PSA_21rocsparse_index_base_SI_SI_SI_bbb
	.p2align	8
	.type	_ZN9rocsparseL38bsrgemm_block_per_row_atomic_multipassILj256ELj32ELj8Eii21rocsparse_complex_numIfEEEv20rocsparse_direction_T3_S4_PKS4_S6_NS_24const_host_device_scalarIT4_EEPKT2_S6_PKS8_SC_S6_SE_S9_SC_S6_SE_SC_PS4_PS8_PSA_21rocsparse_index_base_SI_SI_SI_bbb,@function
_ZN9rocsparseL38bsrgemm_block_per_row_atomic_multipassILj256ELj32ELj8Eii21rocsparse_complex_numIfEEEv20rocsparse_direction_T3_S4_PKS4_S6_NS_24const_host_device_scalarIT4_EEPKT2_S6_PKS8_SC_S6_SE_S9_SC_S6_SE_SC_PS4_PS8_PSA_21rocsparse_index_base_SI_SI_SI_bbb: ; @_ZN9rocsparseL38bsrgemm_block_per_row_atomic_multipassILj256ELj32ELj8Eii21rocsparse_complex_numIfEEEv20rocsparse_direction_T3_S4_PKS4_S6_NS_24const_host_device_scalarIT4_EEPKT2_S6_PKS8_SC_S6_SE_S9_SC_S6_SE_SC_PS4_PS8_PSA_21rocsparse_index_base_SI_SI_SI_bbb
; %bb.0:
	s_clause 0x5
	s_load_b32 s3, s[0:1], 0xa8
	s_load_b256 s[16:23], s[0:1], 0x88
	s_load_b256 s[24:31], s[0:1], 0x68
	;; [unrolled: 1-line block ×3, first 2 shown]
	s_load_b128 s[4:7], s[0:1], 0x10
	s_load_b256 s[44:51], s[0:1], 0x28
	s_mov_b32 s2, s15
	s_mov_b32 s35, 0
	;; [unrolled: 1-line block ×3, first 2 shown]
	s_waitcnt lgkmcnt(0)
	s_bitcmp1_b32 s3, 0
	s_cselect_b32 s13, -1, 0
	s_bitcmp1_b32 s3, 16
	s_cselect_b32 s8, -1, 0
	s_delay_alu instid0(SALU_CYCLE_1) | instskip(SKIP_2) | instid1(VALU_DEP_1)
	s_xor_b32 s8, s8, -1
	s_bitcmp0_b32 s3, 0
	v_cndmask_b32_e64 v1, 0, 1, s8
	v_cmp_ne_u32_e32 vcc_lo, 1, v1
	s_cbranch_scc1 .LBB60_5
; %bb.1:
	s_load_b64 s[34:35], s[0:1], 0x20
	s_and_b32 vcc_lo, exec_lo, vcc_lo
	s_waitcnt lgkmcnt(0)
	s_mov_b32 s33, s34
	s_cbranch_vccnz .LBB60_3
; %bb.2:
	s_load_b32 s33, s[34:35], 0x0
.LBB60_3:
	s_and_not1_b32 vcc_lo, exec_lo, s8
	s_cbranch_vccnz .LBB60_5
; %bb.4:
	s_load_b32 s35, s[34:35], 0x4
.LBB60_5:
	s_bitcmp1_b32 s3, 8
	s_mov_b32 s57, 0
	s_cselect_b32 s34, -1, 0
	s_bfe_u32 s3, s3, 0x10008
	s_mov_b32 s56, 0
	s_cmp_eq_u32 s3, 0
	s_cbranch_scc1 .LBB60_11
; %bb.6:
	v_cmp_ne_u32_e32 vcc_lo, 1, v1
	s_mov_b32 s56, s40
	s_cbranch_vccnz .LBB60_8
; %bb.7:
	s_load_b32 s56, s[40:41], 0x0
.LBB60_8:
	v_cmp_ne_u32_e32 vcc_lo, 1, v1
	s_cbranch_vccnz .LBB60_10
; %bb.9:
	s_load_b32 s41, s[40:41], 0x4
.LBB60_10:
	s_waitcnt lgkmcnt(0)
	s_mov_b32 s57, s41
.LBB60_11:
	s_cmp_eq_u64 s[6:7], 0
	s_cbranch_scc1 .LBB60_13
; %bb.12:
	s_load_b32 s3, s[4:5], 0x0
	s_waitcnt lgkmcnt(0)
	s_add_i32 s2, s3, s2
	s_mov_b32 s3, 0
	s_delay_alu instid0(SALU_CYCLE_1) | instskip(NEXT) | instid1(SALU_CYCLE_1)
	s_lshl_b64 s[2:3], s[2:3], 2
	s_add_u32 s2, s6, s2
	s_addc_u32 s3, s7, s3
	s_load_b32 s2, s[2:3], 0x0
.LBB60_13:
	s_mov_b32 s40, 0
	s_and_not1_b32 vcc_lo, exec_lo, s13
	s_mov_b32 s41, 0
	s_cbranch_vccz .LBB60_16
; %bb.14:
	s_and_not1_b32 vcc_lo, exec_lo, s13
	s_cbranch_vccz .LBB60_17
.LBB60_15:
	s_load_b128 s[52:55], s[0:1], 0x0
	s_waitcnt lgkmcnt(0)
	s_cmp_lt_i32 s53, 1
	s_cbranch_scc0 .LBB60_18
	s_branch .LBB60_103
.LBB60_16:
	s_waitcnt lgkmcnt(0)
	s_ashr_i32 s3, s2, 31
	s_delay_alu instid0(SALU_CYCLE_1) | instskip(NEXT) | instid1(SALU_CYCLE_1)
	s_lshl_b64 s[4:5], s[2:3], 2
	s_add_u32 s4, s44, s4
	s_addc_u32 s5, s45, s5
	s_load_b32 s3, s[4:5], 0x0
	s_waitcnt lgkmcnt(0)
	s_sub_i32 s41, s3, s20
	s_and_not1_b32 vcc_lo, exec_lo, s13
	s_cbranch_vccnz .LBB60_15
.LBB60_17:
	s_waitcnt lgkmcnt(0)
	s_ashr_i32 s3, s2, 31
	s_delay_alu instid0(SALU_CYCLE_1) | instskip(NEXT) | instid1(SALU_CYCLE_1)
	s_lshl_b64 s[4:5], s[2:3], 2
	s_add_u32 s4, s44, s4
	s_addc_u32 s5, s45, s5
	s_load_b32 s3, s[4:5], 0x4
	s_waitcnt lgkmcnt(0)
	s_sub_i32 s40, s3, s20
	s_load_b128 s[52:55], s[0:1], 0x0
	s_waitcnt lgkmcnt(0)
	s_cmp_lt_i32 s53, 1
	s_cbranch_scc1 .LBB60_103
.LBB60_18:
	s_ashr_i32 s3, s2, 31
	v_dual_mov_b32 v32, 32 :: v_dual_and_b32 v1, 7, v0
	s_lshl_b64 s[6:7], s[2:3], 2
	v_bfe_u32 v2, v0, 3, 3
	s_add_u32 s0, s28, s6
	s_addc_u32 s1, s29, s7
	v_lshrrev_b32_e32 v14, 6, v0
	s_load_b32 s3, s[0:1], 0x0
	v_max_i32_e32 v5, v1, v2
	v_and_b32_e32 v4, 31, v0
	s_mov_b32 s14, 0
	v_cmp_gt_u32_e64 s0, 32, v0
	v_cmp_eq_u32_e64 s1, 0, v0
	v_cmp_le_i32_e64 s4, s54, v5
	v_lshl_or_b32 v17, v0, 2, 0x4800
	v_cmp_gt_u32_e64 s11, 0x200, v0
	v_cmp_gt_u32_e64 s12, 0x100, v0
	v_subrev_nc_u32_e32 v19, s23, v14
	v_lshl_or_b32 v27, v14, 2, 0x4800
	v_dual_mov_b32 v29, 0 :: v_dual_mov_b32 v30, 1
	v_mov_b32_e32 v31, 0
	s_waitcnt lgkmcnt(0)
	s_sub_i32 s15, s3, s22
	s_cmp_lt_i32 s41, s40
	v_cmp_gt_i32_e64 s3, s54, v5
	s_cselect_b32 s55, -1, 0
	s_cmp_eq_u32 s52, 0
	v_or_b32_e32 v5, 0x400, v0
	s_cselect_b32 vcc_lo, -1, 0
	v_and_b32_e32 v3, 63, v0
	v_dual_mov_b32 v28, s15 :: v_dual_lshlrev_b32 v15, 3, v0
	v_and_b32_e32 v16, 56, v0
	v_cmp_gt_u32_e64 s10, 0x700, v5
	s_delay_alu instid0(VALU_DEP_4)
	v_cmp_eq_u32_e64 s2, 63, v3
	v_lshlrev_b32_e32 v5, 9, v14
	s_mov_b32 s15, s14
	v_lshlrev_b32_e32 v3, 2, v4
	s_cmp_lg_u32 s52, 0
	v_dual_mov_b32 v7, s14 :: v_dual_mov_b32 v8, s15
	s_cselect_b32 s45, -1, 0
	s_delay_alu instid0(VALU_DEP_2)
	v_or_b32_e32 v20, 0x4800, v3
	s_cmp_gt_i32 s54, 0
	v_add_nc_u32_e32 v22, 0x47f8, v3
	v_add_nc_u32_e32 v23, 0x47f0, v3
	v_add_nc_u32_e32 v24, 0x47e0, v3
	v_add_nc_u32_e32 v25, 0x47c0, v3
	v_cndmask_b32_e32 v3, v1, v2, vcc_lo
	v_or3_b32 v0, v5, v16, 0x4000
	v_mov_b32_e32 v5, 0
	v_add_co_u32 v6, s44, v4, -1
	s_cselect_b32 s52, -1, 0
	s_add_u32 s28, s42, s6
	s_addc_u32 s29, s43, s7
	s_and_b32 s42, s13, s55
	s_movk_i32 s13, 0x7c0
	v_or_b32_e32 v18, 0x4000, v15
	v_lshl_add_u32 v21, v6, 2, 0x4800
	v_cmp_ne_u32_e64 s5, 0, v4
	v_cmp_lt_u32_e64 s6, 1, v4
	v_cmp_lt_u32_e64 s7, 3, v4
	;; [unrolled: 1-line block ×4, first 2 shown]
	v_cndmask_b32_e32 v4, v2, v1, vcc_lo
	v_and_or_b32 v26, v15, s13, 0x4000
	s_mul_i32 s55, s54, s54
	s_add_u32 s43, s50, 4
	s_addc_u32 s58, s51, 0
	s_lshl_b32 s59, s55, 2
	s_branch .LBB60_20
.LBB60_19:                              ;   in Loop: Header=BB60_20 Depth=1
	s_set_inst_prefetch_distance 0x2
	s_or_b32 exec_lo, exec_lo, s13
	s_waitcnt_vscnt null, 0x0
	s_barrier
	buffer_gl0_inv
	ds_load_b32 v31, v29 offset:18560
	v_add_nc_u32_e32 v28, v6, v28
	s_waitcnt lgkmcnt(0)
	s_barrier
	buffer_gl0_inv
	v_cmp_le_i32_e32 vcc_lo, s53, v31
	v_add_nc_u32_e32 v32, 32, v31
	s_cbranch_vccnz .LBB60_103
.LBB60_20:                              ; =>This Loop Header: Depth=1
                                        ;     Child Loop BB60_33 Depth 2
                                        ;       Child Loop BB60_47 Depth 3
                                        ;         Child Loop BB60_56 Depth 4
                                        ;         Child Loop BB60_61 Depth 4
                                        ;     Child Loop BB60_72 Depth 2
                                        ;     Child Loop BB60_81 Depth 2
	;; [unrolled: 1-line block ×3, first 2 shown]
	s_and_saveexec_b32 s13, s0
	s_cbranch_execz .LBB60_22
; %bb.21:                               ;   in Loop: Header=BB60_20 Depth=1
	ds_store_b32 v17, v29
.LBB60_22:                              ;   in Loop: Header=BB60_20 Depth=1
	s_or_b32 exec_lo, exec_lo, s13
	ds_store_2addr_stride64_b64 v15, v[7:8], v[7:8] offset1:4
	ds_store_2addr_stride64_b64 v15, v[7:8], v[7:8] offset0:8 offset1:12
	ds_store_b64 v15, v[7:8] offset:8192
	s_and_saveexec_b32 s13, s10
	s_delay_alu instid0(SALU_CYCLE_1)
	s_xor_b32 s13, exec_lo, s13
	s_cbranch_execz .LBB60_28
; %bb.23:                               ;   in Loop: Header=BB60_20 Depth=1
	v_mov_b32_e32 v6, v5
	ds_store_b64 v15, v[5:6] offset:10240
	s_and_saveexec_b32 s14, s11
	s_delay_alu instid0(SALU_CYCLE_1)
	s_xor_b32 s14, exec_lo, s14
	s_cbranch_execz .LBB60_27
; %bb.24:                               ;   in Loop: Header=BB60_20 Depth=1
	ds_store_b64 v15, v[5:6] offset:12288
	s_and_saveexec_b32 s15, s12
	s_delay_alu instid0(SALU_CYCLE_1)
	s_xor_b32 s15, exec_lo, s15
	s_cbranch_execz .LBB60_26
; %bb.25:                               ;   in Loop: Header=BB60_20 Depth=1
	v_mov_b32_e32 v6, v5
	ds_store_b64 v15, v[5:6] offset:14336
.LBB60_26:                              ;   in Loop: Header=BB60_20 Depth=1
	s_or_b32 exec_lo, exec_lo, s15
.LBB60_27:                              ;   in Loop: Header=BB60_20 Depth=1
	s_delay_alu instid0(SALU_CYCLE_1)
	s_or_b32 exec_lo, exec_lo, s14
.LBB60_28:                              ;   in Loop: Header=BB60_20 Depth=1
	s_delay_alu instid0(SALU_CYCLE_1)
	s_or_b32 exec_lo, exec_lo, s13
	s_and_saveexec_b32 s13, s1
	s_cbranch_execz .LBB60_30
; %bb.29:                               ;   in Loop: Header=BB60_20 Depth=1
	v_mov_b32_e32 v6, s53
	ds_store_b32 v29, v6 offset:18560
.LBB60_30:                              ;   in Loop: Header=BB60_20 Depth=1
	s_or_b32 exec_lo, exec_lo, s13
	v_mov_b32_e32 v33, s53
	s_and_not1_b32 vcc_lo, exec_lo, s42
	s_waitcnt lgkmcnt(0)
	s_barrier
	buffer_gl0_inv
	s_cbranch_vccnz .LBB60_67
; %bb.31:                               ;   in Loop: Header=BB60_20 Depth=1
	v_cmp_ne_u32_e64 s13, 0, v31
	v_mov_b32_e32 v33, s53
	s_mov_b32 s60, s41
	s_branch .LBB60_33
.LBB60_32:                              ;   in Loop: Header=BB60_33 Depth=2
	s_or_b32 exec_lo, exec_lo, s15
	s_add_i32 s60, s60, 4
	s_delay_alu instid0(SALU_CYCLE_1)
	s_cmp_lt_i32 s60, s40
	s_cbranch_scc0 .LBB60_67
.LBB60_33:                              ;   Parent Loop BB60_20 Depth=1
                                        ; =>  This Loop Header: Depth=2
                                        ;       Child Loop BB60_47 Depth 3
                                        ;         Child Loop BB60_56 Depth 4
                                        ;         Child Loop BB60_61 Depth 4
	v_add_nc_u32_e32 v9, s60, v14
	s_waitcnt_vscnt null, 0x0
	s_barrier
	buffer_gl0_inv
	v_cmp_gt_i32_e64 s14, s40, v9
	s_delay_alu instid0(VALU_DEP_1)
	s_and_saveexec_b32 s15, s14
	s_cbranch_execz .LBB60_38
; %bb.34:                               ;   in Loop: Header=BB60_33 Depth=2
	s_and_saveexec_b32 s61, s4
	s_delay_alu instid0(SALU_CYCLE_1)
	s_xor_b32 s61, exec_lo, s61
	s_cbranch_execz .LBB60_36
; %bb.35:                               ;   in Loop: Header=BB60_33 Depth=2
	v_mov_b32_e32 v6, v5
	ds_store_b64 v18, v[5:6]
.LBB60_36:                              ;   in Loop: Header=BB60_33 Depth=2
	s_and_not1_saveexec_b32 s61, s61
	s_cbranch_execz .LBB60_38
; %bb.37:                               ;   in Loop: Header=BB60_33 Depth=2
	v_mad_u64_u32 v[10:11], null, v9, s54, v[2:3]
	s_delay_alu instid0(VALU_DEP_1) | instskip(NEXT) | instid1(VALU_DEP_1)
	v_mad_u64_u32 v[11:12], null, v10, s54, v[1:2]
	v_ashrrev_i32_e32 v12, 31, v11
	s_delay_alu instid0(VALU_DEP_1) | instskip(NEXT) | instid1(VALU_DEP_1)
	v_lshlrev_b64 v[10:11], 3, v[11:12]
	v_add_co_u32 v10, vcc_lo, s48, v10
	s_delay_alu instid0(VALU_DEP_2)
	v_add_co_ci_u32_e32 v11, vcc_lo, s49, v11, vcc_lo
	global_load_b64 v[10:11], v[10:11], off
	s_waitcnt vmcnt(0)
	ds_store_b64 v18, v[10:11]
.LBB60_38:                              ;   in Loop: Header=BB60_33 Depth=2
	s_or_b32 exec_lo, exec_lo, s15
	v_mov_b32_e32 v6, 0
	s_waitcnt lgkmcnt(0)
	s_barrier
	buffer_gl0_inv
	s_and_saveexec_b32 s61, s14
	s_cbranch_execz .LBB60_64
; %bb.39:                               ;   in Loop: Header=BB60_33 Depth=2
	v_ashrrev_i32_e32 v10, 31, v9
	s_delay_alu instid0(VALU_DEP_1) | instskip(NEXT) | instid1(VALU_DEP_1)
	v_lshlrev_b64 v[12:13], 2, v[9:10]
	v_add_co_u32 v10, vcc_lo, s46, v12
	s_delay_alu instid0(VALU_DEP_2) | instskip(SKIP_4) | instid1(VALU_DEP_1)
	v_add_co_ci_u32_e32 v11, vcc_lo, s47, v13, vcc_lo
	s_and_b32 vcc_lo, exec_lo, s13
	global_load_b32 v6, v[10:11], off
	s_waitcnt vmcnt(0)
	v_subrev_nc_u32_e32 v10, s20, v6
	v_ashrrev_i32_e32 v11, 31, v10
	s_cbranch_vccz .LBB60_66
; %bb.40:                               ;   in Loop: Header=BB60_33 Depth=2
	v_add_co_u32 v12, vcc_lo, s18, v12
	v_add_co_ci_u32_e32 v13, vcc_lo, s19, v13, vcc_lo
	global_load_b32 v6, v[12:13], off
	s_cbranch_execnz .LBB60_42
.LBB60_41:                              ;   in Loop: Header=BB60_33 Depth=2
	s_delay_alu instid0(VALU_DEP_1) | instskip(NEXT) | instid1(VALU_DEP_1)
	v_lshlrev_b64 v[12:13], 2, v[10:11]
	v_add_co_u32 v12, vcc_lo, s50, v12
	s_delay_alu instid0(VALU_DEP_2)
	v_add_co_ci_u32_e32 v13, vcc_lo, s51, v13, vcc_lo
	global_load_b32 v6, v[12:13], off
	s_waitcnt vmcnt(0)
	v_subrev_nc_u32_e32 v6, s21, v6
.LBB60_42:                              ;   in Loop: Header=BB60_33 Depth=2
	v_lshlrev_b64 v[10:11], 2, v[10:11]
	s_mov_b32 s62, exec_lo
	s_delay_alu instid0(VALU_DEP_1) | instskip(NEXT) | instid1(VALU_DEP_2)
	v_add_co_u32 v10, vcc_lo, s43, v10
	v_add_co_ci_u32_e32 v11, vcc_lo, s58, v11, vcc_lo
	global_load_b32 v10, v[10:11], off
	s_waitcnt vmcnt(0)
	v_subrev_nc_u32_e32 v34, s21, v10
	s_delay_alu instid0(VALU_DEP_1)
	v_cmpx_lt_i32_e64 v6, v34
	s_cbranch_execz .LBB60_63
; %bb.43:                               ;   in Loop: Header=BB60_33 Depth=2
	v_mad_u64_u32 v[10:11], null, s54, v6, v[1:2]
	s_mov_b32 s63, 0
	s_delay_alu instid0(VALU_DEP_1)
	v_mul_lo_u32 v35, s54, v10
	v_mad_u64_u32 v[10:11], null, s55, v6, v[1:2]
	v_mov_b32_e32 v11, v6
	s_branch .LBB60_47
.LBB60_44:                              ;   in Loop: Header=BB60_47 Depth=3
	s_delay_alu instid0(VALU_DEP_1) | instskip(SKIP_1) | instid1(VALU_DEP_2)
	v_mul_f32_e64 v13, v38, -s35
	v_lshlrev_b32_e32 v12, 6, v36
	v_dual_mul_f32 v36, s33, v38 :: v_dual_fmac_f32 v13, s33, v37
	s_delay_alu instid0(VALU_DEP_2) | instskip(NEXT) | instid1(VALU_DEP_2)
	v_or3_b32 v12, v12, v16, v1
	v_fmac_f32_e32 v36, s35, v37
	s_delay_alu instid0(VALU_DEP_2)
	v_lshlrev_b32_e32 v12, 3, v12
	ds_add_f32 v12, v13
	ds_add_f32 v12, v36 offset:4
.LBB60_45:                              ;   in Loop: Header=BB60_47 Depth=3
	s_or_b32 exec_lo, exec_lo, s66
	s_delay_alu instid0(SALU_CYCLE_1)
	s_or_b32 s64, s64, exec_lo
.LBB60_46:                              ;   in Loop: Header=BB60_47 Depth=3
	s_or_b32 exec_lo, exec_lo, s65
	v_add_nc_u32_e32 v11, 1, v11
	s_xor_b32 s15, s64, -1
	v_add_nc_u32_e32 v35, s55, v35
	v_add_nc_u32_e32 v10, s55, v10
	s_delay_alu instid0(VALU_DEP_3) | instskip(SKIP_1) | instid1(SALU_CYCLE_1)
	v_cmp_ge_i32_e32 vcc_lo, v11, v34
	s_or_b32 s15, s15, vcc_lo
	s_and_b32 s15, exec_lo, s15
	s_delay_alu instid0(SALU_CYCLE_1) | instskip(NEXT) | instid1(SALU_CYCLE_1)
	s_or_b32 s63, s15, s63
	s_and_not1_b32 exec_lo, exec_lo, s63
	s_cbranch_execz .LBB60_62
.LBB60_47:                              ;   Parent Loop BB60_20 Depth=1
                                        ;     Parent Loop BB60_33 Depth=2
                                        ; =>    This Loop Header: Depth=3
                                        ;         Child Loop BB60_56 Depth 4
                                        ;         Child Loop BB60_61 Depth 4
	s_delay_alu instid0(VALU_DEP_1) | instskip(NEXT) | instid1(VALU_DEP_1)
	v_ashrrev_i32_e32 v12, 31, v11
                                        ; implicit-def: $sgpr64
	v_lshlrev_b64 v[12:13], 2, v[11:12]
	s_delay_alu instid0(VALU_DEP_1) | instskip(NEXT) | instid1(VALU_DEP_2)
	v_add_co_u32 v12, vcc_lo, s36, v12
	v_add_co_ci_u32_e32 v13, vcc_lo, s37, v13, vcc_lo
	global_load_b32 v12, v[12:13], off
	s_waitcnt vmcnt(0)
	v_subrev_nc_u32_e32 v12, s21, v12
	s_delay_alu instid0(VALU_DEP_1) | instskip(SKIP_1) | instid1(VALU_DEP_2)
	v_cmp_lt_i32_e64 s15, v12, v31
	v_cmp_ge_i32_e32 vcc_lo, v12, v32
	s_or_b32 s15, s15, vcc_lo
	s_delay_alu instid0(SALU_CYCLE_1) | instskip(NEXT) | instid1(SALU_CYCLE_1)
	s_and_saveexec_b32 s65, s15
	s_xor_b32 s15, exec_lo, s65
	s_cbranch_execz .LBB60_51
; %bb.48:                               ;   in Loop: Header=BB60_47 Depth=3
	s_mov_b32 s64, -1
	s_and_saveexec_b32 s65, vcc_lo
; %bb.49:                               ;   in Loop: Header=BB60_47 Depth=3
	v_min_i32_e32 v33, v12, v33
	v_mov_b32_e32 v6, v11
	s_xor_b32 s64, exec_lo, -1
; %bb.50:                               ;   in Loop: Header=BB60_47 Depth=3
	s_or_b32 exec_lo, exec_lo, s65
	s_delay_alu instid0(SALU_CYCLE_1)
	s_and_b32 s64, s64, exec_lo
                                        ; implicit-def: $vgpr12
.LBB60_51:                              ;   in Loop: Header=BB60_47 Depth=3
	s_and_not1_saveexec_b32 s65, s15
	s_cbranch_execz .LBB60_46
; %bb.52:                               ;   in Loop: Header=BB60_47 Depth=3
	v_sub_nc_u32_e32 v36, v12, v31
	s_delay_alu instid0(VALU_DEP_1)
	v_lshlrev_b32_e32 v12, 2, v36
	ds_store_b32 v12, v30 offset:18432
	s_and_saveexec_b32 s66, s3
	s_cbranch_execz .LBB60_45
; %bb.53:                               ;   in Loop: Header=BB60_47 Depth=3
	v_cndmask_b32_e64 v12, 0, 1, s52
	s_and_not1_b32 vcc_lo, exec_lo, s45
	s_delay_alu instid0(VALU_DEP_1)
	v_cmp_ne_u32_e64 s15, 1, v12
	s_cbranch_vccnz .LBB60_58
; %bb.54:                               ;   in Loop: Header=BB60_47 Depth=3
	v_dual_mov_b32 v37, 0 :: v_dual_mov_b32 v38, 0
	s_delay_alu instid0(VALU_DEP_2)
	s_and_b32 vcc_lo, exec_lo, s15
	s_mov_b32 s15, 0
	s_cbranch_vccnz .LBB60_57
; %bb.55:                               ;   in Loop: Header=BB60_47 Depth=3
	v_dual_mov_b32 v37, 0 :: v_dual_mov_b32 v12, v35
	v_dual_mov_b32 v39, v0 :: v_dual_mov_b32 v38, 0
	s_mov_b32 s67, s54
	.p2align	6
.LBB60_56:                              ;   Parent Loop BB60_20 Depth=1
                                        ;     Parent Loop BB60_33 Depth=2
                                        ;       Parent Loop BB60_47 Depth=3
                                        ; =>      This Inner Loop Header: Depth=4
	s_delay_alu instid0(VALU_DEP_2)
	v_ashrrev_i32_e32 v13, 31, v12
	ds_load_b64 v[42:43], v39
	s_add_i32 s67, s67, -1
	v_add_nc_u32_e32 v39, 64, v39
	s_cmp_lg_u32 s67, 0
	v_lshlrev_b64 v[40:41], 3, v[12:13]
	v_add_nc_u32_e32 v12, 1, v12
	s_delay_alu instid0(VALU_DEP_2) | instskip(NEXT) | instid1(VALU_DEP_3)
	v_add_co_u32 v40, vcc_lo, s38, v40
	v_add_co_ci_u32_e32 v41, vcc_lo, s39, v41, vcc_lo
	global_load_b64 v[40:41], v[40:41], off
	s_waitcnt vmcnt(0) lgkmcnt(0)
	v_fmac_f32_e32 v37, v42, v40
	v_fmac_f32_e32 v38, v43, v40
	s_delay_alu instid0(VALU_DEP_2) | instskip(NEXT) | instid1(VALU_DEP_2)
	v_fma_f32 v37, -v43, v41, v37
	v_fmac_f32_e32 v38, v42, v41
	s_cbranch_scc1 .LBB60_56
.LBB60_57:                              ;   in Loop: Header=BB60_47 Depth=3
	s_and_not1_b32 vcc_lo, exec_lo, s15
	s_cbranch_vccnz .LBB60_44
	s_branch .LBB60_59
.LBB60_58:                              ;   in Loop: Header=BB60_47 Depth=3
                                        ; implicit-def: $vgpr37
                                        ; implicit-def: $vgpr38
.LBB60_59:                              ;   in Loop: Header=BB60_47 Depth=3
	v_dual_mov_b32 v37, 0 :: v_dual_mov_b32 v38, 0
	s_and_not1_b32 vcc_lo, exec_lo, s52
	s_cbranch_vccnz .LBB60_44
; %bb.60:                               ;   in Loop: Header=BB60_47 Depth=3
	v_dual_mov_b32 v37, 0 :: v_dual_mov_b32 v12, v10
	v_dual_mov_b32 v39, v26 :: v_dual_mov_b32 v38, 0
	s_mov_b32 s15, s54
	.p2align	6
.LBB60_61:                              ;   Parent Loop BB60_20 Depth=1
                                        ;     Parent Loop BB60_33 Depth=2
                                        ;       Parent Loop BB60_47 Depth=3
                                        ; =>      This Inner Loop Header: Depth=4
	s_delay_alu instid0(VALU_DEP_2)
	v_ashrrev_i32_e32 v13, 31, v12
	ds_load_b64 v[42:43], v39
	s_add_i32 s15, s15, -1
	v_add_nc_u32_e32 v39, 8, v39
	s_cmp_eq_u32 s15, 0
	v_lshlrev_b64 v[40:41], 3, v[12:13]
	v_add_nc_u32_e32 v12, s54, v12
	s_delay_alu instid0(VALU_DEP_2) | instskip(NEXT) | instid1(VALU_DEP_3)
	v_add_co_u32 v40, vcc_lo, s38, v40
	v_add_co_ci_u32_e32 v41, vcc_lo, s39, v41, vcc_lo
	global_load_b64 v[40:41], v[40:41], off
	s_waitcnt vmcnt(0) lgkmcnt(0)
	v_fmac_f32_e32 v37, v42, v40
	v_fmac_f32_e32 v38, v43, v40
	s_delay_alu instid0(VALU_DEP_2) | instskip(NEXT) | instid1(VALU_DEP_2)
	v_fma_f32 v37, -v43, v41, v37
	v_fmac_f32_e32 v38, v42, v41
	s_cbranch_scc0 .LBB60_61
	s_branch .LBB60_44
.LBB60_62:                              ;   in Loop: Header=BB60_33 Depth=2
	s_or_b32 exec_lo, exec_lo, s63
.LBB60_63:                              ;   in Loop: Header=BB60_33 Depth=2
	s_delay_alu instid0(SALU_CYCLE_1)
	s_or_b32 exec_lo, exec_lo, s62
.LBB60_64:                              ;   in Loop: Header=BB60_33 Depth=2
	s_delay_alu instid0(SALU_CYCLE_1)
	s_or_b32 exec_lo, exec_lo, s61
	s_waitcnt lgkmcnt(0)
	s_barrier
	buffer_gl0_inv
	s_and_saveexec_b32 s15, s14
	s_cbranch_execz .LBB60_32
; %bb.65:                               ;   in Loop: Header=BB60_33 Depth=2
	v_ashrrev_i32_e32 v10, 31, v9
	s_delay_alu instid0(VALU_DEP_1) | instskip(NEXT) | instid1(VALU_DEP_1)
	v_lshlrev_b64 v[9:10], 2, v[9:10]
	v_add_co_u32 v9, vcc_lo, s18, v9
	s_delay_alu instid0(VALU_DEP_2)
	v_add_co_ci_u32_e32 v10, vcc_lo, s19, v10, vcc_lo
	global_store_b32 v[9:10], v6, off
	s_branch .LBB60_32
.LBB60_66:                              ;   in Loop: Header=BB60_33 Depth=2
                                        ; implicit-def: $vgpr6
	s_branch .LBB60_41
.LBB60_67:                              ;   in Loop: Header=BB60_20 Depth=1
	s_and_not1_b32 vcc_lo, exec_lo, s34
	s_cbranch_vccnz .LBB60_79
; %bb.68:                               ;   in Loop: Header=BB60_20 Depth=1
	s_load_b64 s[14:15], s[28:29], 0x0
	s_waitcnt lgkmcnt(0)
	v_add_nc_u32_e32 v9, s14, v19
	s_sub_i32 s60, s15, s23
	s_mov_b32 s15, exec_lo
	s_delay_alu instid0(VALU_DEP_1)
	v_cmpx_gt_i32_e64 s60, v9
	s_cbranch_execz .LBB60_78
; %bb.69:                               ;   in Loop: Header=BB60_20 Depth=1
	v_mad_u64_u32 v[10:11], null, s54, v9, v[3:4]
	s_mov_b32 s61, 0
	s_delay_alu instid0(VALU_DEP_1)
	v_mad_u64_u32 v[11:12], null, s54, v10, v[4:5]
	s_branch .LBB60_72
.LBB60_70:                              ;   in Loop: Header=BB60_72 Depth=2
	s_or_b32 exec_lo, exec_lo, s62
	s_delay_alu instid0(SALU_CYCLE_1)
	s_or_b32 s13, s13, exec_lo
.LBB60_71:                              ;   in Loop: Header=BB60_72 Depth=2
	s_or_b32 exec_lo, exec_lo, s14
	v_add_nc_u32_e32 v9, 4, v9
	s_xor_b32 s13, s13, -1
	v_add_nc_u32_e32 v11, s59, v11
	s_delay_alu instid0(VALU_DEP_2) | instskip(SKIP_1) | instid1(SALU_CYCLE_1)
	v_cmp_le_i32_e32 vcc_lo, s60, v9
	s_or_b32 s13, vcc_lo, s13
	s_and_b32 s13, exec_lo, s13
	s_delay_alu instid0(SALU_CYCLE_1) | instskip(NEXT) | instid1(SALU_CYCLE_1)
	s_or_b32 s61, s13, s61
	s_and_not1_b32 exec_lo, exec_lo, s61
	s_cbranch_execz .LBB60_77
.LBB60_72:                              ;   Parent Loop BB60_20 Depth=1
                                        ; =>  This Inner Loop Header: Depth=2
	v_ashrrev_i32_e32 v10, 31, v9
	s_delay_alu instid0(VALU_DEP_1) | instskip(NEXT) | instid1(VALU_DEP_1)
	v_lshlrev_b64 v[12:13], 2, v[9:10]
	v_add_co_u32 v12, vcc_lo, s24, v12
	s_delay_alu instid0(VALU_DEP_2) | instskip(SKIP_3) | instid1(VALU_DEP_1)
	v_add_co_ci_u32_e32 v13, vcc_lo, s25, v13, vcc_lo
	global_load_b32 v6, v[12:13], off
	s_waitcnt vmcnt(0)
	v_subrev_nc_u32_e32 v6, s23, v6
	v_cmp_lt_i32_e64 s13, v6, v31
	v_cmp_ge_i32_e64 s14, v6, v32
	v_cmp_lt_i32_e32 vcc_lo, v6, v32
	s_delay_alu instid0(VALU_DEP_2) | instskip(NEXT) | instid1(SALU_CYCLE_1)
	s_or_b32 s14, s13, s14
                                        ; implicit-def: $sgpr13
	s_and_saveexec_b32 s62, s14
	s_delay_alu instid0(SALU_CYCLE_1)
	s_xor_b32 s14, exec_lo, s62
; %bb.73:                               ;   in Loop: Header=BB60_72 Depth=2
	v_min_i32_e32 v6, v6, v33
	s_and_b32 s13, vcc_lo, exec_lo
	s_delay_alu instid0(VALU_DEP_1)
	v_cndmask_b32_e32 v33, v6, v33, vcc_lo
                                        ; implicit-def: $vgpr6
; %bb.74:                               ;   in Loop: Header=BB60_72 Depth=2
	s_and_not1_saveexec_b32 s14, s14
	s_cbranch_execz .LBB60_71
; %bb.75:                               ;   in Loop: Header=BB60_72 Depth=2
	v_sub_nc_u32_e32 v6, v6, v31
	s_delay_alu instid0(VALU_DEP_1)
	v_lshlrev_b32_e32 v10, 2, v6
	ds_store_b32 v10, v30 offset:18432
	s_and_saveexec_b32 s62, s3
	s_cbranch_execz .LBB60_70
; %bb.76:                               ;   in Loop: Header=BB60_72 Depth=2
	v_ashrrev_i32_e32 v12, 31, v11
	s_delay_alu instid0(VALU_DEP_1) | instskip(NEXT) | instid1(VALU_DEP_1)
	v_lshlrev_b64 v[12:13], 3, v[11:12]
	v_add_co_u32 v12, vcc_lo, s26, v12
	s_delay_alu instid0(VALU_DEP_2)
	v_add_co_ci_u32_e32 v13, vcc_lo, s27, v13, vcc_lo
	global_load_b64 v[12:13], v[12:13], off
	v_lshlrev_b32_e32 v6, 6, v6
	s_waitcnt vmcnt(0)
	v_mul_f32_e64 v10, v13, -s57
	v_mul_f32_e32 v13, s56, v13
	s_delay_alu instid0(VALU_DEP_3) | instskip(NEXT) | instid1(VALU_DEP_3)
	v_or3_b32 v6, v6, v16, v1
	v_fmac_f32_e32 v10, s56, v12
	s_delay_alu instid0(VALU_DEP_2)
	v_dual_fmac_f32 v13, s57, v12 :: v_dual_lshlrev_b32 v6, 3, v6
	ds_add_f32 v6, v10
	ds_add_f32 v6, v13 offset:4
	s_branch .LBB60_70
.LBB60_77:                              ;   in Loop: Header=BB60_20 Depth=1
	s_or_b32 exec_lo, exec_lo, s61
.LBB60_78:                              ;   in Loop: Header=BB60_20 Depth=1
	s_delay_alu instid0(SALU_CYCLE_1)
	s_or_b32 exec_lo, exec_lo, s15
.LBB60_79:                              ;   in Loop: Header=BB60_20 Depth=1
	s_and_saveexec_b32 s13, s2
	s_cbranch_execz .LBB60_84
; %bb.80:                               ;   in Loop: Header=BB60_20 Depth=1
	s_mov_b32 s15, exec_lo
	s_brev_b32 s14, -2
.LBB60_81:                              ;   Parent Loop BB60_20 Depth=1
                                        ; =>  This Inner Loop Header: Depth=2
	s_ctz_i32_b32 s60, s15
	s_delay_alu instid0(SALU_CYCLE_1) | instskip(SKIP_1) | instid1(SALU_CYCLE_1)
	v_readlane_b32 s61, v33, s60
	s_lshl_b32 s60, 1, s60
	s_and_not1_b32 s15, s15, s60
	s_delay_alu instid0(VALU_DEP_1)
	s_min_i32 s14, s14, s61
	s_cmp_lg_u32 s15, 0
	s_cbranch_scc1 .LBB60_81
; %bb.82:                               ;   in Loop: Header=BB60_20 Depth=1
	v_mbcnt_lo_u32_b32 v6, exec_lo, 0
	s_mov_b32 s15, exec_lo
	s_delay_alu instid0(VALU_DEP_1)
	v_cmpx_eq_u32_e32 0, v6
	s_xor_b32 s15, exec_lo, s15
	s_cbranch_execz .LBB60_84
; %bb.83:                               ;   in Loop: Header=BB60_20 Depth=1
	v_mov_b32_e32 v6, s14
	ds_min_i32 v29, v6 offset:18560
.LBB60_84:                              ;   in Loop: Header=BB60_20 Depth=1
	s_or_b32 exec_lo, exec_lo, s13
	s_waitcnt lgkmcnt(0)
	s_waitcnt_vscnt null, 0x0
	s_barrier
	buffer_gl0_inv
	ds_load_b32 v9, v20
	s_waitcnt lgkmcnt(0)
	s_barrier
	buffer_gl0_inv
	s_and_saveexec_b32 s13, s5
	s_cbranch_execz .LBB60_86
; %bb.85:                               ;   in Loop: Header=BB60_20 Depth=1
	ds_load_b32 v6, v21
	s_waitcnt lgkmcnt(0)
	v_add_nc_u32_e32 v9, v6, v9
.LBB60_86:                              ;   in Loop: Header=BB60_20 Depth=1
	s_or_b32 exec_lo, exec_lo, s13
	s_barrier
	buffer_gl0_inv
	ds_store_b32 v20, v9
	s_waitcnt lgkmcnt(0)
	s_barrier
	buffer_gl0_inv
	s_and_saveexec_b32 s13, s6
	s_cbranch_execz .LBB60_88
; %bb.87:                               ;   in Loop: Header=BB60_20 Depth=1
	ds_load_b32 v6, v22
	s_waitcnt lgkmcnt(0)
	v_add_nc_u32_e32 v9, v6, v9
.LBB60_88:                              ;   in Loop: Header=BB60_20 Depth=1
	s_or_b32 exec_lo, exec_lo, s13
	s_barrier
	buffer_gl0_inv
	ds_store_b32 v20, v9
	;; [unrolled: 14-line block ×5, first 2 shown]
	s_waitcnt lgkmcnt(0)
	s_barrier
	buffer_gl0_inv
	ds_load_b32 v6, v29 offset:18556
	v_mov_b32_e32 v10, 0
	s_and_saveexec_b32 s13, s44
	s_cbranch_execz .LBB60_96
; %bb.95:                               ;   in Loop: Header=BB60_20 Depth=1
	ds_load_b32 v10, v21
.LBB60_96:                              ;   in Loop: Header=BB60_20 Depth=1
	s_or_b32 exec_lo, exec_lo, s13
	s_waitcnt lgkmcnt(0)
	v_cmp_eq_u32_e32 vcc_lo, v9, v10
	s_barrier
	buffer_gl0_inv
	s_and_b32 s14, s44, vcc_lo
	s_delay_alu instid0(SALU_CYCLE_1)
	s_and_saveexec_b32 s13, s14
	s_cbranch_execz .LBB60_98
; %bb.97:                               ;   in Loop: Header=BB60_20 Depth=1
	ds_store_b32 v20, v29
.LBB60_98:                              ;   in Loop: Header=BB60_20 Depth=1
	s_or_b32 exec_lo, exec_lo, s13
	v_dual_mov_b32 v32, v14 :: v_dual_add_nc_u32 v11, -1, v28
	v_dual_mov_b32 v13, v27 :: v_dual_add_nc_u32 v12, s22, v31
	v_mov_b32_e32 v31, v15
	s_mov_b32 s13, 0
	s_waitcnt lgkmcnt(0)
	s_barrier
	buffer_gl0_inv
	s_set_inst_prefetch_distance 0x1
	s_branch .LBB60_100
	.p2align	6
.LBB60_99:                              ;   in Loop: Header=BB60_100 Depth=2
	s_or_b32 exec_lo, exec_lo, s14
	v_add_nc_u32_e32 v9, 4, v32
	v_cmp_lt_u32_e32 vcc_lo, 27, v32
	v_add_nc_u32_e32 v31, 0x800, v31
	s_delay_alu instid0(VALU_DEP_3) | instskip(SKIP_1) | instid1(SALU_CYCLE_1)
	v_dual_mov_b32 v32, v9 :: v_dual_add_nc_u32 v13, 16, v13
	s_or_b32 s13, vcc_lo, s13
	s_and_not1_b32 exec_lo, exec_lo, s13
	s_cbranch_execz .LBB60_19
.LBB60_100:                             ;   Parent Loop BB60_20 Depth=1
                                        ; =>  This Inner Loop Header: Depth=2
	ds_load_b32 v9, v13
	s_mov_b32 s14, exec_lo
	s_waitcnt lgkmcnt(0)
	v_cmpx_ne_u32_e32 0, v9
	s_cbranch_execz .LBB60_99
; %bb.101:                              ;   in Loop: Header=BB60_100 Depth=2
	v_add_nc_u32_e32 v9, v11, v9
	s_delay_alu instid0(VALU_DEP_1) | instskip(NEXT) | instid1(VALU_DEP_1)
	v_ashrrev_i32_e32 v10, 31, v9
	v_lshlrev_b64 v[33:34], 2, v[9:10]
	v_add_nc_u32_e32 v10, v12, v32
	s_delay_alu instid0(VALU_DEP_2) | instskip(NEXT) | instid1(VALU_DEP_3)
	v_add_co_u32 v33, vcc_lo, s30, v33
	v_add_co_ci_u32_e32 v34, vcc_lo, s31, v34, vcc_lo
	global_store_b32 v[33:34], v10, off
	s_and_b32 exec_lo, exec_lo, s3
	s_cbranch_execz .LBB60_99
; %bb.102:                              ;   in Loop: Header=BB60_100 Depth=2
	v_mad_u64_u32 v[33:34], null, v9, s54, v[3:4]
	s_delay_alu instid0(VALU_DEP_1) | instskip(SKIP_2) | instid1(VALU_DEP_1)
	v_mad_u64_u32 v[9:10], null, v33, s54, v[4:5]
	ds_load_b64 v[33:34], v31
	v_ashrrev_i32_e32 v10, 31, v9
	v_lshlrev_b64 v[9:10], 3, v[9:10]
	s_delay_alu instid0(VALU_DEP_1) | instskip(NEXT) | instid1(VALU_DEP_2)
	v_add_co_u32 v9, vcc_lo, s16, v9
	v_add_co_ci_u32_e32 v10, vcc_lo, s17, v10, vcc_lo
	s_waitcnt lgkmcnt(0)
	global_store_b64 v[9:10], v[33:34], off
	s_branch .LBB60_99
.LBB60_103:
	s_endpgm
	.section	.rodata,"a",@progbits
	.p2align	6, 0x0
	.amdhsa_kernel _ZN9rocsparseL38bsrgemm_block_per_row_atomic_multipassILj256ELj32ELj8Eii21rocsparse_complex_numIfEEEv20rocsparse_direction_T3_S4_PKS4_S6_NS_24const_host_device_scalarIT4_EEPKT2_S6_PKS8_SC_S6_SE_S9_SC_S6_SE_SC_PS4_PS8_PSA_21rocsparse_index_base_SI_SI_SI_bbb
		.amdhsa_group_segment_fixed_size 18564
		.amdhsa_private_segment_fixed_size 0
		.amdhsa_kernarg_size 172
		.amdhsa_user_sgpr_count 15
		.amdhsa_user_sgpr_dispatch_ptr 0
		.amdhsa_user_sgpr_queue_ptr 0
		.amdhsa_user_sgpr_kernarg_segment_ptr 1
		.amdhsa_user_sgpr_dispatch_id 0
		.amdhsa_user_sgpr_private_segment_size 0
		.amdhsa_wavefront_size32 1
		.amdhsa_uses_dynamic_stack 0
		.amdhsa_enable_private_segment 0
		.amdhsa_system_sgpr_workgroup_id_x 1
		.amdhsa_system_sgpr_workgroup_id_y 0
		.amdhsa_system_sgpr_workgroup_id_z 0
		.amdhsa_system_sgpr_workgroup_info 0
		.amdhsa_system_vgpr_workitem_id 0
		.amdhsa_next_free_vgpr 44
		.amdhsa_next_free_sgpr 68
		.amdhsa_reserve_vcc 1
		.amdhsa_float_round_mode_32 0
		.amdhsa_float_round_mode_16_64 0
		.amdhsa_float_denorm_mode_32 3
		.amdhsa_float_denorm_mode_16_64 3
		.amdhsa_dx10_clamp 1
		.amdhsa_ieee_mode 1
		.amdhsa_fp16_overflow 0
		.amdhsa_workgroup_processor_mode 1
		.amdhsa_memory_ordered 1
		.amdhsa_forward_progress 0
		.amdhsa_shared_vgpr_count 0
		.amdhsa_exception_fp_ieee_invalid_op 0
		.amdhsa_exception_fp_denorm_src 0
		.amdhsa_exception_fp_ieee_div_zero 0
		.amdhsa_exception_fp_ieee_overflow 0
		.amdhsa_exception_fp_ieee_underflow 0
		.amdhsa_exception_fp_ieee_inexact 0
		.amdhsa_exception_int_div_zero 0
	.end_amdhsa_kernel
	.section	.text._ZN9rocsparseL38bsrgemm_block_per_row_atomic_multipassILj256ELj32ELj8Eii21rocsparse_complex_numIfEEEv20rocsparse_direction_T3_S4_PKS4_S6_NS_24const_host_device_scalarIT4_EEPKT2_S6_PKS8_SC_S6_SE_S9_SC_S6_SE_SC_PS4_PS8_PSA_21rocsparse_index_base_SI_SI_SI_bbb,"axG",@progbits,_ZN9rocsparseL38bsrgemm_block_per_row_atomic_multipassILj256ELj32ELj8Eii21rocsparse_complex_numIfEEEv20rocsparse_direction_T3_S4_PKS4_S6_NS_24const_host_device_scalarIT4_EEPKT2_S6_PKS8_SC_S6_SE_S9_SC_S6_SE_SC_PS4_PS8_PSA_21rocsparse_index_base_SI_SI_SI_bbb,comdat
.Lfunc_end60:
	.size	_ZN9rocsparseL38bsrgemm_block_per_row_atomic_multipassILj256ELj32ELj8Eii21rocsparse_complex_numIfEEEv20rocsparse_direction_T3_S4_PKS4_S6_NS_24const_host_device_scalarIT4_EEPKT2_S6_PKS8_SC_S6_SE_S9_SC_S6_SE_SC_PS4_PS8_PSA_21rocsparse_index_base_SI_SI_SI_bbb, .Lfunc_end60-_ZN9rocsparseL38bsrgemm_block_per_row_atomic_multipassILj256ELj32ELj8Eii21rocsparse_complex_numIfEEEv20rocsparse_direction_T3_S4_PKS4_S6_NS_24const_host_device_scalarIT4_EEPKT2_S6_PKS8_SC_S6_SE_S9_SC_S6_SE_SC_PS4_PS8_PSA_21rocsparse_index_base_SI_SI_SI_bbb
                                        ; -- End function
	.section	.AMDGPU.csdata,"",@progbits
; Kernel info:
; codeLenInByte = 3472
; NumSgprs: 70
; NumVgprs: 44
; ScratchSize: 0
; MemoryBound: 0
; FloatMode: 240
; IeeeMode: 1
; LDSByteSize: 18564 bytes/workgroup (compile time only)
; SGPRBlocks: 8
; VGPRBlocks: 5
; NumSGPRsForWavesPerEU: 70
; NumVGPRsForWavesPerEU: 44
; Occupancy: 14
; WaveLimiterHint : 1
; COMPUTE_PGM_RSRC2:SCRATCH_EN: 0
; COMPUTE_PGM_RSRC2:USER_SGPR: 15
; COMPUTE_PGM_RSRC2:TRAP_HANDLER: 0
; COMPUTE_PGM_RSRC2:TGID_X_EN: 1
; COMPUTE_PGM_RSRC2:TGID_Y_EN: 0
; COMPUTE_PGM_RSRC2:TGID_Z_EN: 0
; COMPUTE_PGM_RSRC2:TIDIG_COMP_CNT: 0
	.section	.text._ZN9rocsparseL31bsrgemm_block_per_row_multipassILj256ELj8ELj16Eii21rocsparse_complex_numIfEEEv20rocsparse_direction_T3_S4_PKS4_S6_NS_24const_host_device_scalarIT4_EEPKT2_S6_PKS8_SC_S6_SE_S9_SC_S6_SE_SC_PS4_PS8_PSA_21rocsparse_index_base_SI_SI_SI_bbb,"axG",@progbits,_ZN9rocsparseL31bsrgemm_block_per_row_multipassILj256ELj8ELj16Eii21rocsparse_complex_numIfEEEv20rocsparse_direction_T3_S4_PKS4_S6_NS_24const_host_device_scalarIT4_EEPKT2_S6_PKS8_SC_S6_SE_S9_SC_S6_SE_SC_PS4_PS8_PSA_21rocsparse_index_base_SI_SI_SI_bbb,comdat
	.globl	_ZN9rocsparseL31bsrgemm_block_per_row_multipassILj256ELj8ELj16Eii21rocsparse_complex_numIfEEEv20rocsparse_direction_T3_S4_PKS4_S6_NS_24const_host_device_scalarIT4_EEPKT2_S6_PKS8_SC_S6_SE_S9_SC_S6_SE_SC_PS4_PS8_PSA_21rocsparse_index_base_SI_SI_SI_bbb ; -- Begin function _ZN9rocsparseL31bsrgemm_block_per_row_multipassILj256ELj8ELj16Eii21rocsparse_complex_numIfEEEv20rocsparse_direction_T3_S4_PKS4_S6_NS_24const_host_device_scalarIT4_EEPKT2_S6_PKS8_SC_S6_SE_S9_SC_S6_SE_SC_PS4_PS8_PSA_21rocsparse_index_base_SI_SI_SI_bbb
	.p2align	8
	.type	_ZN9rocsparseL31bsrgemm_block_per_row_multipassILj256ELj8ELj16Eii21rocsparse_complex_numIfEEEv20rocsparse_direction_T3_S4_PKS4_S6_NS_24const_host_device_scalarIT4_EEPKT2_S6_PKS8_SC_S6_SE_S9_SC_S6_SE_SC_PS4_PS8_PSA_21rocsparse_index_base_SI_SI_SI_bbb,@function
_ZN9rocsparseL31bsrgemm_block_per_row_multipassILj256ELj8ELj16Eii21rocsparse_complex_numIfEEEv20rocsparse_direction_T3_S4_PKS4_S6_NS_24const_host_device_scalarIT4_EEPKT2_S6_PKS8_SC_S6_SE_S9_SC_S6_SE_SC_PS4_PS8_PSA_21rocsparse_index_base_SI_SI_SI_bbb: ; @_ZN9rocsparseL31bsrgemm_block_per_row_multipassILj256ELj8ELj16Eii21rocsparse_complex_numIfEEEv20rocsparse_direction_T3_S4_PKS4_S6_NS_24const_host_device_scalarIT4_EEPKT2_S6_PKS8_SC_S6_SE_S9_SC_S6_SE_SC_PS4_PS8_PSA_21rocsparse_index_base_SI_SI_SI_bbb
; %bb.0:
	s_mov_b32 s2, s15
	s_clause 0x5
	s_load_b32 s44, s[0:1], 0xa8
	s_load_b256 s[8:15], s[0:1], 0x88
	s_load_b256 s[16:23], s[0:1], 0x68
	;; [unrolled: 1-line block ×3, first 2 shown]
	s_load_b128 s[4:7], s[0:1], 0x10
	s_load_b256 s[36:43], s[0:1], 0x28
	s_mov_b32 s35, 0
	s_mov_b32 s33, 0
	s_waitcnt lgkmcnt(0)
	s_bitcmp1_b32 s44, 0
	s_cselect_b32 s48, -1, 0
	s_bitcmp1_b32 s44, 16
	s_cselect_b32 s3, -1, 0
	s_delay_alu instid0(SALU_CYCLE_1)
	s_xor_b32 s3, s3, -1
	s_bitcmp0_b32 s44, 0
	s_cbranch_scc1 .LBB61_5
; %bb.1:
	s_load_b64 s[34:35], s[0:1], 0x20
	s_and_not1_b32 vcc_lo, exec_lo, s3
	s_waitcnt lgkmcnt(0)
	s_mov_b32 s33, s34
	s_cbranch_vccnz .LBB61_3
; %bb.2:
	s_load_b32 s33, s[34:35], 0x0
.LBB61_3:
	s_and_not1_b32 vcc_lo, exec_lo, s3
	s_cbranch_vccnz .LBB61_5
; %bb.4:
	s_load_b32 s35, s[34:35], 0x4
.LBB61_5:
	s_bitcmp1_b32 s44, 8
	s_mov_b32 s51, 0
	s_cselect_b32 s34, -1, 0
	s_bfe_u32 s44, s44, 0x10008
	s_mov_b32 s50, 0
	s_cmp_eq_u32 s44, 0
	s_cbranch_scc1 .LBB61_11
; %bb.6:
	v_cndmask_b32_e64 v1, 0, 1, s3
	s_and_not1_b32 vcc_lo, exec_lo, s3
	s_mov_b32 s50, s28
	s_cbranch_vccnz .LBB61_8
; %bb.7:
	s_load_b32 s50, s[28:29], 0x0
.LBB61_8:
	s_delay_alu instid0(VALU_DEP_1)
	v_cmp_ne_u32_e32 vcc_lo, 1, v1
	s_cbranch_vccnz .LBB61_10
; %bb.9:
	s_load_b32 s29, s[28:29], 0x4
.LBB61_10:
	s_waitcnt lgkmcnt(0)
	s_mov_b32 s51, s29
.LBB61_11:
	s_cmp_eq_u64 s[6:7], 0
	s_cbranch_scc1 .LBB61_13
; %bb.12:
	s_load_b32 s3, s[4:5], 0x0
	s_waitcnt lgkmcnt(0)
	s_add_i32 s2, s3, s2
	s_mov_b32 s3, 0
	s_delay_alu instid0(SALU_CYCLE_1) | instskip(NEXT) | instid1(SALU_CYCLE_1)
	s_lshl_b64 s[2:3], s[2:3], 2
	s_add_u32 s2, s6, s2
	s_addc_u32 s3, s7, s3
	s_load_b32 s2, s[2:3], 0x0
.LBB61_13:
	s_mov_b32 s52, 0
	s_and_not1_b32 vcc_lo, exec_lo, s48
	s_mov_b32 s53, 0
	s_cbranch_vccz .LBB61_16
; %bb.14:
	s_and_not1_b32 vcc_lo, exec_lo, s48
	s_cbranch_vccz .LBB61_17
.LBB61_15:
	s_load_b128 s[44:47], s[0:1], 0x0
	s_waitcnt lgkmcnt(0)
	s_cmp_lt_i32 s45, 1
	s_cbranch_scc0 .LBB61_18
	s_branch .LBB61_102
.LBB61_16:
	s_waitcnt lgkmcnt(0)
	s_ashr_i32 s3, s2, 31
	s_delay_alu instid0(SALU_CYCLE_1) | instskip(NEXT) | instid1(SALU_CYCLE_1)
	s_lshl_b64 s[4:5], s[2:3], 2
	s_add_u32 s4, s36, s4
	s_addc_u32 s5, s37, s5
	s_load_b32 s3, s[4:5], 0x0
	s_waitcnt lgkmcnt(0)
	s_sub_i32 s53, s3, s12
	s_and_not1_b32 vcc_lo, exec_lo, s48
	s_cbranch_vccnz .LBB61_15
.LBB61_17:
	s_waitcnt lgkmcnt(0)
	s_ashr_i32 s3, s2, 31
	s_delay_alu instid0(SALU_CYCLE_1) | instskip(NEXT) | instid1(SALU_CYCLE_1)
	s_lshl_b64 s[4:5], s[2:3], 2
	s_add_u32 s4, s36, s4
	s_addc_u32 s5, s37, s5
	s_load_b32 s3, s[4:5], 0x4
	s_waitcnt lgkmcnt(0)
	s_sub_i32 s52, s3, s12
	s_load_b128 s[44:47], s[0:1], 0x0
	s_waitcnt lgkmcnt(0)
	s_cmp_lt_i32 s45, 1
	s_cbranch_scc1 .LBB61_102
.LBB61_18:
	s_ashr_i32 s3, s2, 31
	s_mov_b32 s28, 0
	s_lshl_b64 s[36:37], s[2:3], 2
	v_lshrrev_b32_e32 v6, 4, v0
	s_add_u32 s0, s20, s36
	s_addc_u32 s1, s21, s37
	s_mov_b32 s29, s28
	s_load_b32 s5, s[0:1], 0x0
	v_and_b32_e32 v1, 15, v0
	v_cmp_gt_i32_e64 s4, s46, v6
	v_or_b32_e32 v2, 0x400, v0
	v_mad_u64_u32 v[7:8], null, s53, s46, v[6:7]
	s_delay_alu instid0(VALU_DEP_4) | instskip(SKIP_1) | instid1(VALU_DEP_3)
	v_cmp_gt_u32_e32 vcc_lo, s46, v1
	s_mul_i32 s47, s46, s46
	v_cmp_gt_u32_e64 s3, 0x700, v2
	v_cmp_gt_u32_e64 s0, 8, v0
	;; [unrolled: 1-line block ×4, first 2 shown]
	v_mad_u64_u32 v[4:5], null, s53, s47, v[6:7]
	v_mul_lo_u32 v18, s46, v7
	s_mov_b32 s7, 8
	v_mov_b32_e32 v8, 0
	v_mov_b32_e32 v20, 1
	s_waitcnt lgkmcnt(0)
	s_sub_i32 s6, s5, s14
	s_cmp_lt_i32 s53, s52
	s_cselect_b32 s5, -1, 0
	s_and_b32 s54, vcc_lo, s4
	s_cmp_eq_u32 s44, 0
	s_cselect_b32 vcc_lo, -1, 0
	v_dual_cndmask_b32 v2, v1, v6 :: v_dual_and_b32 v15, 0xf0, v0
	s_cmp_lg_u32 s44, 0
	v_lshlrev_b32_e32 v16, 3, v0
	s_cselect_b32 s44, -1, 0
	s_delay_alu instid0(VALU_DEP_2) | instskip(SKIP_3) | instid1(VALU_DEP_1)
	v_or_b32_e32 v3, v15, v1
	s_cmp_gt_i32 s46, 0
	s_cselect_b32 s55, -1, 0
	s_add_u32 s20, s30, s36
	v_lshlrev_b32_e32 v17, 3, v3
	v_cndmask_b32_e32 v3, v6, v1, vcc_lo
	s_addc_u32 s21, s31, s37
	s_and_b32 s56, s48, s5
	v_mov_b32_e32 v5, s28
	s_add_u32 s57, s42, 4
	v_mov_b32_e32 v6, s29
	v_cndmask_b32_e64 v19, 0, 1, s55
	s_addc_u32 s58, s43, 0
	s_add_u32 s29, s40, 4
	s_addc_u32 s59, s41, 0
	s_sub_i32 s60, 1, s15
	s_branch .LBB61_21
.LBB61_19:                              ;   in Loop: Header=BB61_21 Depth=1
	s_or_b32 exec_lo, exec_lo, s5
	s_add_i32 s7, s7, 1
.LBB61_20:                              ;   in Loop: Header=BB61_21 Depth=1
	s_min_i32 s28, s31, s45
	s_add_i32 s6, s7, s6
	s_add_i32 s7, s28, 8
	s_cmp_lt_i32 s31, s45
	s_waitcnt_vscnt null, 0x0
	s_barrier
	buffer_gl0_inv
	s_barrier
	buffer_gl0_inv
	s_cbranch_scc0 .LBB61_102
.LBB61_21:                              ; =>This Loop Header: Depth=1
                                        ;     Child Loop BB61_31 Depth 2
                                        ;       Child Loop BB61_36 Depth 3
                                        ;         Child Loop BB61_45 Depth 4
                                        ;         Child Loop BB61_50 Depth 4
                                        ;     Child Loop BB61_62 Depth 2
	s_and_saveexec_b32 s4, s0
	s_cbranch_execz .LBB61_23
; %bb.22:                               ;   in Loop: Header=BB61_21 Depth=1
	ds_store_b8 v0, v8 offset:16384
.LBB61_23:                              ;   in Loop: Header=BB61_21 Depth=1
	s_or_b32 exec_lo, exec_lo, s4
	ds_store_2addr_stride64_b64 v16, v[5:6], v[5:6] offset1:4
	ds_store_2addr_stride64_b64 v16, v[5:6], v[5:6] offset0:8 offset1:12
	ds_store_b64 v16, v[5:6] offset:8192
	s_and_saveexec_b32 s4, s3
	s_delay_alu instid0(SALU_CYCLE_1)
	s_xor_b32 s4, exec_lo, s4
	s_cbranch_execz .LBB61_29
; %bb.24:                               ;   in Loop: Header=BB61_21 Depth=1
	v_mov_b32_e32 v7, v8
	ds_store_b64 v16, v[7:8] offset:10240
	s_and_saveexec_b32 s5, s1
	s_delay_alu instid0(SALU_CYCLE_1)
	s_xor_b32 s5, exec_lo, s5
	s_cbranch_execz .LBB61_28
; %bb.25:                               ;   in Loop: Header=BB61_21 Depth=1
	ds_store_b64 v16, v[7:8] offset:12288
	s_and_saveexec_b32 s30, s2
	s_delay_alu instid0(SALU_CYCLE_1)
	s_xor_b32 s30, exec_lo, s30
	s_cbranch_execz .LBB61_27
; %bb.26:                               ;   in Loop: Header=BB61_21 Depth=1
	v_mov_b32_e32 v7, v8
	ds_store_b64 v16, v[7:8] offset:14336
.LBB61_27:                              ;   in Loop: Header=BB61_21 Depth=1
	s_or_b32 exec_lo, exec_lo, s30
.LBB61_28:                              ;   in Loop: Header=BB61_21 Depth=1
	s_delay_alu instid0(SALU_CYCLE_1)
	s_or_b32 exec_lo, exec_lo, s5
.LBB61_29:                              ;   in Loop: Header=BB61_21 Depth=1
	s_delay_alu instid0(SALU_CYCLE_1) | instskip(NEXT) | instid1(SALU_CYCLE_1)
	s_or_b32 exec_lo, exec_lo, s4
	s_and_not1_b32 vcc_lo, exec_lo, s56
	s_mov_b32 s31, s45
	s_waitcnt lgkmcnt(0)
	s_barrier
	buffer_gl0_inv
	s_cbranch_vccnz .LBB61_59
; %bb.30:                               ;   in Loop: Header=BB61_21 Depth=1
	v_mov_b32_e32 v9, v18
	v_mov_b32_e32 v21, v4
	s_cmp_lg_u32 s28, 0
	s_mov_b32 s62, s45
	s_cselect_b32 s61, -1, 0
	s_mov_b32 s30, s53
.LBB61_31:                              ;   Parent Loop BB61_21 Depth=1
                                        ; =>  This Loop Header: Depth=2
                                        ;       Child Loop BB61_36 Depth 3
                                        ;         Child Loop BB61_45 Depth 4
                                        ;         Child Loop BB61_50 Depth 4
	s_delay_alu instid0(SALU_CYCLE_1) | instskip(NEXT) | instid1(SALU_CYCLE_1)
	s_ashr_i32 s31, s30, 31
	s_lshl_b64 s[36:37], s[30:31], 2
	s_delay_alu instid0(SALU_CYCLE_1)
	s_add_u32 s4, s38, s36
	s_addc_u32 s5, s39, s37
	s_and_b32 vcc_lo, exec_lo, s61
	s_load_b32 s4, s[4:5], 0x0
	s_waitcnt lgkmcnt(0)
	s_sub_i32 s4, s4, s12
	s_cbranch_vccz .LBB61_58
; %bb.32:                               ;   in Loop: Header=BB61_31 Depth=2
	s_add_u32 s48, s10, s36
	s_addc_u32 s49, s11, s37
	s_ashr_i32 s5, s4, 31
	global_load_b32 v7, v8, s[48:49]
	s_waitcnt vmcnt(0)
	v_readfirstlane_b32 s63, v7
	s_cbranch_execnz .LBB61_34
.LBB61_33:                              ;   in Loop: Header=BB61_31 Depth=2
	s_ashr_i32 s5, s4, 31
	s_delay_alu instid0(SALU_CYCLE_1) | instskip(NEXT) | instid1(SALU_CYCLE_1)
	s_lshl_b64 s[48:49], s[4:5], 2
	s_add_u32 s48, s42, s48
	s_addc_u32 s49, s43, s49
	s_load_b32 s31, s[48:49], 0x0
	s_waitcnt lgkmcnt(0)
	s_sub_i32 s63, s31, s13
.LBB61_34:                              ;   in Loop: Header=BB61_31 Depth=2
	s_lshl_b64 s[4:5], s[4:5], 2
	s_delay_alu instid0(SALU_CYCLE_1) | instskip(SKIP_4) | instid1(SALU_CYCLE_1)
	s_add_u32 s4, s57, s4
	s_addc_u32 s5, s58, s5
	s_load_b32 s4, s[4:5], 0x0
	s_waitcnt lgkmcnt(0)
	s_sub_i32 s5, s4, s13
	s_cmp_ge_i32 s63, s5
	s_cbranch_scc1 .LBB61_55
; %bb.35:                               ;   in Loop: Header=BB61_31 Depth=2
	v_ashrrev_i32_e32 v10, 31, v9
	v_mad_u64_u32 v[12:13], null, s46, s63, v[1:2]
	s_mov_b32 s48, s63
	s_delay_alu instid0(VALU_DEP_2) | instskip(SKIP_1) | instid1(VALU_DEP_3)
	v_lshlrev_b64 v[13:14], 3, v[9:10]
	v_mad_u64_u32 v[10:11], null, s47, s63, v[1:2]
	v_mul_lo_u32 v22, s46, v12
	s_delay_alu instid0(VALU_DEP_3) | instskip(NEXT) | instid1(VALU_DEP_4)
	v_add_co_u32 v11, vcc_lo, s29, v13
	v_add_co_ci_u32_e32 v12, vcc_lo, s59, v14, vcc_lo
.LBB61_36:                              ;   Parent Loop BB61_21 Depth=1
                                        ;     Parent Loop BB61_31 Depth=2
                                        ; =>    This Loop Header: Depth=3
                                        ;         Child Loop BB61_45 Depth 4
                                        ;         Child Loop BB61_50 Depth 4
	s_ashr_i32 s49, s48, 31
                                        ; implicit-def: $sgpr31
	s_delay_alu instid0(SALU_CYCLE_1) | instskip(NEXT) | instid1(SALU_CYCLE_1)
	s_lshl_b64 s[64:65], s[48:49], 2
	s_add_u32 s64, s24, s64
	s_addc_u32 s65, s25, s65
	s_load_b32 s4, s[64:65], 0x0
	s_mov_b32 s65, -1
                                        ; implicit-def: $sgpr64
	s_waitcnt lgkmcnt(0)
	s_sub_i32 s49, s4, s13
	s_delay_alu instid0(SALU_CYCLE_1) | instskip(SKIP_3) | instid1(SALU_CYCLE_1)
	s_cmp_lt_i32 s49, s28
	s_cselect_b32 s4, -1, 0
	s_cmp_ge_i32 s49, s7
	s_cselect_b32 s66, -1, 0
	s_or_b32 s4, s4, s66
	s_delay_alu instid0(SALU_CYCLE_1)
	s_and_b32 vcc_lo, exec_lo, s4
                                        ; implicit-def: $sgpr4
	s_cbranch_vccz .LBB61_40
; %bb.37:                               ;   in Loop: Header=BB61_36 Depth=3
	s_mov_b32 s64, -1
	s_and_not1_b32 vcc_lo, exec_lo, s66
	s_mov_b32 s31, s62
	s_mov_b32 s4, s63
	s_cbranch_vccnz .LBB61_39
; %bb.38:                               ;   in Loop: Header=BB61_36 Depth=3
	s_min_i32 s31, s49, s62
	s_mov_b32 s64, 0
	s_mov_b32 s4, s48
.LBB61_39:                              ;   in Loop: Header=BB61_36 Depth=3
	s_mov_b32 s65, 0
.LBB61_40:                              ;   in Loop: Header=BB61_36 Depth=3
	s_delay_alu instid0(SALU_CYCLE_1)
	s_and_not1_b32 vcc_lo, exec_lo, s65
	s_cbranch_vccnz .LBB61_53
; %bb.41:                               ;   in Loop: Header=BB61_36 Depth=3
	s_sub_i32 s49, s49, s28
	s_delay_alu instid0(SALU_CYCLE_1)
	v_mov_b32_e32 v7, s49
	ds_store_b8 v7, v20 offset:16384
	s_and_saveexec_b32 s31, s54
	s_cbranch_execz .LBB61_52
; %bb.42:                               ;   in Loop: Header=BB61_36 Depth=3
	v_cmp_ne_u32_e64 s4, 1, v19
	s_and_not1_b32 vcc_lo, exec_lo, s44
	s_cbranch_vccnz .LBB61_47
; %bb.43:                               ;   in Loop: Header=BB61_36 Depth=3
	v_dual_mov_b32 v23, 0 :: v_dual_mov_b32 v24, 0
	s_delay_alu instid0(VALU_DEP_2)
	s_and_b32 vcc_lo, exec_lo, s4
	s_mov_b32 s4, 0
	s_cbranch_vccnz .LBB61_46
; %bb.44:                               ;   in Loop: Header=BB61_36 Depth=3
	v_dual_mov_b32 v23, 0 :: v_dual_mov_b32 v24, 0
	v_mov_b32_e32 v13, v21
	s_mov_b32 s64, 0
	.p2align	6
.LBB61_45:                              ;   Parent Loop BB61_21 Depth=1
                                        ;     Parent Loop BB61_31 Depth=2
                                        ;       Parent Loop BB61_36 Depth=3
                                        ; =>      This Inner Loop Header: Depth=4
	s_delay_alu instid0(VALU_DEP_1) | instskip(SKIP_2) | instid1(SALU_CYCLE_1)
	v_ashrrev_i32_e32 v14, 31, v13
	v_add_nc_u32_e32 v7, s64, v22
	s_add_i32 s64, s64, 1
	s_cmp_lg_u32 s46, s64
	s_delay_alu instid0(VALU_DEP_2) | instskip(NEXT) | instid1(VALU_DEP_2)
	v_lshlrev_b64 v[25:26], 3, v[13:14]
	v_lshlrev_b64 v[27:28], 3, v[7:8]
	s_delay_alu instid0(VALU_DEP_2) | instskip(NEXT) | instid1(VALU_DEP_3)
	v_add_co_u32 v25, vcc_lo, s40, v25
	v_add_co_ci_u32_e32 v26, vcc_lo, s41, v26, vcc_lo
	s_delay_alu instid0(VALU_DEP_3) | instskip(NEXT) | instid1(VALU_DEP_4)
	v_add_co_u32 v27, vcc_lo, s26, v27
	v_add_co_ci_u32_e32 v28, vcc_lo, s27, v28, vcc_lo
	global_load_b64 v[25:26], v[25:26], off
	global_load_b64 v[27:28], v[27:28], off
	s_waitcnt vmcnt(0)
	v_fmac_f32_e32 v24, v26, v27
	v_fmac_f32_e32 v23, v25, v27
	s_delay_alu instid0(VALU_DEP_2) | instskip(NEXT) | instid1(VALU_DEP_2)
	v_dual_fmac_f32 v24, v25, v28 :: v_dual_add_nc_u32 v13, s46, v13
	v_fma_f32 v23, -v26, v28, v23
	s_cbranch_scc1 .LBB61_45
.LBB61_46:                              ;   in Loop: Header=BB61_36 Depth=3
	s_and_not1_b32 vcc_lo, exec_lo, s4
	s_cbranch_vccz .LBB61_48
	s_branch .LBB61_51
.LBB61_47:                              ;   in Loop: Header=BB61_36 Depth=3
                                        ; implicit-def: $vgpr23
                                        ; implicit-def: $vgpr24
.LBB61_48:                              ;   in Loop: Header=BB61_36 Depth=3
	v_dual_mov_b32 v23, 0 :: v_dual_mov_b32 v24, 0
	s_and_not1_b32 vcc_lo, exec_lo, s55
	s_cbranch_vccnz .LBB61_51
; %bb.49:                               ;   in Loop: Header=BB61_36 Depth=3
	v_dual_mov_b32 v23, 0 :: v_dual_mov_b32 v14, v12
	v_dual_mov_b32 v13, v11 :: v_dual_mov_b32 v24, 0
	v_mov_b32_e32 v7, v10
	s_mov_b32 s4, s46
	.p2align	6
.LBB61_50:                              ;   Parent Loop BB61_21 Depth=1
                                        ;     Parent Loop BB61_31 Depth=2
                                        ;       Parent Loop BB61_36 Depth=3
                                        ; =>      This Inner Loop Header: Depth=4
	s_delay_alu instid0(VALU_DEP_1) | instskip(SKIP_1) | instid1(SALU_CYCLE_1)
	v_lshlrev_b64 v[25:26], 3, v[7:8]
	s_add_i32 s4, s4, -1
	s_cmp_eq_u32 s4, 0
	s_delay_alu instid0(VALU_DEP_1) | instskip(NEXT) | instid1(VALU_DEP_2)
	v_add_co_u32 v25, vcc_lo, s26, v25
	v_add_co_ci_u32_e32 v26, vcc_lo, s27, v26, vcc_lo
	global_load_b64 v[27:28], v[13:14], off offset:-4
	global_load_b64 v[25:26], v[25:26], off
	v_add_nc_u32_e32 v7, s46, v7
	v_add_co_u32 v13, vcc_lo, v13, 8
	v_add_co_ci_u32_e32 v14, vcc_lo, 0, v14, vcc_lo
	s_waitcnt vmcnt(0)
	v_fmac_f32_e32 v24, v28, v25
	v_fmac_f32_e32 v23, v27, v25
	s_delay_alu instid0(VALU_DEP_2) | instskip(NEXT) | instid1(VALU_DEP_2)
	v_fmac_f32_e32 v24, v27, v26
	v_fma_f32 v23, -v28, v26, v23
	s_cbranch_scc0 .LBB61_50
.LBB61_51:                              ;   in Loop: Header=BB61_36 Depth=3
	s_lshl_b32 s4, s49, 8
	s_delay_alu instid0(SALU_CYCLE_1) | instskip(NEXT) | instid1(VALU_DEP_1)
	v_or3_b32 v7, s4, v15, v1
	v_lshlrev_b32_e32 v7, 3, v7
	ds_load_b64 v[13:14], v7
	s_waitcnt lgkmcnt(0)
	v_fma_f32 v13, s33, v23, v13
	v_fmac_f32_e32 v14, s35, v23
	s_delay_alu instid0(VALU_DEP_2) | instskip(NEXT) | instid1(VALU_DEP_2)
	v_fma_f32 v13, -s35, v24, v13
	v_fmac_f32_e32 v14, s33, v24
	ds_store_b64 v7, v[13:14]
.LBB61_52:                              ;   in Loop: Header=BB61_36 Depth=3
	s_or_b32 exec_lo, exec_lo, s31
	s_mov_b32 s64, -1
	s_mov_b32 s31, s62
	s_mov_b32 s4, s63
	s_waitcnt lgkmcnt(0)
	s_waitcnt_vscnt null, 0x0
	s_barrier
	buffer_gl0_inv
.LBB61_53:                              ;   in Loop: Header=BB61_36 Depth=3
	s_add_i32 s48, s48, 1
	v_add_nc_u32_e32 v22, s47, v22
	s_cmp_lt_i32 s48, s5
	v_add_nc_u32_e32 v10, s47, v10
	s_cselect_b32 s49, -1, 0
	s_delay_alu instid0(SALU_CYCLE_1) | instskip(NEXT) | instid1(SALU_CYCLE_1)
	s_and_b32 s49, s64, s49
	s_and_b32 vcc_lo, exec_lo, s49
	s_cbranch_vccz .LBB61_56
; %bb.54:                               ;   in Loop: Header=BB61_36 Depth=3
	s_mov_b32 s62, s31
	s_mov_b32 s63, s4
	s_branch .LBB61_36
.LBB61_55:                              ;   in Loop: Header=BB61_31 Depth=2
	s_mov_b32 s31, s62
	s_mov_b32 s4, s63
.LBB61_56:                              ;   in Loop: Header=BB61_31 Depth=2
	s_add_u32 s36, s10, s36
	v_mov_b32_e32 v7, s4
	v_add_nc_u32_e32 v21, s47, v21
	v_add_nc_u32_e32 v9, s47, v9
	s_addc_u32 s37, s11, s37
	s_add_i32 s30, s30, 1
	global_store_b32 v8, v7, s[36:37]
	s_cmp_lt_i32 s30, s52
	s_cbranch_scc0 .LBB61_59
; %bb.57:                               ;   in Loop: Header=BB61_31 Depth=2
	s_mov_b32 s62, s31
	s_branch .LBB61_31
.LBB61_58:                              ;   in Loop: Header=BB61_31 Depth=2
                                        ; implicit-def: $sgpr63
	s_branch .LBB61_33
.LBB61_59:                              ;   in Loop: Header=BB61_21 Depth=1
	s_and_not1_b32 vcc_lo, exec_lo, s34
	s_cbranch_vccnz .LBB61_71
; %bb.60:                               ;   in Loop: Header=BB61_21 Depth=1
	s_load_b64 s[4:5], s[20:21], 0x0
	s_waitcnt lgkmcnt(0)
	s_cmp_ge_i32 s4, s5
	s_cbranch_scc1 .LBB61_71
; %bb.61:                               ;   in Loop: Header=BB61_21 Depth=1
	s_sub_i32 s36, s4, s15
	s_sub_i32 s30, s5, s15
	v_mad_u64_u32 v[9:10], null, s46, s36, v[2:3]
	s_ashr_i32 s37, s36, 31
	s_delay_alu instid0(SALU_CYCLE_1) | instskip(SKIP_3) | instid1(VALU_DEP_1)
	s_lshl_b64 s[48:49], s[36:37], 2
	s_add_i32 s36, s60, s4
	s_add_u32 s4, s16, s48
	s_addc_u32 s5, s17, s49
	v_mad_u64_u32 v[10:11], null, s46, v9, v[3:4]
	s_delay_alu instid0(VALU_DEP_1)
	v_mov_b32_e32 v7, v10
.LBB61_62:                              ;   Parent Loop BB61_21 Depth=1
                                        ; =>  This Inner Loop Header: Depth=2
	s_load_b32 s37, s[4:5], 0x0
	s_waitcnt lgkmcnt(0)
	s_sub_i32 s49, s37, s15
	s_delay_alu instid0(SALU_CYCLE_1)
	s_cmp_lt_i32 s49, s28
	s_cselect_b32 s37, -1, 0
	s_cmp_lt_i32 s49, s7
	s_cselect_b32 s48, -1, 0
	s_cmp_ge_i32 s49, s7
	s_cselect_b32 s61, -1, 0
	s_delay_alu instid0(SALU_CYCLE_1)
	s_or_b32 s37, s37, s61
	s_mov_b32 s61, -1
	s_and_b32 vcc_lo, exec_lo, s37
                                        ; implicit-def: $sgpr37
	s_cbranch_vccz .LBB61_64
; %bb.63:                               ;   in Loop: Header=BB61_62 Depth=2
	s_min_i32 s37, s49, s31
	s_and_b32 s61, s48, exec_lo
	s_cselect_b32 s37, s31, s37
	s_mov_b32 s61, 0
.LBB61_64:                              ;   in Loop: Header=BB61_62 Depth=2
	s_delay_alu instid0(SALU_CYCLE_1)
	s_and_not1_b32 vcc_lo, exec_lo, s61
	s_cbranch_vccnz .LBB61_68
; %bb.65:                               ;   in Loop: Header=BB61_62 Depth=2
	s_sub_i32 s48, s49, s28
	s_delay_alu instid0(SALU_CYCLE_1)
	v_mov_b32_e32 v9, s48
	ds_store_b8 v9, v20 offset:16384
	s_and_saveexec_b32 s37, s54
	s_cbranch_execz .LBB61_67
; %bb.66:                               ;   in Loop: Header=BB61_62 Depth=2
	v_lshlrev_b64 v[9:10], 3, v[7:8]
	s_lshl_b32 s48, s48, 8
	s_delay_alu instid0(SALU_CYCLE_1) | instskip(NEXT) | instid1(VALU_DEP_2)
	v_or3_b32 v11, s48, v15, v1
	v_add_co_u32 v9, vcc_lo, s18, v9
	s_delay_alu instid0(VALU_DEP_3)
	v_add_co_ci_u32_e32 v10, vcc_lo, s19, v10, vcc_lo
	global_load_b64 v[9:10], v[9:10], off
	v_lshlrev_b32_e32 v13, 3, v11
	ds_load_b64 v[11:12], v13
	s_waitcnt vmcnt(0) lgkmcnt(0)
	v_fmac_f32_e32 v12, s51, v9
	v_fma_f32 v11, s50, v9, v11
	s_delay_alu instid0(VALU_DEP_2) | instskip(NEXT) | instid1(VALU_DEP_2)
	v_fmac_f32_e32 v12, s50, v10
	v_fma_f32 v11, -s51, v10, v11
	ds_store_b64 v13, v[11:12]
.LBB61_67:                              ;   in Loop: Header=BB61_62 Depth=2
	s_or_b32 exec_lo, exec_lo, s37
	s_mov_b32 s48, -1
	s_mov_b32 s37, s31
	s_waitcnt lgkmcnt(0)
	s_waitcnt_vscnt null, 0x0
	s_barrier
	buffer_gl0_inv
.LBB61_68:                              ;   in Loop: Header=BB61_62 Depth=2
	s_cmp_lt_i32 s36, s30
	v_add_nc_u32_e32 v7, s47, v7
	s_cselect_b32 s31, -1, 0
	s_add_i32 s36, s36, 1
	s_and_b32 s31, s48, s31
	s_add_u32 s4, s4, 4
	s_addc_u32 s5, s5, 0
	s_and_b32 vcc_lo, exec_lo, s31
	s_cbranch_vccz .LBB61_70
; %bb.69:                               ;   in Loop: Header=BB61_62 Depth=2
	s_mov_b32 s31, s37
	s_branch .LBB61_62
.LBB61_70:                              ;   in Loop: Header=BB61_21 Depth=1
	s_mov_b32 s31, s37
.LBB61_71:                              ;   in Loop: Header=BB61_21 Depth=1
	s_waitcnt_vscnt null, 0x0
	s_barrier
	buffer_gl0_inv
	ds_load_u8 v7, v8 offset:16384
	s_add_i32 s28, s28, s14
	s_mov_b32 s7, 0
	s_waitcnt lgkmcnt(0)
	v_cmp_eq_u32_e32 vcc_lo, 0, v7
	s_cbranch_vccz .LBB61_79
; %bb.72:                               ;   in Loop: Header=BB61_21 Depth=1
	ds_load_u8 v7, v8 offset:16385
	s_waitcnt lgkmcnt(0)
	v_cmp_eq_u32_e32 vcc_lo, 0, v7
	s_cbranch_vccz .LBB61_82
.LBB61_73:                              ;   in Loop: Header=BB61_21 Depth=1
	ds_load_u8 v7, v8 offset:16386
	s_waitcnt lgkmcnt(0)
	v_cmp_eq_u32_e32 vcc_lo, 0, v7
	s_cbranch_vccz .LBB61_85
.LBB61_74:                              ;   in Loop: Header=BB61_21 Depth=1
	ds_load_u8 v7, v8 offset:16387
	s_waitcnt lgkmcnt(0)
	v_cmp_eq_u32_e32 vcc_lo, 0, v7
	s_cbranch_vccz .LBB61_88
.LBB61_75:                              ;   in Loop: Header=BB61_21 Depth=1
	ds_load_u8 v7, v8 offset:16388
	s_waitcnt lgkmcnt(0)
	v_cmp_eq_u32_e32 vcc_lo, 0, v7
	s_cbranch_vccz .LBB61_91
.LBB61_76:                              ;   in Loop: Header=BB61_21 Depth=1
	ds_load_u8 v7, v8 offset:16389
	s_waitcnt lgkmcnt(0)
	v_cmp_eq_u32_e32 vcc_lo, 0, v7
	s_cbranch_vccz .LBB61_94
.LBB61_77:                              ;   in Loop: Header=BB61_21 Depth=1
	ds_load_u8 v7, v8 offset:16390
	s_waitcnt lgkmcnt(0)
	v_cmp_eq_u32_e32 vcc_lo, 0, v7
	s_cbranch_vccz .LBB61_97
.LBB61_78:                              ;   in Loop: Header=BB61_21 Depth=1
	ds_load_u8 v7, v8 offset:16391
	s_waitcnt lgkmcnt(0)
	v_cmp_eq_u32_e32 vcc_lo, 0, v7
	s_cbranch_vccnz .LBB61_20
	s_branch .LBB61_100
.LBB61_79:                              ;   in Loop: Header=BB61_21 Depth=1
	s_ashr_i32 s7, s6, 31
	v_mov_b32_e32 v7, s28
	s_lshl_b64 s[4:5], s[6:7], 2
	s_delay_alu instid0(SALU_CYCLE_1)
	s_add_u32 s4, s22, s4
	s_addc_u32 s5, s23, s5
	global_store_b32 v8, v7, s[4:5]
	s_and_saveexec_b32 s4, s54
	s_cbranch_execz .LBB61_81
; %bb.80:                               ;   in Loop: Header=BB61_21 Depth=1
	v_mad_u64_u32 v[9:10], null, s6, s46, v[2:3]
	ds_load_b64 v[12:13], v16
	v_mad_u64_u32 v[10:11], null, v9, s46, v[3:4]
	v_mov_b32_e32 v11, v8
	s_delay_alu instid0(VALU_DEP_1) | instskip(NEXT) | instid1(VALU_DEP_1)
	v_lshlrev_b64 v[9:10], 3, v[10:11]
	v_add_co_u32 v9, vcc_lo, s8, v9
	s_delay_alu instid0(VALU_DEP_2)
	v_add_co_ci_u32_e32 v10, vcc_lo, s9, v10, vcc_lo
	s_waitcnt lgkmcnt(0)
	global_store_b64 v[9:10], v[12:13], off
.LBB61_81:                              ;   in Loop: Header=BB61_21 Depth=1
	s_or_b32 exec_lo, exec_lo, s4
	s_mov_b32 s7, 1
	ds_load_u8 v7, v8 offset:16385
	s_waitcnt lgkmcnt(0)
	v_cmp_eq_u32_e32 vcc_lo, 0, v7
	s_cbranch_vccnz .LBB61_73
.LBB61_82:                              ;   in Loop: Header=BB61_21 Depth=1
	s_add_i32 s4, s7, s6
	s_add_i32 s30, s28, 1
	s_ashr_i32 s5, s4, 31
	v_mov_b32_e32 v7, s30
	s_lshl_b64 s[36:37], s[4:5], 2
	s_delay_alu instid0(SALU_CYCLE_1)
	s_add_u32 s36, s22, s36
	s_addc_u32 s37, s23, s37
	global_store_b32 v8, v7, s[36:37]
	s_and_saveexec_b32 s5, s54
	s_cbranch_execz .LBB61_84
; %bb.83:                               ;   in Loop: Header=BB61_21 Depth=1
	v_mad_u64_u32 v[9:10], null, s4, s46, v[2:3]
	ds_load_b64 v[12:13], v17 offset:2048
	v_mad_u64_u32 v[10:11], null, v9, s46, v[3:4]
	v_mov_b32_e32 v11, v8
	s_delay_alu instid0(VALU_DEP_1) | instskip(NEXT) | instid1(VALU_DEP_1)
	v_lshlrev_b64 v[9:10], 3, v[10:11]
	v_add_co_u32 v9, vcc_lo, s8, v9
	s_delay_alu instid0(VALU_DEP_2)
	v_add_co_ci_u32_e32 v10, vcc_lo, s9, v10, vcc_lo
	s_waitcnt lgkmcnt(0)
	global_store_b64 v[9:10], v[12:13], off
.LBB61_84:                              ;   in Loop: Header=BB61_21 Depth=1
	s_or_b32 exec_lo, exec_lo, s5
	s_add_i32 s7, s7, 1
	ds_load_u8 v7, v8 offset:16386
	s_waitcnt lgkmcnt(0)
	v_cmp_eq_u32_e32 vcc_lo, 0, v7
	s_cbranch_vccnz .LBB61_74
.LBB61_85:                              ;   in Loop: Header=BB61_21 Depth=1
	s_add_i32 s4, s7, s6
	s_add_i32 s30, s28, 2
	s_ashr_i32 s5, s4, 31
	v_mov_b32_e32 v7, s30
	s_lshl_b64 s[36:37], s[4:5], 2
	s_delay_alu instid0(SALU_CYCLE_1)
	s_add_u32 s36, s22, s36
	s_addc_u32 s37, s23, s37
	global_store_b32 v8, v7, s[36:37]
	s_and_saveexec_b32 s5, s54
	s_cbranch_execz .LBB61_87
; %bb.86:                               ;   in Loop: Header=BB61_21 Depth=1
	v_mad_u64_u32 v[9:10], null, s4, s46, v[2:3]
	ds_load_b64 v[12:13], v17 offset:4096
	v_mad_u64_u32 v[10:11], null, v9, s46, v[3:4]
	v_mov_b32_e32 v11, v8
	s_delay_alu instid0(VALU_DEP_1) | instskip(NEXT) | instid1(VALU_DEP_1)
	v_lshlrev_b64 v[9:10], 3, v[10:11]
	v_add_co_u32 v9, vcc_lo, s8, v9
	s_delay_alu instid0(VALU_DEP_2)
	v_add_co_ci_u32_e32 v10, vcc_lo, s9, v10, vcc_lo
	s_waitcnt lgkmcnt(0)
	global_store_b64 v[9:10], v[12:13], off
.LBB61_87:                              ;   in Loop: Header=BB61_21 Depth=1
	s_or_b32 exec_lo, exec_lo, s5
	s_add_i32 s7, s7, 1
	ds_load_u8 v7, v8 offset:16387
	s_waitcnt lgkmcnt(0)
	v_cmp_eq_u32_e32 vcc_lo, 0, v7
	s_cbranch_vccnz .LBB61_75
.LBB61_88:                              ;   in Loop: Header=BB61_21 Depth=1
	s_add_i32 s4, s7, s6
	s_add_i32 s30, s28, 3
	s_ashr_i32 s5, s4, 31
	v_mov_b32_e32 v7, s30
	s_lshl_b64 s[36:37], s[4:5], 2
	s_delay_alu instid0(SALU_CYCLE_1)
	s_add_u32 s36, s22, s36
	s_addc_u32 s37, s23, s37
	global_store_b32 v8, v7, s[36:37]
	s_and_saveexec_b32 s5, s54
	s_cbranch_execz .LBB61_90
; %bb.89:                               ;   in Loop: Header=BB61_21 Depth=1
	v_mad_u64_u32 v[9:10], null, s4, s46, v[2:3]
	ds_load_b64 v[12:13], v17 offset:6144
	v_mad_u64_u32 v[10:11], null, v9, s46, v[3:4]
	v_mov_b32_e32 v11, v8
	s_delay_alu instid0(VALU_DEP_1) | instskip(NEXT) | instid1(VALU_DEP_1)
	v_lshlrev_b64 v[9:10], 3, v[10:11]
	v_add_co_u32 v9, vcc_lo, s8, v9
	s_delay_alu instid0(VALU_DEP_2)
	v_add_co_ci_u32_e32 v10, vcc_lo, s9, v10, vcc_lo
	s_waitcnt lgkmcnt(0)
	global_store_b64 v[9:10], v[12:13], off
.LBB61_90:                              ;   in Loop: Header=BB61_21 Depth=1
	s_or_b32 exec_lo, exec_lo, s5
	s_add_i32 s7, s7, 1
	ds_load_u8 v7, v8 offset:16388
	s_waitcnt lgkmcnt(0)
	v_cmp_eq_u32_e32 vcc_lo, 0, v7
	s_cbranch_vccnz .LBB61_76
.LBB61_91:                              ;   in Loop: Header=BB61_21 Depth=1
	s_add_i32 s4, s7, s6
	s_add_i32 s30, s28, 4
	s_ashr_i32 s5, s4, 31
	v_mov_b32_e32 v7, s30
	s_lshl_b64 s[36:37], s[4:5], 2
	s_delay_alu instid0(SALU_CYCLE_1)
	s_add_u32 s36, s22, s36
	s_addc_u32 s37, s23, s37
	global_store_b32 v8, v7, s[36:37]
	s_and_saveexec_b32 s5, s54
	s_cbranch_execz .LBB61_93
; %bb.92:                               ;   in Loop: Header=BB61_21 Depth=1
	v_mad_u64_u32 v[9:10], null, s4, s46, v[2:3]
	ds_load_b64 v[12:13], v16 offset:8192
	v_mad_u64_u32 v[10:11], null, v9, s46, v[3:4]
	v_mov_b32_e32 v11, v8
	s_delay_alu instid0(VALU_DEP_1) | instskip(NEXT) | instid1(VALU_DEP_1)
	v_lshlrev_b64 v[9:10], 3, v[10:11]
	v_add_co_u32 v9, vcc_lo, s8, v9
	s_delay_alu instid0(VALU_DEP_2)
	v_add_co_ci_u32_e32 v10, vcc_lo, s9, v10, vcc_lo
	s_waitcnt lgkmcnt(0)
	global_store_b64 v[9:10], v[12:13], off
.LBB61_93:                              ;   in Loop: Header=BB61_21 Depth=1
	s_or_b32 exec_lo, exec_lo, s5
	s_add_i32 s7, s7, 1
	ds_load_u8 v7, v8 offset:16389
	s_waitcnt lgkmcnt(0)
	v_cmp_eq_u32_e32 vcc_lo, 0, v7
	s_cbranch_vccnz .LBB61_77
.LBB61_94:                              ;   in Loop: Header=BB61_21 Depth=1
	s_add_i32 s4, s7, s6
	s_add_i32 s30, s28, 5
	s_ashr_i32 s5, s4, 31
	v_mov_b32_e32 v7, s30
	s_lshl_b64 s[36:37], s[4:5], 2
	s_delay_alu instid0(SALU_CYCLE_1)
	s_add_u32 s36, s22, s36
	s_addc_u32 s37, s23, s37
	global_store_b32 v8, v7, s[36:37]
	s_and_saveexec_b32 s5, s54
	s_cbranch_execz .LBB61_96
; %bb.95:                               ;   in Loop: Header=BB61_21 Depth=1
	v_mad_u64_u32 v[9:10], null, s4, s46, v[2:3]
	ds_load_b64 v[12:13], v17 offset:10240
	v_mad_u64_u32 v[10:11], null, v9, s46, v[3:4]
	v_mov_b32_e32 v11, v8
	s_delay_alu instid0(VALU_DEP_1) | instskip(NEXT) | instid1(VALU_DEP_1)
	v_lshlrev_b64 v[9:10], 3, v[10:11]
	v_add_co_u32 v9, vcc_lo, s8, v9
	s_delay_alu instid0(VALU_DEP_2)
	v_add_co_ci_u32_e32 v10, vcc_lo, s9, v10, vcc_lo
	s_waitcnt lgkmcnt(0)
	global_store_b64 v[9:10], v[12:13], off
.LBB61_96:                              ;   in Loop: Header=BB61_21 Depth=1
	s_or_b32 exec_lo, exec_lo, s5
	s_add_i32 s7, s7, 1
	ds_load_u8 v7, v8 offset:16390
	s_waitcnt lgkmcnt(0)
	v_cmp_eq_u32_e32 vcc_lo, 0, v7
	s_cbranch_vccnz .LBB61_78
.LBB61_97:                              ;   in Loop: Header=BB61_21 Depth=1
	s_add_i32 s4, s7, s6
	s_add_i32 s30, s28, 6
	s_ashr_i32 s5, s4, 31
	v_mov_b32_e32 v7, s30
	s_lshl_b64 s[36:37], s[4:5], 2
	s_delay_alu instid0(SALU_CYCLE_1)
	s_add_u32 s36, s22, s36
	s_addc_u32 s37, s23, s37
	global_store_b32 v8, v7, s[36:37]
	s_and_saveexec_b32 s5, s54
	s_cbranch_execz .LBB61_99
; %bb.98:                               ;   in Loop: Header=BB61_21 Depth=1
	v_mad_u64_u32 v[9:10], null, s4, s46, v[2:3]
	ds_load_b64 v[12:13], v17 offset:12288
	v_mad_u64_u32 v[10:11], null, v9, s46, v[3:4]
	v_mov_b32_e32 v11, v8
	s_delay_alu instid0(VALU_DEP_1) | instskip(NEXT) | instid1(VALU_DEP_1)
	v_lshlrev_b64 v[9:10], 3, v[10:11]
	v_add_co_u32 v9, vcc_lo, s8, v9
	s_delay_alu instid0(VALU_DEP_2)
	v_add_co_ci_u32_e32 v10, vcc_lo, s9, v10, vcc_lo
	s_waitcnt lgkmcnt(0)
	global_store_b64 v[9:10], v[12:13], off
.LBB61_99:                              ;   in Loop: Header=BB61_21 Depth=1
	s_or_b32 exec_lo, exec_lo, s5
	s_add_i32 s7, s7, 1
	ds_load_u8 v7, v8 offset:16391
	s_waitcnt lgkmcnt(0)
	v_cmp_eq_u32_e32 vcc_lo, 0, v7
	s_cbranch_vccnz .LBB61_20
.LBB61_100:                             ;   in Loop: Header=BB61_21 Depth=1
	s_add_i32 s4, s7, s6
	s_add_i32 s28, s28, 7
	s_ashr_i32 s5, s4, 31
	v_mov_b32_e32 v7, s28
	s_lshl_b64 s[36:37], s[4:5], 2
	s_delay_alu instid0(SALU_CYCLE_1)
	s_add_u32 s36, s22, s36
	s_addc_u32 s37, s23, s37
	global_store_b32 v8, v7, s[36:37]
	s_and_saveexec_b32 s5, s54
	s_cbranch_execz .LBB61_19
; %bb.101:                              ;   in Loop: Header=BB61_21 Depth=1
	v_mad_u64_u32 v[9:10], null, s4, s46, v[2:3]
	ds_load_b64 v[12:13], v17 offset:14336
	v_mad_u64_u32 v[10:11], null, v9, s46, v[3:4]
	v_mov_b32_e32 v11, v8
	s_delay_alu instid0(VALU_DEP_1) | instskip(NEXT) | instid1(VALU_DEP_1)
	v_lshlrev_b64 v[9:10], 3, v[10:11]
	v_add_co_u32 v9, vcc_lo, s8, v9
	s_delay_alu instid0(VALU_DEP_2)
	v_add_co_ci_u32_e32 v10, vcc_lo, s9, v10, vcc_lo
	s_waitcnt lgkmcnt(0)
	global_store_b64 v[9:10], v[12:13], off
	s_branch .LBB61_19
.LBB61_102:
	s_endpgm
	.section	.rodata,"a",@progbits
	.p2align	6, 0x0
	.amdhsa_kernel _ZN9rocsparseL31bsrgemm_block_per_row_multipassILj256ELj8ELj16Eii21rocsparse_complex_numIfEEEv20rocsparse_direction_T3_S4_PKS4_S6_NS_24const_host_device_scalarIT4_EEPKT2_S6_PKS8_SC_S6_SE_S9_SC_S6_SE_SC_PS4_PS8_PSA_21rocsparse_index_base_SI_SI_SI_bbb
		.amdhsa_group_segment_fixed_size 16392
		.amdhsa_private_segment_fixed_size 0
		.amdhsa_kernarg_size 172
		.amdhsa_user_sgpr_count 15
		.amdhsa_user_sgpr_dispatch_ptr 0
		.amdhsa_user_sgpr_queue_ptr 0
		.amdhsa_user_sgpr_kernarg_segment_ptr 1
		.amdhsa_user_sgpr_dispatch_id 0
		.amdhsa_user_sgpr_private_segment_size 0
		.amdhsa_wavefront_size32 1
		.amdhsa_uses_dynamic_stack 0
		.amdhsa_enable_private_segment 0
		.amdhsa_system_sgpr_workgroup_id_x 1
		.amdhsa_system_sgpr_workgroup_id_y 0
		.amdhsa_system_sgpr_workgroup_id_z 0
		.amdhsa_system_sgpr_workgroup_info 0
		.amdhsa_system_vgpr_workitem_id 0
		.amdhsa_next_free_vgpr 29
		.amdhsa_next_free_sgpr 67
		.amdhsa_reserve_vcc 1
		.amdhsa_float_round_mode_32 0
		.amdhsa_float_round_mode_16_64 0
		.amdhsa_float_denorm_mode_32 3
		.amdhsa_float_denorm_mode_16_64 3
		.amdhsa_dx10_clamp 1
		.amdhsa_ieee_mode 1
		.amdhsa_fp16_overflow 0
		.amdhsa_workgroup_processor_mode 1
		.amdhsa_memory_ordered 1
		.amdhsa_forward_progress 0
		.amdhsa_shared_vgpr_count 0
		.amdhsa_exception_fp_ieee_invalid_op 0
		.amdhsa_exception_fp_denorm_src 0
		.amdhsa_exception_fp_ieee_div_zero 0
		.amdhsa_exception_fp_ieee_overflow 0
		.amdhsa_exception_fp_ieee_underflow 0
		.amdhsa_exception_fp_ieee_inexact 0
		.amdhsa_exception_int_div_zero 0
	.end_amdhsa_kernel
	.section	.text._ZN9rocsparseL31bsrgemm_block_per_row_multipassILj256ELj8ELj16Eii21rocsparse_complex_numIfEEEv20rocsparse_direction_T3_S4_PKS4_S6_NS_24const_host_device_scalarIT4_EEPKT2_S6_PKS8_SC_S6_SE_S9_SC_S6_SE_SC_PS4_PS8_PSA_21rocsparse_index_base_SI_SI_SI_bbb,"axG",@progbits,_ZN9rocsparseL31bsrgemm_block_per_row_multipassILj256ELj8ELj16Eii21rocsparse_complex_numIfEEEv20rocsparse_direction_T3_S4_PKS4_S6_NS_24const_host_device_scalarIT4_EEPKT2_S6_PKS8_SC_S6_SE_S9_SC_S6_SE_SC_PS4_PS8_PSA_21rocsparse_index_base_SI_SI_SI_bbb,comdat
.Lfunc_end61:
	.size	_ZN9rocsparseL31bsrgemm_block_per_row_multipassILj256ELj8ELj16Eii21rocsparse_complex_numIfEEEv20rocsparse_direction_T3_S4_PKS4_S6_NS_24const_host_device_scalarIT4_EEPKT2_S6_PKS8_SC_S6_SE_S9_SC_S6_SE_SC_PS4_PS8_PSA_21rocsparse_index_base_SI_SI_SI_bbb, .Lfunc_end61-_ZN9rocsparseL31bsrgemm_block_per_row_multipassILj256ELj8ELj16Eii21rocsparse_complex_numIfEEEv20rocsparse_direction_T3_S4_PKS4_S6_NS_24const_host_device_scalarIT4_EEPKT2_S6_PKS8_SC_S6_SE_S9_SC_S6_SE_SC_PS4_PS8_PSA_21rocsparse_index_base_SI_SI_SI_bbb
                                        ; -- End function
	.section	.AMDGPU.csdata,"",@progbits
; Kernel info:
; codeLenInByte = 3580
; NumSgprs: 69
; NumVgprs: 29
; ScratchSize: 0
; MemoryBound: 0
; FloatMode: 240
; IeeeMode: 1
; LDSByteSize: 16392 bytes/workgroup (compile time only)
; SGPRBlocks: 8
; VGPRBlocks: 3
; NumSGPRsForWavesPerEU: 69
; NumVGPRsForWavesPerEU: 29
; Occupancy: 14
; WaveLimiterHint : 1
; COMPUTE_PGM_RSRC2:SCRATCH_EN: 0
; COMPUTE_PGM_RSRC2:USER_SGPR: 15
; COMPUTE_PGM_RSRC2:TRAP_HANDLER: 0
; COMPUTE_PGM_RSRC2:TGID_X_EN: 1
; COMPUTE_PGM_RSRC2:TGID_Y_EN: 0
; COMPUTE_PGM_RSRC2:TGID_Z_EN: 0
; COMPUTE_PGM_RSRC2:TIDIG_COMP_CNT: 0
	.section	.text._ZN9rocsparseL31bsrgemm_block_per_row_multipassILj256ELj2ELj32Eii21rocsparse_complex_numIfEEEv20rocsparse_direction_T3_S4_PKS4_S6_NS_24const_host_device_scalarIT4_EEPKT2_S6_PKS8_SC_S6_SE_S9_SC_S6_SE_SC_PS4_PS8_PSA_21rocsparse_index_base_SI_SI_SI_bbb,"axG",@progbits,_ZN9rocsparseL31bsrgemm_block_per_row_multipassILj256ELj2ELj32Eii21rocsparse_complex_numIfEEEv20rocsparse_direction_T3_S4_PKS4_S6_NS_24const_host_device_scalarIT4_EEPKT2_S6_PKS8_SC_S6_SE_S9_SC_S6_SE_SC_PS4_PS8_PSA_21rocsparse_index_base_SI_SI_SI_bbb,comdat
	.globl	_ZN9rocsparseL31bsrgemm_block_per_row_multipassILj256ELj2ELj32Eii21rocsparse_complex_numIfEEEv20rocsparse_direction_T3_S4_PKS4_S6_NS_24const_host_device_scalarIT4_EEPKT2_S6_PKS8_SC_S6_SE_S9_SC_S6_SE_SC_PS4_PS8_PSA_21rocsparse_index_base_SI_SI_SI_bbb ; -- Begin function _ZN9rocsparseL31bsrgemm_block_per_row_multipassILj256ELj2ELj32Eii21rocsparse_complex_numIfEEEv20rocsparse_direction_T3_S4_PKS4_S6_NS_24const_host_device_scalarIT4_EEPKT2_S6_PKS8_SC_S6_SE_S9_SC_S6_SE_SC_PS4_PS8_PSA_21rocsparse_index_base_SI_SI_SI_bbb
	.p2align	8
	.type	_ZN9rocsparseL31bsrgemm_block_per_row_multipassILj256ELj2ELj32Eii21rocsparse_complex_numIfEEEv20rocsparse_direction_T3_S4_PKS4_S6_NS_24const_host_device_scalarIT4_EEPKT2_S6_PKS8_SC_S6_SE_S9_SC_S6_SE_SC_PS4_PS8_PSA_21rocsparse_index_base_SI_SI_SI_bbb,@function
_ZN9rocsparseL31bsrgemm_block_per_row_multipassILj256ELj2ELj32Eii21rocsparse_complex_numIfEEEv20rocsparse_direction_T3_S4_PKS4_S6_NS_24const_host_device_scalarIT4_EEPKT2_S6_PKS8_SC_S6_SE_S9_SC_S6_SE_SC_PS4_PS8_PSA_21rocsparse_index_base_SI_SI_SI_bbb: ; @_ZN9rocsparseL31bsrgemm_block_per_row_multipassILj256ELj2ELj32Eii21rocsparse_complex_numIfEEEv20rocsparse_direction_T3_S4_PKS4_S6_NS_24const_host_device_scalarIT4_EEPKT2_S6_PKS8_SC_S6_SE_S9_SC_S6_SE_SC_PS4_PS8_PSA_21rocsparse_index_base_SI_SI_SI_bbb
; %bb.0:
	s_mov_b32 s2, s15
	s_clause 0x5
	s_load_b32 s3, s[0:1], 0xa8
	s_load_b256 s[8:15], s[0:1], 0x88
	s_load_b256 s[16:23], s[0:1], 0x68
	;; [unrolled: 1-line block ×3, first 2 shown]
	s_load_b128 s[4:7], s[0:1], 0x10
	s_load_b256 s[36:43], s[0:1], 0x28
	s_mov_b32 s35, 0
	s_waitcnt lgkmcnt(0)
	s_bitcmp1_b32 s3, 0
	s_cselect_b32 s48, -1, 0
	s_bitcmp1_b32 s3, 16
	s_cselect_b32 s33, -1, 0
	s_delay_alu instid0(SALU_CYCLE_1) | instskip(SKIP_3) | instid1(VALU_DEP_1)
	s_xor_b32 s44, s33, -1
	s_bitcmp0_b32 s3, 0
	v_cndmask_b32_e64 v1, 0, 1, s44
	s_mov_b32 s33, 0
	v_cmp_ne_u32_e32 vcc_lo, 1, v1
	s_cbranch_scc1 .LBB62_5
; %bb.1:
	s_load_b64 s[34:35], s[0:1], 0x20
	s_and_b32 vcc_lo, exec_lo, vcc_lo
	s_waitcnt lgkmcnt(0)
	s_mov_b32 s33, s34
	s_cbranch_vccnz .LBB62_3
; %bb.2:
	s_load_b32 s33, s[34:35], 0x0
.LBB62_3:
	s_and_not1_b32 vcc_lo, exec_lo, s44
	s_cbranch_vccnz .LBB62_5
; %bb.4:
	s_load_b32 s35, s[34:35], 0x4
.LBB62_5:
	s_bitcmp1_b32 s3, 8
	s_mov_b32 s51, 0
	s_cselect_b32 s34, -1, 0
	s_bfe_u32 s3, s3, 0x10008
	s_mov_b32 s50, 0
	s_cmp_eq_u32 s3, 0
	s_cbranch_scc1 .LBB62_11
; %bb.6:
	v_cmp_ne_u32_e32 vcc_lo, 1, v1
	s_mov_b32 s50, s28
	s_cbranch_vccnz .LBB62_8
; %bb.7:
	s_load_b32 s50, s[28:29], 0x0
.LBB62_8:
	v_cmp_ne_u32_e32 vcc_lo, 1, v1
	s_cbranch_vccnz .LBB62_10
; %bb.9:
	s_load_b32 s29, s[28:29], 0x4
.LBB62_10:
	s_waitcnt lgkmcnt(0)
	s_mov_b32 s51, s29
.LBB62_11:
	s_cmp_eq_u64 s[6:7], 0
	s_cbranch_scc1 .LBB62_13
; %bb.12:
	s_load_b32 s3, s[4:5], 0x0
	s_waitcnt lgkmcnt(0)
	s_add_i32 s2, s3, s2
	s_mov_b32 s3, 0
	s_delay_alu instid0(SALU_CYCLE_1) | instskip(NEXT) | instid1(SALU_CYCLE_1)
	s_lshl_b64 s[2:3], s[2:3], 2
	s_add_u32 s2, s6, s2
	s_addc_u32 s3, s7, s3
	s_load_b32 s2, s[2:3], 0x0
.LBB62_13:
	s_mov_b32 s52, 0
	s_and_not1_b32 vcc_lo, exec_lo, s48
	s_mov_b32 s53, 0
	s_cbranch_vccz .LBB62_16
; %bb.14:
	s_and_not1_b32 vcc_lo, exec_lo, s48
	s_cbranch_vccz .LBB62_17
.LBB62_15:
	s_load_b128 s[44:47], s[0:1], 0x0
	s_waitcnt lgkmcnt(0)
	s_cmp_lt_i32 s45, 1
	s_cbranch_scc0 .LBB62_18
	s_branch .LBB62_175
.LBB62_16:
	s_waitcnt lgkmcnt(0)
	s_ashr_i32 s3, s2, 31
	s_delay_alu instid0(SALU_CYCLE_1) | instskip(NEXT) | instid1(SALU_CYCLE_1)
	s_lshl_b64 s[4:5], s[2:3], 2
	s_add_u32 s4, s36, s4
	s_addc_u32 s5, s37, s5
	s_load_b32 s3, s[4:5], 0x0
	s_waitcnt lgkmcnt(0)
	s_sub_i32 s53, s3, s12
	s_and_not1_b32 vcc_lo, exec_lo, s48
	s_cbranch_vccnz .LBB62_15
.LBB62_17:
	s_waitcnt lgkmcnt(0)
	s_ashr_i32 s3, s2, 31
	s_delay_alu instid0(SALU_CYCLE_1) | instskip(NEXT) | instid1(SALU_CYCLE_1)
	s_lshl_b64 s[4:5], s[2:3], 2
	s_add_u32 s4, s36, s4
	s_addc_u32 s5, s37, s5
	s_load_b32 s3, s[4:5], 0x4
	s_waitcnt lgkmcnt(0)
	s_sub_i32 s52, s3, s12
	s_load_b128 s[44:47], s[0:1], 0x0
	s_waitcnt lgkmcnt(0)
	s_cmp_lt_i32 s45, 1
	s_cbranch_scc1 .LBB62_175
.LBB62_18:
	s_ashr_i32 s3, s2, 31
	v_lshrrev_b32_e32 v1, 3, v0
	s_lshl_b64 s[36:37], s[2:3], 2
	s_mov_b32 s28, 0
	s_add_u32 s0, s20, s36
	s_addc_u32 s1, s21, s37
	v_lshlrev_b32_e32 v16, 5, v1
	s_load_b32 s5, s[0:1], 0x0
	s_mov_b32 s29, s28
	v_and_b32_e32 v12, 7, v0
	v_cmp_gt_i32_e32 vcc_lo, s46, v1
	s_mul_i32 s47, s46, s46
	v_cmp_gt_u32_e64 s0, 2, v0
	v_dual_mov_b32 v24, 1 :: v_dual_lshlrev_b32 v21, 3, v0
	v_or_b32_e32 v14, 16, v12
	v_or_b32_e32 v15, 24, v12
	;; [unrolled: 1-line block ×4, first 2 shown]
	v_cmp_gt_u32_e64 s1, s46, v12
	v_or_b32_e32 v4, v16, v14
	v_or_b32_e32 v5, v16, v15
	v_lshlrev_b32_e32 v17, 3, v2
	v_or_b32_e32 v2, 0x400, v0
	v_or_b32_e32 v3, v16, v13
	v_dual_mov_b32 v6, 0 :: v_dual_lshlrev_b32 v19, 3, v4
	s_waitcnt lgkmcnt(0)
	s_sub_i32 s6, s5, s14
	v_lshlrev_b32_e32 v20, 3, v5
	v_mad_u64_u32 v[4:5], null, s53, s46, v[1:2]
	s_cmp_lt_i32 s53, s52
	v_cmp_gt_u32_e64 s2, s46, v13
	s_cselect_b32 s5, -1, 0
	s_cmp_lg_u32 s44, 0
	v_cmp_gt_u32_e64 s3, s46, v14
	v_cmp_gt_u32_e64 s4, s46, v15
	s_cselect_b32 s44, -1, 0
	s_cmp_gt_i32 s46, 0
	v_lshlrev_b32_e32 v18, 3, v3
	s_cselect_b32 s54, -1, 0
	s_add_u32 s20, s30, s36
	s_addc_u32 s21, s31, s37
	s_and_b32 s55, vcc_lo, s1
	v_cmp_gt_u32_e64 s1, 0x700, v2
	v_mad_u64_u32 v[2:3], null, s53, s47, v[1:2]
	v_mul_lo_u32 v22, s46, v4
	s_and_b32 s56, vcc_lo, s2
	s_and_b32 s57, vcc_lo, s3
	;; [unrolled: 1-line block ×3, first 2 shown]
	s_and_b32 s59, s48, s5
	v_mov_b32_e32 v3, s28
	v_cmp_gt_u32_e64 s2, 0x200, v0
	v_cmp_gt_u32_e64 s3, 0x100, v0
	s_add_u32 s60, s42, 4
	v_mov_b32_e32 v4, s29
	v_cndmask_b32_e64 v23, 0, 1, s54
	s_addc_u32 s61, s43, 0
	s_add_u32 s29, s40, 4
	s_mov_b32 s7, 2
	s_addc_u32 s62, s41, 0
	s_sub_i32 s63, 1, s15
	s_branch .LBB62_22
.LBB62_19:                              ;   in Loop: Header=BB62_22 Depth=1
	ds_load_b64 v[7:8], v20 offset:8192
	v_lshlrev_b64 v[9:10], 3, v[5:6]
	s_delay_alu instid0(VALU_DEP_1) | instskip(NEXT) | instid1(VALU_DEP_2)
	v_add_co_u32 v9, vcc_lo, s8, v9
	v_add_co_ci_u32_e32 v10, vcc_lo, s9, v10, vcc_lo
	s_waitcnt lgkmcnt(0)
	global_store_b64 v[9:10], v[7:8], off
.LBB62_20:                              ;   in Loop: Header=BB62_22 Depth=1
	s_or_b32 exec_lo, exec_lo, s5
	s_add_i32 s4, s4, 1
.LBB62_21:                              ;   in Loop: Header=BB62_22 Depth=1
	s_min_i32 s28, s49, s45
	s_add_i32 s6, s4, s6
	s_add_i32 s7, s28, 2
	s_cmp_lt_i32 s49, s45
	s_waitcnt_vscnt null, 0x0
	s_barrier
	buffer_gl0_inv
	s_barrier
	buffer_gl0_inv
	s_cbranch_scc0 .LBB62_175
.LBB62_22:                              ; =>This Loop Header: Depth=1
                                        ;     Child Loop BB62_32 Depth 2
                                        ;       Child Loop BB62_37 Depth 3
                                        ;         Child Loop BB62_49 Depth 4
                                        ;         Child Loop BB62_54 Depth 4
	;; [unrolled: 1-line block ×8, first 2 shown]
                                        ;     Child Loop BB62_99 Depth 2
	s_and_saveexec_b32 s4, s0
	s_cbranch_execz .LBB62_24
; %bb.23:                               ;   in Loop: Header=BB62_22 Depth=1
	ds_store_b8 v0, v6 offset:16384
.LBB62_24:                              ;   in Loop: Header=BB62_22 Depth=1
	s_or_b32 exec_lo, exec_lo, s4
	ds_store_2addr_stride64_b64 v21, v[3:4], v[3:4] offset1:4
	ds_store_2addr_stride64_b64 v21, v[3:4], v[3:4] offset0:8 offset1:12
	ds_store_b64 v21, v[3:4] offset:8192
	s_and_saveexec_b32 s4, s1
	s_delay_alu instid0(SALU_CYCLE_1)
	s_xor_b32 s4, exec_lo, s4
	s_cbranch_execz .LBB62_30
; %bb.25:                               ;   in Loop: Header=BB62_22 Depth=1
	v_mov_b32_e32 v5, v6
	ds_store_b64 v21, v[5:6] offset:10240
	s_and_saveexec_b32 s5, s2
	s_delay_alu instid0(SALU_CYCLE_1)
	s_xor_b32 s5, exec_lo, s5
	s_cbranch_execz .LBB62_29
; %bb.26:                               ;   in Loop: Header=BB62_22 Depth=1
	ds_store_b64 v21, v[5:6] offset:12288
	s_and_saveexec_b32 s30, s3
	s_delay_alu instid0(SALU_CYCLE_1)
	s_xor_b32 s30, exec_lo, s30
	s_cbranch_execz .LBB62_28
; %bb.27:                               ;   in Loop: Header=BB62_22 Depth=1
	v_mov_b32_e32 v5, v6
	ds_store_b64 v21, v[5:6] offset:14336
.LBB62_28:                              ;   in Loop: Header=BB62_22 Depth=1
	s_or_b32 exec_lo, exec_lo, s30
.LBB62_29:                              ;   in Loop: Header=BB62_22 Depth=1
	s_delay_alu instid0(SALU_CYCLE_1)
	s_or_b32 exec_lo, exec_lo, s5
.LBB62_30:                              ;   in Loop: Header=BB62_22 Depth=1
	s_delay_alu instid0(SALU_CYCLE_1) | instskip(NEXT) | instid1(SALU_CYCLE_1)
	s_or_b32 exec_lo, exec_lo, s4
	s_and_not1_b32 vcc_lo, exec_lo, s59
	s_mov_b32 s49, s45
	s_waitcnt lgkmcnt(0)
	s_barrier
	buffer_gl0_inv
	s_cbranch_vccnz .LBB62_93
; %bb.31:                               ;   in Loop: Header=BB62_22 Depth=1
	v_mov_b32_e32 v7, v22
	v_mov_b32_e32 v25, v2
	s_cmp_lg_u32 s28, 0
	s_mov_b32 s65, s45
	s_cselect_b32 s64, -1, 0
	s_mov_b32 s30, s53
.LBB62_32:                              ;   Parent Loop BB62_22 Depth=1
                                        ; =>  This Loop Header: Depth=2
                                        ;       Child Loop BB62_37 Depth 3
                                        ;         Child Loop BB62_49 Depth 4
                                        ;         Child Loop BB62_54 Depth 4
	;; [unrolled: 1-line block ×8, first 2 shown]
	s_delay_alu instid0(SALU_CYCLE_1) | instskip(NEXT) | instid1(SALU_CYCLE_1)
	s_ashr_i32 s31, s30, 31
	s_lshl_b64 s[36:37], s[30:31], 2
	s_delay_alu instid0(SALU_CYCLE_1)
	s_add_u32 s4, s38, s36
	s_addc_u32 s5, s39, s37
	s_and_b32 vcc_lo, exec_lo, s64
	s_load_b32 s4, s[4:5], 0x0
	s_waitcnt lgkmcnt(0)
	s_sub_i32 s4, s4, s12
	s_cbranch_vccz .LBB62_92
; %bb.33:                               ;   in Loop: Header=BB62_32 Depth=2
	s_add_u32 s48, s10, s36
	s_addc_u32 s49, s11, s37
	s_ashr_i32 s5, s4, 31
	global_load_b32 v5, v6, s[48:49]
	s_waitcnt vmcnt(0)
	v_readfirstlane_b32 s31, v5
	s_cbranch_execnz .LBB62_35
.LBB62_34:                              ;   in Loop: Header=BB62_32 Depth=2
	s_ashr_i32 s5, s4, 31
	s_delay_alu instid0(SALU_CYCLE_1) | instskip(NEXT) | instid1(SALU_CYCLE_1)
	s_lshl_b64 s[48:49], s[4:5], 2
	s_add_u32 s48, s42, s48
	s_addc_u32 s49, s43, s49
	s_load_b32 s31, s[48:49], 0x0
	s_waitcnt lgkmcnt(0)
	s_sub_i32 s31, s31, s13
.LBB62_35:                              ;   in Loop: Header=BB62_32 Depth=2
	s_lshl_b64 s[4:5], s[4:5], 2
	s_delay_alu instid0(SALU_CYCLE_1) | instskip(SKIP_4) | instid1(SALU_CYCLE_1)
	s_add_u32 s4, s60, s4
	s_addc_u32 s5, s61, s5
	s_load_b32 s4, s[4:5], 0x0
	s_waitcnt lgkmcnt(0)
	s_sub_i32 s5, s4, s13
	s_cmp_ge_i32 s31, s5
	s_cbranch_scc1 .LBB62_89
; %bb.36:                               ;   in Loop: Header=BB62_32 Depth=2
	v_ashrrev_i32_e32 v8, 31, v7
	s_mul_i32 s4, s46, s31
	s_mul_i32 s48, s47, s31
	v_add_nc_u32_e32 v5, s4, v12
	v_add_nc_u32_e32 v10, s4, v13
	v_lshlrev_b64 v[8:9], 3, v[7:8]
	v_add_nc_u32_e32 v11, s4, v14
	v_add_nc_u32_e32 v30, s4, v15
	v_mul_lo_u32 v26, s46, v5
	v_mul_lo_u32 v28, s46, v10
	v_add_nc_u32_e32 v27, s48, v12
	v_mul_lo_u32 v29, s46, v11
	v_mul_lo_u32 v30, s46, v30
	v_add_co_u32 v8, vcc_lo, s29, v8
	v_add_co_ci_u32_e32 v9, vcc_lo, s62, v9, vcc_lo
	v_add_nc_u32_e32 v31, s48, v13
	v_add_nc_u32_e32 v32, s48, v14
	;; [unrolled: 1-line block ×3, first 2 shown]
	s_mov_b32 s48, s31
.LBB62_37:                              ;   Parent Loop BB62_22 Depth=1
                                        ;     Parent Loop BB62_32 Depth=2
                                        ; =>    This Loop Header: Depth=3
                                        ;         Child Loop BB62_49 Depth 4
                                        ;         Child Loop BB62_54 Depth 4
	;; [unrolled: 1-line block ×8, first 2 shown]
	s_delay_alu instid0(SALU_CYCLE_1) | instskip(SKIP_2) | instid1(SALU_CYCLE_1)
	s_ashr_i32 s49, s48, 31
	s_mov_b32 s68, -1
	s_lshl_b64 s[66:67], s[48:49], 2
                                        ; implicit-def: $sgpr49
	s_add_u32 s66, s24, s66
	s_addc_u32 s67, s25, s67
	s_load_b32 s4, s[66:67], 0x0
                                        ; implicit-def: $sgpr66
	s_waitcnt lgkmcnt(0)
	s_sub_i32 s67, s4, s13
	s_delay_alu instid0(SALU_CYCLE_1) | instskip(SKIP_3) | instid1(SALU_CYCLE_1)
	s_cmp_lt_i32 s67, s28
	s_cselect_b32 s4, -1, 0
	s_cmp_ge_i32 s67, s7
	s_cselect_b32 s69, -1, 0
	s_or_b32 s4, s4, s69
	s_delay_alu instid0(SALU_CYCLE_1)
	s_and_b32 vcc_lo, exec_lo, s4
                                        ; implicit-def: $sgpr4
	s_cbranch_vccz .LBB62_41
; %bb.38:                               ;   in Loop: Header=BB62_37 Depth=3
	s_mov_b32 s66, -1
	s_and_not1_b32 vcc_lo, exec_lo, s69
	s_mov_b32 s49, s65
	s_mov_b32 s4, s31
	s_cbranch_vccnz .LBB62_40
; %bb.39:                               ;   in Loop: Header=BB62_37 Depth=3
	s_min_i32 s49, s67, s65
	s_mov_b32 s66, 0
	s_mov_b32 s4, s48
.LBB62_40:                              ;   in Loop: Header=BB62_37 Depth=3
	s_mov_b32 s68, 0
.LBB62_41:                              ;   in Loop: Header=BB62_37 Depth=3
	s_delay_alu instid0(SALU_CYCLE_1)
	s_and_not1_b32 vcc_lo, exec_lo, s68
	s_cbranch_vccnz .LBB62_87
; %bb.42:                               ;   in Loop: Header=BB62_37 Depth=3
	s_sub_i32 s4, s67, s28
	s_delay_alu instid0(SALU_CYCLE_1)
	v_mov_b32_e32 v5, s4
	v_lshl_or_b32 v34, s4, 10, v16
	ds_store_b8 v5, v24 offset:16384
	s_and_saveexec_b32 s49, s55
	s_cbranch_execnz .LBB62_46
; %bb.43:                               ;   in Loop: Header=BB62_37 Depth=3
	s_or_b32 exec_lo, exec_lo, s49
	s_and_saveexec_b32 s4, s56
	s_cbranch_execnz .LBB62_56
.LBB62_44:                              ;   in Loop: Header=BB62_37 Depth=3
	s_or_b32 exec_lo, exec_lo, s4
	s_and_saveexec_b32 s4, s57
	s_cbranch_execnz .LBB62_66
.LBB62_45:                              ;   in Loop: Header=BB62_37 Depth=3
	s_or_b32 exec_lo, exec_lo, s4
	s_and_saveexec_b32 s49, s58
	s_cbranch_execnz .LBB62_76
	s_branch .LBB62_86
.LBB62_46:                              ;   in Loop: Header=BB62_37 Depth=3
	v_cmp_ne_u32_e64 s4, 1, v23
	s_and_not1_b32 vcc_lo, exec_lo, s44
	s_cbranch_vccnz .LBB62_51
; %bb.47:                               ;   in Loop: Header=BB62_37 Depth=3
	v_dual_mov_b32 v35, 0 :: v_dual_mov_b32 v36, 0
	s_delay_alu instid0(VALU_DEP_2)
	s_and_b32 vcc_lo, exec_lo, s4
	s_mov_b32 s4, 0
	s_cbranch_vccnz .LBB62_50
; %bb.48:                               ;   in Loop: Header=BB62_37 Depth=3
	v_dual_mov_b32 v35, 0 :: v_dual_mov_b32 v10, v25
	v_mov_b32_e32 v36, 0
	s_mov_b32 s66, 0
	.p2align	6
.LBB62_49:                              ;   Parent Loop BB62_22 Depth=1
                                        ;     Parent Loop BB62_32 Depth=2
                                        ;       Parent Loop BB62_37 Depth=3
                                        ; =>      This Inner Loop Header: Depth=4
	s_delay_alu instid0(VALU_DEP_2) | instskip(SKIP_2) | instid1(SALU_CYCLE_1)
	v_ashrrev_i32_e32 v11, 31, v10
	v_add_nc_u32_e32 v5, s66, v26
	s_add_i32 s66, s66, 1
	s_cmp_lg_u32 s46, s66
	s_delay_alu instid0(VALU_DEP_2) | instskip(NEXT) | instid1(VALU_DEP_2)
	v_lshlrev_b64 v[37:38], 3, v[10:11]
	v_lshlrev_b64 v[39:40], 3, v[5:6]
	v_add_nc_u32_e32 v10, s46, v10
	s_delay_alu instid0(VALU_DEP_3) | instskip(NEXT) | instid1(VALU_DEP_4)
	v_add_co_u32 v37, vcc_lo, s40, v37
	v_add_co_ci_u32_e32 v38, vcc_lo, s41, v38, vcc_lo
	s_delay_alu instid0(VALU_DEP_4)
	v_add_co_u32 v39, vcc_lo, s26, v39
	v_add_co_ci_u32_e32 v40, vcc_lo, s27, v40, vcc_lo
	global_load_b64 v[37:38], v[37:38], off
	global_load_b64 v[39:40], v[39:40], off
	s_waitcnt vmcnt(0)
	v_fmac_f32_e32 v36, v38, v39
	v_fmac_f32_e32 v35, v37, v39
	s_delay_alu instid0(VALU_DEP_2) | instskip(NEXT) | instid1(VALU_DEP_2)
	v_fmac_f32_e32 v36, v37, v40
	v_fma_f32 v35, -v38, v40, v35
	s_cbranch_scc1 .LBB62_49
.LBB62_50:                              ;   in Loop: Header=BB62_37 Depth=3
	s_and_not1_b32 vcc_lo, exec_lo, s4
	s_cbranch_vccz .LBB62_52
	s_branch .LBB62_55
.LBB62_51:                              ;   in Loop: Header=BB62_37 Depth=3
                                        ; implicit-def: $vgpr35
                                        ; implicit-def: $vgpr36
.LBB62_52:                              ;   in Loop: Header=BB62_37 Depth=3
	v_dual_mov_b32 v35, 0 :: v_dual_mov_b32 v36, 0
	s_and_not1_b32 vcc_lo, exec_lo, s54
	s_cbranch_vccnz .LBB62_55
; %bb.53:                               ;   in Loop: Header=BB62_37 Depth=3
	v_dual_mov_b32 v11, v9 :: v_dual_mov_b32 v36, 0
	v_dual_mov_b32 v35, 0 :: v_dual_mov_b32 v10, v8
	v_mov_b32_e32 v5, v27
	s_mov_b32 s4, s46
	.p2align	6
.LBB62_54:                              ;   Parent Loop BB62_22 Depth=1
                                        ;     Parent Loop BB62_32 Depth=2
                                        ;       Parent Loop BB62_37 Depth=3
                                        ; =>      This Inner Loop Header: Depth=4
	s_delay_alu instid0(VALU_DEP_1) | instskip(SKIP_1) | instid1(SALU_CYCLE_1)
	v_lshlrev_b64 v[37:38], 3, v[5:6]
	s_add_i32 s4, s4, -1
	s_cmp_eq_u32 s4, 0
	s_delay_alu instid0(VALU_DEP_1) | instskip(NEXT) | instid1(VALU_DEP_2)
	v_add_co_u32 v37, vcc_lo, s26, v37
	v_add_co_ci_u32_e32 v38, vcc_lo, s27, v38, vcc_lo
	global_load_b64 v[39:40], v[10:11], off offset:-4
	global_load_b64 v[37:38], v[37:38], off
	v_add_co_u32 v10, vcc_lo, v10, 8
	v_add_co_ci_u32_e32 v11, vcc_lo, 0, v11, vcc_lo
	s_waitcnt vmcnt(0)
	v_fmac_f32_e32 v35, v39, v37
	v_fmac_f32_e32 v36, v40, v37
	v_add_nc_u32_e32 v5, s46, v5
	s_delay_alu instid0(VALU_DEP_3) | instskip(NEXT) | instid1(VALU_DEP_3)
	v_fma_f32 v35, -v40, v38, v35
	v_fmac_f32_e32 v36, v39, v38
	s_cbranch_scc0 .LBB62_54
.LBB62_55:                              ;   in Loop: Header=BB62_37 Depth=3
	v_or_b32_e32 v5, v34, v12
	s_delay_alu instid0(VALU_DEP_1) | instskip(SKIP_4) | instid1(VALU_DEP_2)
	v_lshlrev_b32_e32 v5, 3, v5
	ds_load_b64 v[10:11], v5
	s_waitcnt lgkmcnt(0)
	v_fma_f32 v10, s33, v35, v10
	v_fmac_f32_e32 v11, s35, v35
	v_fma_f32 v10, -s35, v36, v10
	s_delay_alu instid0(VALU_DEP_2)
	v_fmac_f32_e32 v11, s33, v36
	ds_store_b64 v5, v[10:11]
	s_or_b32 exec_lo, exec_lo, s49
	s_and_saveexec_b32 s4, s56
	s_cbranch_execz .LBB62_44
.LBB62_56:                              ;   in Loop: Header=BB62_37 Depth=3
	s_and_not1_b32 vcc_lo, exec_lo, s44
	s_cbranch_vccnz .LBB62_61
; %bb.57:                               ;   in Loop: Header=BB62_37 Depth=3
	v_dual_mov_b32 v35, 0 :: v_dual_mov_b32 v36, 0
	s_and_not1_b32 vcc_lo, exec_lo, s54
	s_mov_b32 s49, 0
	s_cbranch_vccnz .LBB62_60
; %bb.58:                               ;   in Loop: Header=BB62_37 Depth=3
	v_dual_mov_b32 v35, 0 :: v_dual_mov_b32 v10, v25
	v_mov_b32_e32 v36, 0
	s_mov_b32 s66, 0
	.p2align	6
.LBB62_59:                              ;   Parent Loop BB62_22 Depth=1
                                        ;     Parent Loop BB62_32 Depth=2
                                        ;       Parent Loop BB62_37 Depth=3
                                        ; =>      This Inner Loop Header: Depth=4
	s_delay_alu instid0(VALU_DEP_2) | instskip(SKIP_2) | instid1(SALU_CYCLE_1)
	v_ashrrev_i32_e32 v11, 31, v10
	v_add_nc_u32_e32 v5, s66, v28
	s_add_i32 s66, s66, 1
	s_cmp_eq_u32 s46, s66
	s_delay_alu instid0(VALU_DEP_2) | instskip(NEXT) | instid1(VALU_DEP_2)
	v_lshlrev_b64 v[37:38], 3, v[10:11]
	v_lshlrev_b64 v[39:40], 3, v[5:6]
	v_add_nc_u32_e32 v10, s46, v10
	s_delay_alu instid0(VALU_DEP_3) | instskip(NEXT) | instid1(VALU_DEP_4)
	v_add_co_u32 v37, vcc_lo, s40, v37
	v_add_co_ci_u32_e32 v38, vcc_lo, s41, v38, vcc_lo
	s_delay_alu instid0(VALU_DEP_4)
	v_add_co_u32 v39, vcc_lo, s26, v39
	v_add_co_ci_u32_e32 v40, vcc_lo, s27, v40, vcc_lo
	global_load_b64 v[37:38], v[37:38], off
	global_load_b64 v[39:40], v[39:40], off
	s_waitcnt vmcnt(0)
	v_fmac_f32_e32 v36, v38, v39
	v_fmac_f32_e32 v35, v37, v39
	s_delay_alu instid0(VALU_DEP_2) | instskip(NEXT) | instid1(VALU_DEP_2)
	v_fmac_f32_e32 v36, v37, v40
	v_fma_f32 v35, -v38, v40, v35
	s_cbranch_scc0 .LBB62_59
.LBB62_60:                              ;   in Loop: Header=BB62_37 Depth=3
	s_and_not1_b32 vcc_lo, exec_lo, s49
	s_cbranch_vccz .LBB62_62
	s_branch .LBB62_65
.LBB62_61:                              ;   in Loop: Header=BB62_37 Depth=3
                                        ; implicit-def: $vgpr35
                                        ; implicit-def: $vgpr36
.LBB62_62:                              ;   in Loop: Header=BB62_37 Depth=3
	v_dual_mov_b32 v35, 0 :: v_dual_mov_b32 v36, 0
	s_and_not1_b32 vcc_lo, exec_lo, s54
	s_cbranch_vccnz .LBB62_65
; %bb.63:                               ;   in Loop: Header=BB62_37 Depth=3
	v_dual_mov_b32 v11, v9 :: v_dual_mov_b32 v36, 0
	v_dual_mov_b32 v35, 0 :: v_dual_mov_b32 v10, v8
	v_mov_b32_e32 v5, v31
	s_mov_b32 s49, s46
	.p2align	6
.LBB62_64:                              ;   Parent Loop BB62_22 Depth=1
                                        ;     Parent Loop BB62_32 Depth=2
                                        ;       Parent Loop BB62_37 Depth=3
                                        ; =>      This Inner Loop Header: Depth=4
	s_delay_alu instid0(VALU_DEP_1) | instskip(SKIP_1) | instid1(SALU_CYCLE_1)
	v_lshlrev_b64 v[37:38], 3, v[5:6]
	s_add_i32 s49, s49, -1
	s_cmp_eq_u32 s49, 0
	s_delay_alu instid0(VALU_DEP_1) | instskip(NEXT) | instid1(VALU_DEP_2)
	v_add_co_u32 v37, vcc_lo, s26, v37
	v_add_co_ci_u32_e32 v38, vcc_lo, s27, v38, vcc_lo
	global_load_b64 v[39:40], v[10:11], off offset:-4
	global_load_b64 v[37:38], v[37:38], off
	v_add_co_u32 v10, vcc_lo, v10, 8
	v_add_co_ci_u32_e32 v11, vcc_lo, 0, v11, vcc_lo
	s_waitcnt vmcnt(0)
	v_fmac_f32_e32 v35, v39, v37
	v_fmac_f32_e32 v36, v40, v37
	v_add_nc_u32_e32 v5, s46, v5
	s_delay_alu instid0(VALU_DEP_3) | instskip(NEXT) | instid1(VALU_DEP_3)
	v_fma_f32 v35, -v40, v38, v35
	v_fmac_f32_e32 v36, v39, v38
	s_cbranch_scc0 .LBB62_64
.LBB62_65:                              ;   in Loop: Header=BB62_37 Depth=3
	v_add_lshl_u32 v5, v34, v12, 3
	ds_load_b64 v[10:11], v5 offset:64
	s_waitcnt lgkmcnt(0)
	v_fma_f32 v10, s33, v35, v10
	v_fmac_f32_e32 v11, s35, v35
	s_delay_alu instid0(VALU_DEP_2) | instskip(NEXT) | instid1(VALU_DEP_2)
	v_fma_f32 v10, -s35, v36, v10
	v_fmac_f32_e32 v11, s33, v36
	ds_store_b64 v5, v[10:11] offset:64
	s_or_b32 exec_lo, exec_lo, s4
	s_and_saveexec_b32 s4, s57
	s_cbranch_execz .LBB62_45
.LBB62_66:                              ;   in Loop: Header=BB62_37 Depth=3
	s_and_not1_b32 vcc_lo, exec_lo, s44
	s_cbranch_vccnz .LBB62_71
; %bb.67:                               ;   in Loop: Header=BB62_37 Depth=3
	v_dual_mov_b32 v35, 0 :: v_dual_mov_b32 v36, 0
	s_and_not1_b32 vcc_lo, exec_lo, s54
	s_mov_b32 s49, 0
	s_cbranch_vccnz .LBB62_70
; %bb.68:                               ;   in Loop: Header=BB62_37 Depth=3
	v_dual_mov_b32 v35, 0 :: v_dual_mov_b32 v10, v25
	v_mov_b32_e32 v36, 0
	s_mov_b32 s66, 0
	.p2align	6
.LBB62_69:                              ;   Parent Loop BB62_22 Depth=1
                                        ;     Parent Loop BB62_32 Depth=2
                                        ;       Parent Loop BB62_37 Depth=3
                                        ; =>      This Inner Loop Header: Depth=4
	s_delay_alu instid0(VALU_DEP_2) | instskip(SKIP_2) | instid1(SALU_CYCLE_1)
	v_ashrrev_i32_e32 v11, 31, v10
	v_add_nc_u32_e32 v5, s66, v29
	s_add_i32 s66, s66, 1
	s_cmp_eq_u32 s46, s66
	s_delay_alu instid0(VALU_DEP_2) | instskip(NEXT) | instid1(VALU_DEP_2)
	v_lshlrev_b64 v[37:38], 3, v[10:11]
	v_lshlrev_b64 v[39:40], 3, v[5:6]
	v_add_nc_u32_e32 v10, s46, v10
	s_delay_alu instid0(VALU_DEP_3) | instskip(NEXT) | instid1(VALU_DEP_4)
	v_add_co_u32 v37, vcc_lo, s40, v37
	v_add_co_ci_u32_e32 v38, vcc_lo, s41, v38, vcc_lo
	s_delay_alu instid0(VALU_DEP_4)
	v_add_co_u32 v39, vcc_lo, s26, v39
	v_add_co_ci_u32_e32 v40, vcc_lo, s27, v40, vcc_lo
	global_load_b64 v[37:38], v[37:38], off
	global_load_b64 v[39:40], v[39:40], off
	s_waitcnt vmcnt(0)
	v_fmac_f32_e32 v36, v38, v39
	v_fmac_f32_e32 v35, v37, v39
	s_delay_alu instid0(VALU_DEP_2) | instskip(NEXT) | instid1(VALU_DEP_2)
	v_fmac_f32_e32 v36, v37, v40
	v_fma_f32 v35, -v38, v40, v35
	s_cbranch_scc0 .LBB62_69
.LBB62_70:                              ;   in Loop: Header=BB62_37 Depth=3
	s_and_not1_b32 vcc_lo, exec_lo, s49
	s_cbranch_vccz .LBB62_72
	s_branch .LBB62_75
.LBB62_71:                              ;   in Loop: Header=BB62_37 Depth=3
                                        ; implicit-def: $vgpr35
                                        ; implicit-def: $vgpr36
.LBB62_72:                              ;   in Loop: Header=BB62_37 Depth=3
	v_dual_mov_b32 v35, 0 :: v_dual_mov_b32 v36, 0
	s_and_not1_b32 vcc_lo, exec_lo, s54
	s_cbranch_vccnz .LBB62_75
; %bb.73:                               ;   in Loop: Header=BB62_37 Depth=3
	v_dual_mov_b32 v11, v9 :: v_dual_mov_b32 v36, 0
	v_dual_mov_b32 v35, 0 :: v_dual_mov_b32 v10, v8
	v_mov_b32_e32 v5, v32
	s_mov_b32 s49, s46
	.p2align	6
.LBB62_74:                              ;   Parent Loop BB62_22 Depth=1
                                        ;     Parent Loop BB62_32 Depth=2
                                        ;       Parent Loop BB62_37 Depth=3
                                        ; =>      This Inner Loop Header: Depth=4
	s_delay_alu instid0(VALU_DEP_1) | instskip(SKIP_1) | instid1(SALU_CYCLE_1)
	v_lshlrev_b64 v[37:38], 3, v[5:6]
	s_add_i32 s49, s49, -1
	s_cmp_eq_u32 s49, 0
	s_delay_alu instid0(VALU_DEP_1) | instskip(NEXT) | instid1(VALU_DEP_2)
	v_add_co_u32 v37, vcc_lo, s26, v37
	v_add_co_ci_u32_e32 v38, vcc_lo, s27, v38, vcc_lo
	global_load_b64 v[39:40], v[10:11], off offset:-4
	global_load_b64 v[37:38], v[37:38], off
	v_add_co_u32 v10, vcc_lo, v10, 8
	v_add_co_ci_u32_e32 v11, vcc_lo, 0, v11, vcc_lo
	s_waitcnt vmcnt(0)
	v_fmac_f32_e32 v35, v39, v37
	v_fmac_f32_e32 v36, v40, v37
	v_add_nc_u32_e32 v5, s46, v5
	s_delay_alu instid0(VALU_DEP_3) | instskip(NEXT) | instid1(VALU_DEP_3)
	v_fma_f32 v35, -v40, v38, v35
	v_fmac_f32_e32 v36, v39, v38
	s_cbranch_scc0 .LBB62_74
.LBB62_75:                              ;   in Loop: Header=BB62_37 Depth=3
	v_add_lshl_u32 v5, v34, v12, 3
	ds_load_b64 v[10:11], v5 offset:128
	s_waitcnt lgkmcnt(0)
	v_fma_f32 v10, s33, v35, v10
	v_fmac_f32_e32 v11, s35, v35
	s_delay_alu instid0(VALU_DEP_2) | instskip(NEXT) | instid1(VALU_DEP_2)
	v_fma_f32 v10, -s35, v36, v10
	v_fmac_f32_e32 v11, s33, v36
	ds_store_b64 v5, v[10:11] offset:128
	s_or_b32 exec_lo, exec_lo, s4
	s_and_saveexec_b32 s49, s58
	s_cbranch_execz .LBB62_86
.LBB62_76:                              ;   in Loop: Header=BB62_37 Depth=3
	v_cmp_ne_u32_e64 s4, 1, v23
	s_and_not1_b32 vcc_lo, exec_lo, s44
	s_cbranch_vccnz .LBB62_81
; %bb.77:                               ;   in Loop: Header=BB62_37 Depth=3
	v_dual_mov_b32 v35, 0 :: v_dual_mov_b32 v36, 0
	s_delay_alu instid0(VALU_DEP_2)
	s_and_b32 vcc_lo, exec_lo, s4
	s_mov_b32 s4, 0
	s_cbranch_vccnz .LBB62_80
; %bb.78:                               ;   in Loop: Header=BB62_37 Depth=3
	v_dual_mov_b32 v35, 0 :: v_dual_mov_b32 v10, v25
	v_mov_b32_e32 v36, 0
	s_mov_b32 s66, 0
	.p2align	6
.LBB62_79:                              ;   Parent Loop BB62_22 Depth=1
                                        ;     Parent Loop BB62_32 Depth=2
                                        ;       Parent Loop BB62_37 Depth=3
                                        ; =>      This Inner Loop Header: Depth=4
	s_delay_alu instid0(VALU_DEP_2) | instskip(SKIP_2) | instid1(SALU_CYCLE_1)
	v_ashrrev_i32_e32 v11, 31, v10
	v_add_nc_u32_e32 v5, s66, v30
	s_add_i32 s66, s66, 1
	s_cmp_eq_u32 s46, s66
	s_delay_alu instid0(VALU_DEP_2) | instskip(NEXT) | instid1(VALU_DEP_2)
	v_lshlrev_b64 v[37:38], 3, v[10:11]
	v_lshlrev_b64 v[39:40], 3, v[5:6]
	v_add_nc_u32_e32 v10, s46, v10
	s_delay_alu instid0(VALU_DEP_3) | instskip(NEXT) | instid1(VALU_DEP_4)
	v_add_co_u32 v37, vcc_lo, s40, v37
	v_add_co_ci_u32_e32 v38, vcc_lo, s41, v38, vcc_lo
	s_delay_alu instid0(VALU_DEP_4)
	v_add_co_u32 v39, vcc_lo, s26, v39
	v_add_co_ci_u32_e32 v40, vcc_lo, s27, v40, vcc_lo
	global_load_b64 v[37:38], v[37:38], off
	global_load_b64 v[39:40], v[39:40], off
	s_waitcnt vmcnt(0)
	v_fmac_f32_e32 v36, v38, v39
	v_fmac_f32_e32 v35, v37, v39
	s_delay_alu instid0(VALU_DEP_2) | instskip(NEXT) | instid1(VALU_DEP_2)
	v_fmac_f32_e32 v36, v37, v40
	v_fma_f32 v35, -v38, v40, v35
	s_cbranch_scc0 .LBB62_79
.LBB62_80:                              ;   in Loop: Header=BB62_37 Depth=3
	s_and_not1_b32 vcc_lo, exec_lo, s4
	s_cbranch_vccz .LBB62_82
	s_branch .LBB62_85
.LBB62_81:                              ;   in Loop: Header=BB62_37 Depth=3
                                        ; implicit-def: $vgpr35
                                        ; implicit-def: $vgpr36
.LBB62_82:                              ;   in Loop: Header=BB62_37 Depth=3
	v_dual_mov_b32 v35, 0 :: v_dual_mov_b32 v36, 0
	s_and_not1_b32 vcc_lo, exec_lo, s54
	s_cbranch_vccnz .LBB62_85
; %bb.83:                               ;   in Loop: Header=BB62_37 Depth=3
	v_dual_mov_b32 v11, v9 :: v_dual_mov_b32 v36, 0
	v_dual_mov_b32 v35, 0 :: v_dual_mov_b32 v10, v8
	v_mov_b32_e32 v5, v33
	s_mov_b32 s4, s46
	.p2align	6
.LBB62_84:                              ;   Parent Loop BB62_22 Depth=1
                                        ;     Parent Loop BB62_32 Depth=2
                                        ;       Parent Loop BB62_37 Depth=3
                                        ; =>      This Inner Loop Header: Depth=4
	s_delay_alu instid0(VALU_DEP_1) | instskip(SKIP_1) | instid1(SALU_CYCLE_1)
	v_lshlrev_b64 v[37:38], 3, v[5:6]
	s_add_i32 s4, s4, -1
	s_cmp_eq_u32 s4, 0
	s_delay_alu instid0(VALU_DEP_1) | instskip(NEXT) | instid1(VALU_DEP_2)
	v_add_co_u32 v37, vcc_lo, s26, v37
	v_add_co_ci_u32_e32 v38, vcc_lo, s27, v38, vcc_lo
	global_load_b64 v[39:40], v[10:11], off offset:-4
	global_load_b64 v[37:38], v[37:38], off
	v_add_co_u32 v10, vcc_lo, v10, 8
	v_add_co_ci_u32_e32 v11, vcc_lo, 0, v11, vcc_lo
	s_waitcnt vmcnt(0)
	v_fmac_f32_e32 v35, v39, v37
	v_fmac_f32_e32 v36, v40, v37
	v_add_nc_u32_e32 v5, s46, v5
	s_delay_alu instid0(VALU_DEP_3) | instskip(NEXT) | instid1(VALU_DEP_3)
	v_fma_f32 v35, -v40, v38, v35
	v_fmac_f32_e32 v36, v39, v38
	s_cbranch_scc0 .LBB62_84
.LBB62_85:                              ;   in Loop: Header=BB62_37 Depth=3
	v_add_lshl_u32 v5, v34, v12, 3
	ds_load_b64 v[10:11], v5 offset:192
	s_waitcnt lgkmcnt(0)
	v_fma_f32 v10, s33, v35, v10
	v_fmac_f32_e32 v11, s35, v35
	s_delay_alu instid0(VALU_DEP_2) | instskip(NEXT) | instid1(VALU_DEP_2)
	v_fma_f32 v10, -s35, v36, v10
	v_fmac_f32_e32 v11, s33, v36
	ds_store_b64 v5, v[10:11] offset:192
.LBB62_86:                              ;   in Loop: Header=BB62_37 Depth=3
	s_or_b32 exec_lo, exec_lo, s49
	s_mov_b32 s66, -1
	s_mov_b32 s49, s65
	s_mov_b32 s4, s31
	s_waitcnt lgkmcnt(0)
	s_waitcnt_vscnt null, 0x0
	s_barrier
	buffer_gl0_inv
.LBB62_87:                              ;   in Loop: Header=BB62_37 Depth=3
	s_add_i32 s48, s48, 1
	v_add_nc_u32_e32 v26, s47, v26
	s_cmp_lt_i32 s48, s5
	v_add_nc_u32_e32 v27, s47, v27
	s_cselect_b32 s31, -1, 0
	v_add_nc_u32_e32 v28, s47, v28
	v_add_nc_u32_e32 v31, s47, v31
	;; [unrolled: 1-line block ×6, first 2 shown]
	s_and_b32 s31, s66, s31
	s_delay_alu instid0(SALU_CYCLE_1)
	s_and_b32 vcc_lo, exec_lo, s31
	s_cbranch_vccz .LBB62_90
; %bb.88:                               ;   in Loop: Header=BB62_37 Depth=3
	s_mov_b32 s65, s49
	s_mov_b32 s31, s4
	s_branch .LBB62_37
.LBB62_89:                              ;   in Loop: Header=BB62_32 Depth=2
	s_mov_b32 s49, s65
	s_mov_b32 s4, s31
.LBB62_90:                              ;   in Loop: Header=BB62_32 Depth=2
	s_add_u32 s36, s10, s36
	v_mov_b32_e32 v5, s4
	v_add_nc_u32_e32 v25, s47, v25
	v_add_nc_u32_e32 v7, s47, v7
	s_addc_u32 s37, s11, s37
	s_add_i32 s30, s30, 1
	global_store_b32 v6, v5, s[36:37]
	s_cmp_lt_i32 s30, s52
	s_cbranch_scc0 .LBB62_93
; %bb.91:                               ;   in Loop: Header=BB62_32 Depth=2
	s_mov_b32 s65, s49
	s_branch .LBB62_32
.LBB62_92:                              ;   in Loop: Header=BB62_32 Depth=2
                                        ; implicit-def: $sgpr31
	s_branch .LBB62_34
.LBB62_93:                              ;   in Loop: Header=BB62_22 Depth=1
	s_and_not1_b32 vcc_lo, exec_lo, s34
	s_cbranch_vccnz .LBB62_125
; %bb.94:                               ;   in Loop: Header=BB62_22 Depth=1
	s_load_b64 s[30:31], s[20:21], 0x0
	s_waitcnt lgkmcnt(0)
	s_cmp_ge_i32 s30, s31
	s_cbranch_scc1 .LBB62_125
; %bb.95:                               ;   in Loop: Header=BB62_22 Depth=1
	s_sub_i32 s4, s30, s15
	s_sub_i32 s36, s31, s15
	s_mul_i32 s5, s46, s4
	v_mov_b32_e32 v11, v1
	v_add_nc_u32_e32 v5, s5, v12
	v_add_nc_u32_e32 v8, s5, v13
	;; [unrolled: 1-line block ×4, first 2 shown]
	s_ashr_i32 s5, s4, 31
	v_mul_lo_u32 v7, s46, v5
	v_mul_lo_u32 v8, s46, v8
	;; [unrolled: 1-line block ×4, first 2 shown]
	s_lshl_b64 s[64:65], s[4:5], 2
	s_add_i32 s5, s63, s30
	s_add_u32 s30, s16, s64
	s_addc_u32 s31, s17, s65
	s_branch .LBB62_99
.LBB62_96:                              ;   in Loop: Header=BB62_99 Depth=2
	s_delay_alu instid0(VALU_DEP_1)
	v_lshlrev_b64 v[26:27], 3, v[5:6]
	v_add_lshl_u32 v5, v25, v12, 3
	ds_load_b64 v[28:29], v5 offset:192
	v_add_co_u32 v26, vcc_lo, s18, v26
	v_add_co_ci_u32_e32 v27, vcc_lo, s19, v27, vcc_lo
	global_load_b64 v[26:27], v[26:27], off
	s_waitcnt vmcnt(0) lgkmcnt(0)
	v_fma_f32 v25, s50, v26, v28
	v_fmac_f32_e32 v29, s51, v26
	s_delay_alu instid0(VALU_DEP_2) | instskip(NEXT) | instid1(VALU_DEP_2)
	v_fma_f32 v28, -s51, v27, v25
	v_fmac_f32_e32 v29, s50, v27
	ds_store_b64 v5, v[28:29] offset:192
.LBB62_97:                              ;   in Loop: Header=BB62_99 Depth=2
	s_or_b32 exec_lo, exec_lo, s37
	s_mov_b32 s48, -1
	s_mov_b32 s37, s49
	s_waitcnt lgkmcnt(0)
	s_waitcnt_vscnt null, 0x0
	s_barrier
	buffer_gl0_inv
.LBB62_98:                              ;   in Loop: Header=BB62_99 Depth=2
	s_add_i32 s4, s4, 1
	s_cmp_lt_i32 s5, s36
	v_add_nc_u32_e32 v11, s47, v11
	s_cselect_b32 s49, -1, 0
	s_add_i32 s5, s5, 1
	s_and_b32 s48, s48, s49
	s_add_u32 s30, s30, 4
	s_addc_u32 s31, s31, 0
	s_mov_b32 s49, s37
	s_and_b32 vcc_lo, exec_lo, s48
	s_cbranch_vccz .LBB62_125
.LBB62_99:                              ;   Parent Loop BB62_22 Depth=1
                                        ; =>  This Inner Loop Header: Depth=2
	s_load_b32 s37, s[30:31], 0x0
	s_waitcnt lgkmcnt(0)
	s_sub_i32 s64, s37, s15
	s_delay_alu instid0(SALU_CYCLE_1)
	s_cmp_lt_i32 s64, s28
	s_cselect_b32 s37, -1, 0
	s_cmp_lt_i32 s64, s7
	s_cselect_b32 s48, -1, 0
	s_cmp_ge_i32 s64, s7
	s_cselect_b32 s65, -1, 0
	s_delay_alu instid0(SALU_CYCLE_1)
	s_or_b32 s37, s37, s65
	s_mov_b32 s65, -1
	s_and_b32 vcc_lo, exec_lo, s37
                                        ; implicit-def: $sgpr37
	s_cbranch_vccz .LBB62_101
; %bb.100:                              ;   in Loop: Header=BB62_99 Depth=2
	s_min_i32 s37, s64, s49
	s_and_b32 s65, s48, exec_lo
	s_cselect_b32 s37, s49, s37
	s_mov_b32 s65, 0
.LBB62_101:                             ;   in Loop: Header=BB62_99 Depth=2
	s_delay_alu instid0(SALU_CYCLE_1)
	s_and_not1_b32 vcc_lo, exec_lo, s65
	s_cbranch_vccnz .LBB62_98
; %bb.102:                              ;   in Loop: Header=BB62_99 Depth=2
	v_mad_u64_u32 v[25:26], null, s4, s46, v[1:2]
	s_sub_i32 s37, s64, s28
	s_delay_alu instid0(SALU_CYCLE_1) | instskip(NEXT) | instid1(VALU_DEP_2)
	v_mov_b32_e32 v5, s37
	v_mul_lo_u32 v26, v25, s46
	v_lshl_or_b32 v25, s37, 10, v16
	ds_store_b8 v5, v24 offset:16384
	s_and_saveexec_b32 s37, s55
	s_cbranch_execnz .LBB62_106
; %bb.103:                              ;   in Loop: Header=BB62_99 Depth=2
	s_or_b32 exec_lo, exec_lo, s37
	s_and_saveexec_b32 s37, s56
	s_cbranch_execnz .LBB62_110
.LBB62_104:                             ;   in Loop: Header=BB62_99 Depth=2
	s_or_b32 exec_lo, exec_lo, s37
	s_and_saveexec_b32 s37, s57
	s_cbranch_execnz .LBB62_114
.LBB62_105:                             ;   in Loop: Header=BB62_99 Depth=2
	s_or_b32 exec_lo, exec_lo, s37
	s_and_saveexec_b32 s37, s58
	s_cbranch_execz .LBB62_97
	s_branch .LBB62_118
.LBB62_106:                             ;   in Loop: Header=BB62_99 Depth=2
	s_and_b32 vcc_lo, exec_lo, s44
	s_cbranch_vccz .LBB62_120
; %bb.107:                              ;   in Loop: Header=BB62_99 Depth=2
	v_add_nc_u32_e32 v5, v7, v11
	s_cbranch_execnz .LBB62_109
.LBB62_108:                             ;   in Loop: Header=BB62_99 Depth=2
	v_add_nc_u32_e32 v5, v26, v12
.LBB62_109:                             ;   in Loop: Header=BB62_99 Depth=2
	s_delay_alu instid0(VALU_DEP_1) | instskip(SKIP_1) | instid1(VALU_DEP_2)
	v_lshlrev_b64 v[27:28], 3, v[5:6]
	v_or_b32_e32 v5, v25, v12
	v_add_co_u32 v27, vcc_lo, s18, v27
	s_delay_alu instid0(VALU_DEP_3)
	v_add_co_ci_u32_e32 v28, vcc_lo, s19, v28, vcc_lo
	global_load_b64 v[27:28], v[27:28], off
	v_lshlrev_b32_e32 v5, 3, v5
	ds_load_b64 v[29:30], v5
	s_waitcnt vmcnt(0) lgkmcnt(0)
	v_fmac_f32_e32 v30, s51, v27
	v_fma_f32 v29, s50, v27, v29
	s_delay_alu instid0(VALU_DEP_2) | instskip(NEXT) | instid1(VALU_DEP_2)
	v_fmac_f32_e32 v30, s50, v28
	v_fma_f32 v29, -s51, v28, v29
	ds_store_b64 v5, v[29:30]
	s_or_b32 exec_lo, exec_lo, s37
	s_and_saveexec_b32 s37, s56
	s_cbranch_execz .LBB62_104
.LBB62_110:                             ;   in Loop: Header=BB62_99 Depth=2
	s_and_not1_b32 vcc_lo, exec_lo, s44
	s_cbranch_vccnz .LBB62_121
; %bb.111:                              ;   in Loop: Header=BB62_99 Depth=2
	v_add_nc_u32_e32 v5, v8, v11
	s_cbranch_execnz .LBB62_113
.LBB62_112:                             ;   in Loop: Header=BB62_99 Depth=2
	v_add_nc_u32_e32 v5, v26, v13
.LBB62_113:                             ;   in Loop: Header=BB62_99 Depth=2
	s_delay_alu instid0(VALU_DEP_1)
	v_lshlrev_b64 v[27:28], 3, v[5:6]
	v_add_lshl_u32 v5, v25, v12, 3
	ds_load_b64 v[29:30], v5 offset:64
	v_add_co_u32 v27, vcc_lo, s18, v27
	v_add_co_ci_u32_e32 v28, vcc_lo, s19, v28, vcc_lo
	global_load_b64 v[27:28], v[27:28], off
	s_waitcnt vmcnt(0) lgkmcnt(0)
	v_fma_f32 v29, s50, v27, v29
	v_fmac_f32_e32 v30, s51, v27
	s_delay_alu instid0(VALU_DEP_2) | instskip(NEXT) | instid1(VALU_DEP_2)
	v_fma_f32 v29, -s51, v28, v29
	v_fmac_f32_e32 v30, s50, v28
	ds_store_b64 v5, v[29:30] offset:64
	s_or_b32 exec_lo, exec_lo, s37
	s_and_saveexec_b32 s37, s57
	s_cbranch_execz .LBB62_105
.LBB62_114:                             ;   in Loop: Header=BB62_99 Depth=2
	s_and_not1_b32 vcc_lo, exec_lo, s44
	s_cbranch_vccnz .LBB62_122
; %bb.115:                              ;   in Loop: Header=BB62_99 Depth=2
	v_add_nc_u32_e32 v5, v9, v11
	s_cbranch_execnz .LBB62_117
.LBB62_116:                             ;   in Loop: Header=BB62_99 Depth=2
	v_add_nc_u32_e32 v5, v26, v14
.LBB62_117:                             ;   in Loop: Header=BB62_99 Depth=2
	s_delay_alu instid0(VALU_DEP_1)
	v_lshlrev_b64 v[27:28], 3, v[5:6]
	v_add_lshl_u32 v5, v25, v12, 3
	ds_load_b64 v[29:30], v5 offset:128
	v_add_co_u32 v27, vcc_lo, s18, v27
	v_add_co_ci_u32_e32 v28, vcc_lo, s19, v28, vcc_lo
	global_load_b64 v[27:28], v[27:28], off
	s_waitcnt vmcnt(0) lgkmcnt(0)
	v_fma_f32 v29, s50, v27, v29
	v_fmac_f32_e32 v30, s51, v27
	s_delay_alu instid0(VALU_DEP_2) | instskip(NEXT) | instid1(VALU_DEP_2)
	v_fma_f32 v29, -s51, v28, v29
	v_fmac_f32_e32 v30, s50, v28
	ds_store_b64 v5, v[29:30] offset:128
	s_or_b32 exec_lo, exec_lo, s37
	s_and_saveexec_b32 s37, s58
	s_cbranch_execz .LBB62_97
.LBB62_118:                             ;   in Loop: Header=BB62_99 Depth=2
	s_and_not1_b32 vcc_lo, exec_lo, s44
	s_cbranch_vccnz .LBB62_123
; %bb.119:                              ;   in Loop: Header=BB62_99 Depth=2
	v_add_nc_u32_e32 v5, v10, v11
	s_cbranch_execnz .LBB62_96
	s_branch .LBB62_124
.LBB62_120:                             ;   in Loop: Header=BB62_99 Depth=2
	s_branch .LBB62_108
.LBB62_121:                             ;   in Loop: Header=BB62_99 Depth=2
	s_branch .LBB62_112
.LBB62_122:                             ;   in Loop: Header=BB62_99 Depth=2
	s_branch .LBB62_116
.LBB62_123:                             ;   in Loop: Header=BB62_99 Depth=2
.LBB62_124:                             ;   in Loop: Header=BB62_99 Depth=2
	v_add_nc_u32_e32 v5, v26, v15
	s_branch .LBB62_96
.LBB62_125:                             ;   in Loop: Header=BB62_22 Depth=1
	s_waitcnt_vscnt null, 0x0
	s_barrier
	buffer_gl0_inv
	ds_load_u8 v5, v6 offset:16384
	s_add_i32 s5, s28, s14
	s_mov_b32 s4, 0
	s_waitcnt lgkmcnt(0)
	v_cmp_eq_u32_e32 vcc_lo, 0, v5
	s_cbranch_vccnz .LBB62_147
; %bb.126:                              ;   in Loop: Header=BB62_22 Depth=1
	s_mul_i32 s4, s6, s46
	s_ashr_i32 s7, s6, 31
	v_add_nc_u32_e32 v5, s4, v1
	s_lshl_b64 s[30:31], s[6:7], 2
	s_delay_alu instid0(SALU_CYCLE_1) | instskip(SKIP_1) | instid1(VALU_DEP_1)
	s_add_u32 s30, s22, s30
	s_addc_u32 s31, s23, s31
	v_mul_lo_u32 v7, v5, s46
	v_mov_b32_e32 v5, s5
	global_store_b32 v6, v5, s[30:31]
	s_and_saveexec_b32 s7, s55
	s_cbranch_execnz .LBB62_130
; %bb.127:                              ;   in Loop: Header=BB62_22 Depth=1
	s_or_b32 exec_lo, exec_lo, s7
	s_and_saveexec_b32 s7, s56
	s_cbranch_execnz .LBB62_134
.LBB62_128:                             ;   in Loop: Header=BB62_22 Depth=1
	s_or_b32 exec_lo, exec_lo, s7
	s_and_saveexec_b32 s7, s57
	s_cbranch_execnz .LBB62_138
.LBB62_129:                             ;   in Loop: Header=BB62_22 Depth=1
	s_or_b32 exec_lo, exec_lo, s7
	s_and_saveexec_b32 s7, s58
	s_cbranch_execnz .LBB62_142
	s_branch .LBB62_146
.LBB62_130:                             ;   in Loop: Header=BB62_22 Depth=1
	s_and_b32 vcc_lo, exec_lo, s44
	s_cbranch_vccz .LBB62_166
; %bb.131:                              ;   in Loop: Header=BB62_22 Depth=1
	v_add_nc_u32_e32 v5, s4, v12
	s_delay_alu instid0(VALU_DEP_1) | instskip(NEXT) | instid1(VALU_DEP_1)
	v_mad_u64_u32 v[8:9], null, v5, s46, v[1:2]
	v_mov_b32_e32 v5, v8
	s_cbranch_execnz .LBB62_133
.LBB62_132:                             ;   in Loop: Header=BB62_22 Depth=1
	v_add_nc_u32_e32 v5, v7, v12
.LBB62_133:                             ;   in Loop: Header=BB62_22 Depth=1
	ds_load_b64 v[8:9], v17
	v_lshlrev_b64 v[10:11], 3, v[5:6]
	s_delay_alu instid0(VALU_DEP_1) | instskip(NEXT) | instid1(VALU_DEP_2)
	v_add_co_u32 v10, vcc_lo, s8, v10
	v_add_co_ci_u32_e32 v11, vcc_lo, s9, v11, vcc_lo
	s_waitcnt lgkmcnt(0)
	global_store_b64 v[10:11], v[8:9], off
	s_or_b32 exec_lo, exec_lo, s7
	s_and_saveexec_b32 s7, s56
	s_cbranch_execz .LBB62_128
.LBB62_134:                             ;   in Loop: Header=BB62_22 Depth=1
	s_and_not1_b32 vcc_lo, exec_lo, s44
	s_cbranch_vccnz .LBB62_167
; %bb.135:                              ;   in Loop: Header=BB62_22 Depth=1
	v_add_nc_u32_e32 v5, s4, v13
	s_delay_alu instid0(VALU_DEP_1) | instskip(NEXT) | instid1(VALU_DEP_1)
	v_mad_u64_u32 v[8:9], null, v5, s46, v[1:2]
	v_mov_b32_e32 v5, v8
	s_cbranch_execnz .LBB62_137
.LBB62_136:                             ;   in Loop: Header=BB62_22 Depth=1
	v_add_nc_u32_e32 v5, v7, v13
.LBB62_137:                             ;   in Loop: Header=BB62_22 Depth=1
	ds_load_b64 v[8:9], v17 offset:64
	v_lshlrev_b64 v[10:11], 3, v[5:6]
	s_delay_alu instid0(VALU_DEP_1) | instskip(NEXT) | instid1(VALU_DEP_2)
	v_add_co_u32 v10, vcc_lo, s8, v10
	v_add_co_ci_u32_e32 v11, vcc_lo, s9, v11, vcc_lo
	s_waitcnt lgkmcnt(0)
	global_store_b64 v[10:11], v[8:9], off
	s_or_b32 exec_lo, exec_lo, s7
	s_and_saveexec_b32 s7, s57
	s_cbranch_execz .LBB62_129
.LBB62_138:                             ;   in Loop: Header=BB62_22 Depth=1
	s_and_not1_b32 vcc_lo, exec_lo, s44
	s_cbranch_vccnz .LBB62_168
; %bb.139:                              ;   in Loop: Header=BB62_22 Depth=1
	v_add_nc_u32_e32 v5, s4, v14
	s_delay_alu instid0(VALU_DEP_1) | instskip(NEXT) | instid1(VALU_DEP_1)
	v_mad_u64_u32 v[8:9], null, v5, s46, v[1:2]
	v_mov_b32_e32 v5, v8
	s_cbranch_execnz .LBB62_141
.LBB62_140:                             ;   in Loop: Header=BB62_22 Depth=1
	v_add_nc_u32_e32 v5, v7, v14
.LBB62_141:                             ;   in Loop: Header=BB62_22 Depth=1
	ds_load_b64 v[8:9], v17 offset:128
	v_lshlrev_b64 v[10:11], 3, v[5:6]
	s_delay_alu instid0(VALU_DEP_1) | instskip(NEXT) | instid1(VALU_DEP_2)
	v_add_co_u32 v10, vcc_lo, s8, v10
	v_add_co_ci_u32_e32 v11, vcc_lo, s9, v11, vcc_lo
	s_waitcnt lgkmcnt(0)
	global_store_b64 v[10:11], v[8:9], off
	s_or_b32 exec_lo, exec_lo, s7
	s_and_saveexec_b32 s7, s58
	s_cbranch_execz .LBB62_146
.LBB62_142:                             ;   in Loop: Header=BB62_22 Depth=1
	s_and_not1_b32 vcc_lo, exec_lo, s44
	s_cbranch_vccnz .LBB62_169
; %bb.143:                              ;   in Loop: Header=BB62_22 Depth=1
	v_add_nc_u32_e32 v5, s4, v15
	s_delay_alu instid0(VALU_DEP_1) | instskip(NEXT) | instid1(VALU_DEP_1)
	v_mad_u64_u32 v[8:9], null, v5, s46, v[1:2]
	v_mov_b32_e32 v5, v8
	s_cbranch_execnz .LBB62_145
.LBB62_144:                             ;   in Loop: Header=BB62_22 Depth=1
	v_add_nc_u32_e32 v5, v7, v15
.LBB62_145:                             ;   in Loop: Header=BB62_22 Depth=1
	ds_load_b64 v[7:8], v17 offset:192
	v_lshlrev_b64 v[9:10], 3, v[5:6]
	s_delay_alu instid0(VALU_DEP_1) | instskip(NEXT) | instid1(VALU_DEP_2)
	v_add_co_u32 v9, vcc_lo, s8, v9
	v_add_co_ci_u32_e32 v10, vcc_lo, s9, v10, vcc_lo
	s_waitcnt lgkmcnt(0)
	global_store_b64 v[9:10], v[7:8], off
.LBB62_146:                             ;   in Loop: Header=BB62_22 Depth=1
	s_or_b32 exec_lo, exec_lo, s7
	s_mov_b32 s4, 1
.LBB62_147:                             ;   in Loop: Header=BB62_22 Depth=1
	ds_load_u8 v5, v6 offset:16385
	s_waitcnt lgkmcnt(0)
	v_cmp_eq_u32_e32 vcc_lo, 0, v5
	s_cbranch_vccnz .LBB62_21
; %bb.148:                              ;   in Loop: Header=BB62_22 Depth=1
	s_add_i32 s30, s4, s6
	s_add_i32 s5, s5, 1
	s_mul_i32 s7, s30, s46
	s_ashr_i32 s31, s30, 31
	v_add_nc_u32_e32 v5, s7, v1
	s_lshl_b64 s[30:31], s[30:31], 2
	s_delay_alu instid0(SALU_CYCLE_1) | instskip(SKIP_1) | instid1(VALU_DEP_1)
	s_add_u32 s30, s22, s30
	s_addc_u32 s31, s23, s31
	v_mul_lo_u32 v7, v5, s46
	v_mov_b32_e32 v5, s5
	global_store_b32 v6, v5, s[30:31]
	s_and_saveexec_b32 s5, s55
	s_cbranch_execnz .LBB62_152
; %bb.149:                              ;   in Loop: Header=BB62_22 Depth=1
	s_or_b32 exec_lo, exec_lo, s5
	s_and_saveexec_b32 s5, s56
	s_cbranch_execnz .LBB62_156
.LBB62_150:                             ;   in Loop: Header=BB62_22 Depth=1
	s_or_b32 exec_lo, exec_lo, s5
	s_and_saveexec_b32 s5, s57
	s_cbranch_execnz .LBB62_160
.LBB62_151:                             ;   in Loop: Header=BB62_22 Depth=1
	s_or_b32 exec_lo, exec_lo, s5
	s_and_saveexec_b32 s5, s58
	s_cbranch_execz .LBB62_20
	s_branch .LBB62_164
.LBB62_152:                             ;   in Loop: Header=BB62_22 Depth=1
	s_and_not1_b32 vcc_lo, exec_lo, s44
	s_cbranch_vccnz .LBB62_170
; %bb.153:                              ;   in Loop: Header=BB62_22 Depth=1
	v_add_nc_u32_e32 v5, s7, v12
	s_delay_alu instid0(VALU_DEP_1) | instskip(NEXT) | instid1(VALU_DEP_1)
	v_mad_u64_u32 v[8:9], null, v5, s46, v[1:2]
	v_mov_b32_e32 v5, v8
	s_cbranch_execnz .LBB62_155
.LBB62_154:                             ;   in Loop: Header=BB62_22 Depth=1
	v_add_nc_u32_e32 v5, v7, v12
.LBB62_155:                             ;   in Loop: Header=BB62_22 Depth=1
	ds_load_b64 v[8:9], v17 offset:8192
	v_lshlrev_b64 v[10:11], 3, v[5:6]
	s_delay_alu instid0(VALU_DEP_1) | instskip(NEXT) | instid1(VALU_DEP_2)
	v_add_co_u32 v10, vcc_lo, s8, v10
	v_add_co_ci_u32_e32 v11, vcc_lo, s9, v11, vcc_lo
	s_waitcnt lgkmcnt(0)
	global_store_b64 v[10:11], v[8:9], off
	s_or_b32 exec_lo, exec_lo, s5
	s_and_saveexec_b32 s5, s56
	s_cbranch_execz .LBB62_150
.LBB62_156:                             ;   in Loop: Header=BB62_22 Depth=1
	s_and_not1_b32 vcc_lo, exec_lo, s44
	s_cbranch_vccnz .LBB62_171
; %bb.157:                              ;   in Loop: Header=BB62_22 Depth=1
	v_add_nc_u32_e32 v5, s7, v13
	s_delay_alu instid0(VALU_DEP_1) | instskip(NEXT) | instid1(VALU_DEP_1)
	v_mad_u64_u32 v[8:9], null, v5, s46, v[1:2]
	v_mov_b32_e32 v5, v8
	s_cbranch_execnz .LBB62_159
.LBB62_158:                             ;   in Loop: Header=BB62_22 Depth=1
	v_add_nc_u32_e32 v5, v7, v13
.LBB62_159:                             ;   in Loop: Header=BB62_22 Depth=1
	ds_load_b64 v[8:9], v18 offset:8192
	v_lshlrev_b64 v[10:11], 3, v[5:6]
	s_delay_alu instid0(VALU_DEP_1) | instskip(NEXT) | instid1(VALU_DEP_2)
	v_add_co_u32 v10, vcc_lo, s8, v10
	v_add_co_ci_u32_e32 v11, vcc_lo, s9, v11, vcc_lo
	s_waitcnt lgkmcnt(0)
	global_store_b64 v[10:11], v[8:9], off
	s_or_b32 exec_lo, exec_lo, s5
	s_and_saveexec_b32 s5, s57
	s_cbranch_execz .LBB62_151
.LBB62_160:                             ;   in Loop: Header=BB62_22 Depth=1
	s_and_not1_b32 vcc_lo, exec_lo, s44
	s_cbranch_vccnz .LBB62_172
; %bb.161:                              ;   in Loop: Header=BB62_22 Depth=1
	v_add_nc_u32_e32 v5, s7, v14
	s_delay_alu instid0(VALU_DEP_1) | instskip(NEXT) | instid1(VALU_DEP_1)
	v_mad_u64_u32 v[8:9], null, v5, s46, v[1:2]
	v_mov_b32_e32 v5, v8
	s_cbranch_execnz .LBB62_163
.LBB62_162:                             ;   in Loop: Header=BB62_22 Depth=1
	v_add_nc_u32_e32 v5, v7, v14
.LBB62_163:                             ;   in Loop: Header=BB62_22 Depth=1
	ds_load_b64 v[8:9], v19 offset:8192
	v_lshlrev_b64 v[10:11], 3, v[5:6]
	s_delay_alu instid0(VALU_DEP_1) | instskip(NEXT) | instid1(VALU_DEP_2)
	v_add_co_u32 v10, vcc_lo, s8, v10
	v_add_co_ci_u32_e32 v11, vcc_lo, s9, v11, vcc_lo
	s_waitcnt lgkmcnt(0)
	global_store_b64 v[10:11], v[8:9], off
	s_or_b32 exec_lo, exec_lo, s5
	s_and_saveexec_b32 s5, s58
	s_cbranch_execz .LBB62_20
.LBB62_164:                             ;   in Loop: Header=BB62_22 Depth=1
	s_and_not1_b32 vcc_lo, exec_lo, s44
	s_cbranch_vccnz .LBB62_173
; %bb.165:                              ;   in Loop: Header=BB62_22 Depth=1
	v_add_nc_u32_e32 v5, s7, v15
	s_delay_alu instid0(VALU_DEP_1) | instskip(NEXT) | instid1(VALU_DEP_1)
	v_mad_u64_u32 v[8:9], null, v5, s46, v[1:2]
	v_mov_b32_e32 v5, v8
	s_cbranch_execnz .LBB62_19
	s_branch .LBB62_174
.LBB62_166:                             ;   in Loop: Header=BB62_22 Depth=1
	s_branch .LBB62_132
.LBB62_167:                             ;   in Loop: Header=BB62_22 Depth=1
	s_branch .LBB62_136
.LBB62_168:                             ;   in Loop: Header=BB62_22 Depth=1
	s_branch .LBB62_140
.LBB62_169:                             ;   in Loop: Header=BB62_22 Depth=1
	s_branch .LBB62_144
.LBB62_170:                             ;   in Loop: Header=BB62_22 Depth=1
	s_branch .LBB62_154
.LBB62_171:                             ;   in Loop: Header=BB62_22 Depth=1
	s_branch .LBB62_158
.LBB62_172:                             ;   in Loop: Header=BB62_22 Depth=1
	s_branch .LBB62_162
.LBB62_173:                             ;   in Loop: Header=BB62_22 Depth=1
.LBB62_174:                             ;   in Loop: Header=BB62_22 Depth=1
	v_add_nc_u32_e32 v5, v7, v15
	s_branch .LBB62_19
.LBB62_175:
	s_endpgm
	.section	.rodata,"a",@progbits
	.p2align	6, 0x0
	.amdhsa_kernel _ZN9rocsparseL31bsrgemm_block_per_row_multipassILj256ELj2ELj32Eii21rocsparse_complex_numIfEEEv20rocsparse_direction_T3_S4_PKS4_S6_NS_24const_host_device_scalarIT4_EEPKT2_S6_PKS8_SC_S6_SE_S9_SC_S6_SE_SC_PS4_PS8_PSA_21rocsparse_index_base_SI_SI_SI_bbb
		.amdhsa_group_segment_fixed_size 16388
		.amdhsa_private_segment_fixed_size 0
		.amdhsa_kernarg_size 172
		.amdhsa_user_sgpr_count 15
		.amdhsa_user_sgpr_dispatch_ptr 0
		.amdhsa_user_sgpr_queue_ptr 0
		.amdhsa_user_sgpr_kernarg_segment_ptr 1
		.amdhsa_user_sgpr_dispatch_id 0
		.amdhsa_user_sgpr_private_segment_size 0
		.amdhsa_wavefront_size32 1
		.amdhsa_uses_dynamic_stack 0
		.amdhsa_enable_private_segment 0
		.amdhsa_system_sgpr_workgroup_id_x 1
		.amdhsa_system_sgpr_workgroup_id_y 0
		.amdhsa_system_sgpr_workgroup_id_z 0
		.amdhsa_system_sgpr_workgroup_info 0
		.amdhsa_system_vgpr_workitem_id 0
		.amdhsa_next_free_vgpr 41
		.amdhsa_next_free_sgpr 70
		.amdhsa_reserve_vcc 1
		.amdhsa_float_round_mode_32 0
		.amdhsa_float_round_mode_16_64 0
		.amdhsa_float_denorm_mode_32 3
		.amdhsa_float_denorm_mode_16_64 3
		.amdhsa_dx10_clamp 1
		.amdhsa_ieee_mode 1
		.amdhsa_fp16_overflow 0
		.amdhsa_workgroup_processor_mode 1
		.amdhsa_memory_ordered 1
		.amdhsa_forward_progress 0
		.amdhsa_shared_vgpr_count 0
		.amdhsa_exception_fp_ieee_invalid_op 0
		.amdhsa_exception_fp_denorm_src 0
		.amdhsa_exception_fp_ieee_div_zero 0
		.amdhsa_exception_fp_ieee_overflow 0
		.amdhsa_exception_fp_ieee_underflow 0
		.amdhsa_exception_fp_ieee_inexact 0
		.amdhsa_exception_int_div_zero 0
	.end_amdhsa_kernel
	.section	.text._ZN9rocsparseL31bsrgemm_block_per_row_multipassILj256ELj2ELj32Eii21rocsparse_complex_numIfEEEv20rocsparse_direction_T3_S4_PKS4_S6_NS_24const_host_device_scalarIT4_EEPKT2_S6_PKS8_SC_S6_SE_S9_SC_S6_SE_SC_PS4_PS8_PSA_21rocsparse_index_base_SI_SI_SI_bbb,"axG",@progbits,_ZN9rocsparseL31bsrgemm_block_per_row_multipassILj256ELj2ELj32Eii21rocsparse_complex_numIfEEEv20rocsparse_direction_T3_S4_PKS4_S6_NS_24const_host_device_scalarIT4_EEPKT2_S6_PKS8_SC_S6_SE_S9_SC_S6_SE_SC_PS4_PS8_PSA_21rocsparse_index_base_SI_SI_SI_bbb,comdat
.Lfunc_end62:
	.size	_ZN9rocsparseL31bsrgemm_block_per_row_multipassILj256ELj2ELj32Eii21rocsparse_complex_numIfEEEv20rocsparse_direction_T3_S4_PKS4_S6_NS_24const_host_device_scalarIT4_EEPKT2_S6_PKS8_SC_S6_SE_S9_SC_S6_SE_SC_PS4_PS8_PSA_21rocsparse_index_base_SI_SI_SI_bbb, .Lfunc_end62-_ZN9rocsparseL31bsrgemm_block_per_row_multipassILj256ELj2ELj32Eii21rocsparse_complex_numIfEEEv20rocsparse_direction_T3_S4_PKS4_S6_NS_24const_host_device_scalarIT4_EEPKT2_S6_PKS8_SC_S6_SE_S9_SC_S6_SE_SC_PS4_PS8_PSA_21rocsparse_index_base_SI_SI_SI_bbb
                                        ; -- End function
	.section	.AMDGPU.csdata,"",@progbits
; Kernel info:
; codeLenInByte = 5100
; NumSgprs: 72
; NumVgprs: 41
; ScratchSize: 0
; MemoryBound: 0
; FloatMode: 240
; IeeeMode: 1
; LDSByteSize: 16388 bytes/workgroup (compile time only)
; SGPRBlocks: 8
; VGPRBlocks: 5
; NumSGPRsForWavesPerEU: 72
; NumVGPRsForWavesPerEU: 41
; Occupancy: 14
; WaveLimiterHint : 1
; COMPUTE_PGM_RSRC2:SCRATCH_EN: 0
; COMPUTE_PGM_RSRC2:USER_SGPR: 15
; COMPUTE_PGM_RSRC2:TRAP_HANDLER: 0
; COMPUTE_PGM_RSRC2:TGID_X_EN: 1
; COMPUTE_PGM_RSRC2:TGID_Y_EN: 0
; COMPUTE_PGM_RSRC2:TGID_Z_EN: 0
; COMPUTE_PGM_RSRC2:TIDIG_COMP_CNT: 0
	.section	.text._ZN9rocsparseL26bsrgemm_group_reduce_part2ILj256ELj8ELj2E21rocsparse_complex_numIdEiiEEvT4_PKT3_PS3_Pi,"axG",@progbits,_ZN9rocsparseL26bsrgemm_group_reduce_part2ILj256ELj8ELj2E21rocsparse_complex_numIdEiiEEvT4_PKT3_PS3_Pi,comdat
	.globl	_ZN9rocsparseL26bsrgemm_group_reduce_part2ILj256ELj8ELj2E21rocsparse_complex_numIdEiiEEvT4_PKT3_PS3_Pi ; -- Begin function _ZN9rocsparseL26bsrgemm_group_reduce_part2ILj256ELj8ELj2E21rocsparse_complex_numIdEiiEEvT4_PKT3_PS3_Pi
	.p2align	8
	.type	_ZN9rocsparseL26bsrgemm_group_reduce_part2ILj256ELj8ELj2E21rocsparse_complex_numIdEiiEEvT4_PKT3_PS3_Pi,@function
_ZN9rocsparseL26bsrgemm_group_reduce_part2ILj256ELj8ELj2E21rocsparse_complex_numIdEiiEEvT4_PKT3_PS3_Pi: ; @_ZN9rocsparseL26bsrgemm_group_reduce_part2ILj256ELj8ELj2E21rocsparse_complex_numIdEiiEEvT4_PKT3_PS3_Pi
; %bb.0:
	s_clause 0x1
	s_load_b32 s10, s[0:1], 0x0
	s_load_b64 s[2:3], s[0:1], 0x10
	s_mov_b32 s4, 0
	v_lshl_or_b32 v1, s15, 8, v0
	s_mov_b32 s7, s4
	s_mov_b32 s5, s4
	;; [unrolled: 1-line block ×3, first 2 shown]
	v_dual_mov_b32 v8, s7 :: v_dual_mov_b32 v5, s4
	v_dual_mov_b32 v7, s6 :: v_dual_lshlrev_b32 v4, 5, v0
	v_mov_b32_e32 v6, s5
	s_mov_b32 s5, exec_lo
	ds_store_b128 v4, v[5:8]
	ds_store_b128 v4, v[5:8] offset:16
	s_waitcnt lgkmcnt(0)
	buffer_gl0_inv
	v_cmpx_gt_i32_e64 s10, v1
	s_cbranch_execz .LBB63_27
; %bb.1:
	s_clause 0x2
	s_load_b32 s11, s[0:1], 0x20
	s_load_b64 s[6:7], s[0:1], 0x8
	s_load_b64 s[8:9], s[0:1], 0x18
	v_dual_mov_b32 v5, 7 :: v_dual_mov_b32 v6, 5
	v_dual_mov_b32 v7, 4 :: v_dual_mov_b32 v8, 3
	;; [unrolled: 1-line block ×3, first 2 shown]
	v_mov_b32_e32 v11, 0
	s_waitcnt lgkmcnt(0)
	s_lshl_b32 s1, s11, 8
	s_branch .LBB63_3
.LBB63_2:                               ;   in Loop: Header=BB63_3 Depth=1
	s_or_b32 exec_lo, exec_lo, s0
	v_add_nc_u32_e32 v1, s1, v1
	s_delay_alu instid0(VALU_DEP_1) | instskip(SKIP_1) | instid1(SALU_CYCLE_1)
	v_cmp_le_i32_e32 vcc_lo, s10, v1
	s_or_b32 s4, vcc_lo, s4
	s_and_not1_b32 exec_lo, exec_lo, s4
	s_cbranch_execz .LBB63_27
.LBB63_3:                               ; =>This Inner Loop Header: Depth=1
	v_ashrrev_i32_e32 v2, 31, v1
	s_mov_b32 s0, exec_lo
	s_delay_alu instid0(VALU_DEP_1) | instskip(NEXT) | instid1(VALU_DEP_1)
	v_lshlrev_b64 v[2:3], 2, v[1:2]
	v_add_co_u32 v12, vcc_lo, s6, v2
	s_delay_alu instid0(VALU_DEP_2) | instskip(SKIP_3) | instid1(VALU_DEP_1)
	v_add_co_ci_u32_e32 v13, vcc_lo, s7, v3, vcc_lo
	global_load_b64 v[12:13], v[12:13], off
	s_waitcnt vmcnt(0)
	v_sub_nc_u32_e32 v12, v13, v12
	v_cmpx_lt_i32_e32 8, v12
	s_xor_b32 s11, exec_lo, s0
	s_cbranch_execz .LBB63_25
; %bb.4:                                ;   in Loop: Header=BB63_3 Depth=1
	s_mov_b32 s0, exec_lo
	v_cmpx_lt_u32_e32 16, v12
	s_xor_b32 s12, exec_lo, s0
	s_cbranch_execz .LBB63_22
; %bb.5:                                ;   in Loop: Header=BB63_3 Depth=1
	s_mov_b32 s0, exec_lo
	v_cmpx_lt_u32_e32 32, v12
	;; [unrolled: 5-line block ×4, first 2 shown]
	s_xor_b32 s16, exec_lo, s0
	s_cbranch_execz .LBB63_13
; %bb.8:                                ;   in Loop: Header=BB63_3 Depth=1
	v_add_co_u32 v2, s0, s8, v2
	s_delay_alu instid0(VALU_DEP_1)
	v_add_co_ci_u32_e64 v3, s0, s9, v3, s0
	s_mov_b32 s0, exec_lo
	v_cmpx_lt_u32_e32 0x100, v12
	s_xor_b32 s0, exec_lo, s0
	s_cbranch_execz .LBB63_10
; %bb.9:                                ;   in Loop: Header=BB63_3 Depth=1
	ds_load_b32 v12, v4 offset:28
	global_store_b32 v[2:3], v5, off
                                        ; implicit-def: $vgpr2_vgpr3
	s_waitcnt lgkmcnt(0)
	v_add_nc_u32_e32 v12, 1, v12
	ds_store_b32 v4, v12 offset:28
.LBB63_10:                              ;   in Loop: Header=BB63_3 Depth=1
	s_and_not1_saveexec_b32 s0, s0
	s_cbranch_execz .LBB63_12
; %bb.11:                               ;   in Loop: Header=BB63_3 Depth=1
	ds_load_b32 v12, v4 offset:20
	global_store_b32 v[2:3], v6, off
	s_waitcnt lgkmcnt(0)
	v_add_nc_u32_e32 v12, 1, v12
	ds_store_b32 v4, v12 offset:20
.LBB63_12:                              ;   in Loop: Header=BB63_3 Depth=1
	s_or_b32 exec_lo, exec_lo, s0
                                        ; implicit-def: $vgpr2_vgpr3
.LBB63_13:                              ;   in Loop: Header=BB63_3 Depth=1
	s_and_not1_saveexec_b32 s0, s16
	s_cbranch_execz .LBB63_15
; %bb.14:                               ;   in Loop: Header=BB63_3 Depth=1
	ds_load_b32 v12, v4 offset:16
	v_add_co_u32 v2, vcc_lo, s8, v2
	v_add_co_ci_u32_e32 v3, vcc_lo, s9, v3, vcc_lo
	global_store_b32 v[2:3], v7, off
	s_waitcnt lgkmcnt(0)
	v_add_nc_u32_e32 v12, 1, v12
	ds_store_b32 v4, v12 offset:16
.LBB63_15:                              ;   in Loop: Header=BB63_3 Depth=1
	s_or_b32 exec_lo, exec_lo, s0
                                        ; implicit-def: $vgpr2_vgpr3
.LBB63_16:                              ;   in Loop: Header=BB63_3 Depth=1
	s_and_not1_saveexec_b32 s0, s14
	s_cbranch_execz .LBB63_18
; %bb.17:                               ;   in Loop: Header=BB63_3 Depth=1
	ds_load_b32 v12, v4 offset:12
	v_add_co_u32 v2, vcc_lo, s8, v2
	v_add_co_ci_u32_e32 v3, vcc_lo, s9, v3, vcc_lo
	global_store_b32 v[2:3], v8, off
	s_waitcnt lgkmcnt(0)
	v_add_nc_u32_e32 v12, 1, v12
	ds_store_b32 v4, v12 offset:12
.LBB63_18:                              ;   in Loop: Header=BB63_3 Depth=1
	s_or_b32 exec_lo, exec_lo, s0
                                        ; implicit-def: $vgpr2_vgpr3
.LBB63_19:                              ;   in Loop: Header=BB63_3 Depth=1
	s_and_not1_saveexec_b32 s0, s13
	s_cbranch_execz .LBB63_21
; %bb.20:                               ;   in Loop: Header=BB63_3 Depth=1
	ds_load_b32 v12, v4 offset:8
	v_add_co_u32 v2, vcc_lo, s8, v2
	v_add_co_ci_u32_e32 v3, vcc_lo, s9, v3, vcc_lo
	global_store_b32 v[2:3], v9, off
	s_waitcnt lgkmcnt(0)
	v_add_nc_u32_e32 v12, 1, v12
	ds_store_b32 v4, v12 offset:8
.LBB63_21:                              ;   in Loop: Header=BB63_3 Depth=1
	s_or_b32 exec_lo, exec_lo, s0
                                        ; implicit-def: $vgpr2_vgpr3
.LBB63_22:                              ;   in Loop: Header=BB63_3 Depth=1
	s_and_not1_saveexec_b32 s0, s12
	s_cbranch_execz .LBB63_24
; %bb.23:                               ;   in Loop: Header=BB63_3 Depth=1
	ds_load_b32 v12, v4 offset:4
	v_add_co_u32 v2, vcc_lo, s8, v2
	v_add_co_ci_u32_e32 v3, vcc_lo, s9, v3, vcc_lo
	global_store_b32 v[2:3], v10, off
	s_waitcnt lgkmcnt(0)
	v_add_nc_u32_e32 v12, 1, v12
	ds_store_b32 v4, v12 offset:4
.LBB63_24:                              ;   in Loop: Header=BB63_3 Depth=1
	s_or_b32 exec_lo, exec_lo, s0
                                        ; implicit-def: $vgpr2_vgpr3
.LBB63_25:                              ;   in Loop: Header=BB63_3 Depth=1
	s_and_not1_saveexec_b32 s0, s11
	s_cbranch_execz .LBB63_2
; %bb.26:                               ;   in Loop: Header=BB63_3 Depth=1
	ds_load_b32 v12, v4
	v_add_co_u32 v2, vcc_lo, s8, v2
	v_add_co_ci_u32_e32 v3, vcc_lo, s9, v3, vcc_lo
	global_store_b32 v[2:3], v11, off
	s_waitcnt lgkmcnt(0)
	v_add_nc_u32_e32 v12, 1, v12
	ds_store_b32 v4, v12
	s_branch .LBB63_2
.LBB63_27:
	s_or_b32 exec_lo, exec_lo, s5
	s_delay_alu instid0(SALU_CYCLE_1)
	s_mov_b32 s0, exec_lo
	s_waitcnt lgkmcnt(0)
	s_waitcnt_vscnt null, 0x0
	s_barrier
	buffer_gl0_inv
	s_barrier
	buffer_gl0_inv
	;; [unrolled: 2-line block ×3, first 2 shown]
	v_cmpx_gt_u32_e32 0x80, v0
	s_cbranch_execz .LBB63_29
; %bb.28:
	ds_load_b128 v[5:8], v4 offset:4096
	ds_load_b128 v[9:12], v4
	ds_load_b128 v[13:16], v4 offset:16
	ds_load_b128 v[17:20], v4 offset:4112
	s_waitcnt lgkmcnt(2)
	v_add_nc_u32_e32 v5, v9, v5
	v_add_nc_u32_e32 v6, v10, v6
	v_add_nc_u32_e32 v7, v11, v7
	v_add_nc_u32_e32 v8, v12, v8
	s_waitcnt lgkmcnt(0)
	v_add_nc_u32_e32 v9, v13, v17
	v_add_nc_u32_e32 v10, v14, v18
	v_add_nc_u32_e32 v11, v15, v19
	v_add_nc_u32_e32 v12, v16, v20
	ds_store_b128 v4, v[5:8]
	ds_store_b128 v4, v[9:12] offset:16
.LBB63_29:
	s_or_b32 exec_lo, exec_lo, s0
	s_delay_alu instid0(SALU_CYCLE_1)
	s_mov_b32 s0, exec_lo
	s_waitcnt lgkmcnt(0)
	s_barrier
	buffer_gl0_inv
	v_cmpx_gt_u32_e32 64, v0
	s_cbranch_execz .LBB63_31
; %bb.30:
	ds_load_b128 v[5:8], v4 offset:2048
	ds_load_b128 v[9:12], v4
	ds_load_b128 v[13:16], v4 offset:16
	ds_load_b128 v[17:20], v4 offset:2064
	s_waitcnt lgkmcnt(2)
	v_add_nc_u32_e32 v5, v9, v5
	v_add_nc_u32_e32 v6, v10, v6
	v_add_nc_u32_e32 v7, v11, v7
	v_add_nc_u32_e32 v8, v12, v8
	s_waitcnt lgkmcnt(0)
	v_add_nc_u32_e32 v9, v13, v17
	v_add_nc_u32_e32 v10, v14, v18
	v_add_nc_u32_e32 v11, v15, v19
	v_add_nc_u32_e32 v12, v16, v20
	ds_store_b128 v4, v[5:8]
	ds_store_b128 v4, v[9:12] offset:16
.LBB63_31:
	s_or_b32 exec_lo, exec_lo, s0
	s_delay_alu instid0(SALU_CYCLE_1)
	s_mov_b32 s0, exec_lo
	s_waitcnt lgkmcnt(0)
	s_barrier
	buffer_gl0_inv
	;; [unrolled: 26-line block ×3, first 2 shown]
	v_cmpx_gt_u32_e32 16, v0
	s_cbranch_execz .LBB63_35
; %bb.34:
	ds_load_b128 v[5:8], v4 offset:512
	ds_load_b128 v[9:12], v4
	ds_load_b128 v[13:16], v4 offset:16
	ds_load_b128 v[17:20], v4 offset:528
	s_waitcnt lgkmcnt(2)
	v_add_nc_u32_e32 v5, v9, v5
	v_add_nc_u32_e32 v6, v10, v6
	v_add_nc_u32_e32 v7, v11, v7
	v_add_nc_u32_e32 v8, v12, v8
	s_waitcnt lgkmcnt(0)
	v_add_nc_u32_e32 v9, v13, v17
	v_add_nc_u32_e32 v10, v14, v18
	;; [unrolled: 1-line block ×4, first 2 shown]
	ds_store_b128 v4, v[5:8]
	ds_store_b128 v4, v[9:12] offset:16
.LBB63_35:
	s_or_b32 exec_lo, exec_lo, s0
	v_cmp_gt_u32_e32 vcc_lo, 8, v0
	s_waitcnt lgkmcnt(0)
	s_barrier
	buffer_gl0_inv
	s_and_saveexec_b32 s0, vcc_lo
	s_cbranch_execz .LBB63_37
; %bb.36:
	ds_load_b128 v[5:8], v4 offset:256
	ds_load_b128 v[9:12], v4
	ds_load_b128 v[13:16], v4 offset:16
	ds_load_b128 v[17:20], v4 offset:272
	s_waitcnt lgkmcnt(2)
	v_add_nc_u32_e32 v5, v9, v5
	v_add_nc_u32_e32 v6, v10, v6
	;; [unrolled: 1-line block ×4, first 2 shown]
	s_waitcnt lgkmcnt(0)
	v_add_nc_u32_e32 v9, v13, v17
	v_add_nc_u32_e32 v10, v14, v18
	;; [unrolled: 1-line block ×4, first 2 shown]
	ds_store_b128 v4, v[5:8]
	ds_store_b128 v4, v[9:12] offset:16
.LBB63_37:
	s_or_b32 exec_lo, exec_lo, s0
	s_delay_alu instid0(SALU_CYCLE_1)
	s_mov_b32 s1, exec_lo
	s_waitcnt lgkmcnt(0)
	s_barrier
	buffer_gl0_inv
	v_cmpx_gt_u32_e32 4, v0
	s_cbranch_execz .LBB63_39
; %bb.38:
	ds_load_b128 v[5:8], v4 offset:128
	ds_load_b128 v[9:12], v4
	ds_load_b128 v[13:16], v4 offset:16
	ds_load_b128 v[17:20], v4 offset:144
	s_waitcnt lgkmcnt(2)
	v_add_nc_u32_e32 v5, v9, v5
	v_add_nc_u32_e32 v6, v10, v6
	;; [unrolled: 1-line block ×4, first 2 shown]
	s_waitcnt lgkmcnt(0)
	v_add_nc_u32_e32 v9, v13, v17
	v_add_nc_u32_e32 v10, v14, v18
	;; [unrolled: 1-line block ×4, first 2 shown]
	ds_store_b128 v4, v[5:8]
	ds_store_b128 v4, v[9:12] offset:16
.LBB63_39:
	s_or_b32 exec_lo, exec_lo, s1
	s_delay_alu instid0(SALU_CYCLE_1)
	s_mov_b32 s1, exec_lo
	s_waitcnt lgkmcnt(0)
	s_barrier
	buffer_gl0_inv
	v_cmpx_gt_u32_e32 2, v0
	s_cbranch_execz .LBB63_41
; %bb.40:
	ds_load_b128 v[5:8], v4 offset:64
	ds_load_b128 v[9:12], v4
	ds_load_b128 v[13:16], v4 offset:16
	ds_load_b128 v[17:20], v4 offset:80
	s_waitcnt lgkmcnt(2)
	v_add_nc_u32_e32 v5, v9, v5
	v_add_nc_u32_e32 v6, v10, v6
	;; [unrolled: 1-line block ×4, first 2 shown]
	s_waitcnt lgkmcnt(0)
	v_add_nc_u32_e32 v9, v13, v17
	v_add_nc_u32_e32 v10, v14, v18
	;; [unrolled: 1-line block ×4, first 2 shown]
	ds_store_b128 v4, v[5:8]
	ds_store_b128 v4, v[9:12] offset:16
.LBB63_41:
	s_or_b32 exec_lo, exec_lo, s1
	s_delay_alu instid0(SALU_CYCLE_1)
	s_mov_b32 s1, exec_lo
	s_waitcnt lgkmcnt(0)
	s_barrier
	buffer_gl0_inv
	v_cmpx_eq_u32_e32 0, v0
	s_cbranch_execz .LBB63_43
; %bb.42:
	v_mov_b32_e32 v17, 0
	ds_load_b128 v[1:4], v17 offset:32
	ds_load_b128 v[5:8], v17
	ds_load_b128 v[9:12], v17 offset:16
	ds_load_b128 v[13:16], v17 offset:48
	s_waitcnt lgkmcnt(2)
	v_add_nc_u32_e32 v2, v6, v2
	v_add_nc_u32_e32 v1, v5, v1
	v_add_nc_u32_e32 v3, v7, v3
	v_add_nc_u32_e32 v4, v8, v4
	s_waitcnt lgkmcnt(0)
	v_add_nc_u32_e32 v5, v9, v13
	v_add_nc_u32_e32 v6, v10, v14
	;; [unrolled: 1-line block ×4, first 2 shown]
	ds_store_b128 v17, v[1:4]
	ds_store_b128 v17, v[5:8] offset:16
.LBB63_43:
	s_or_b32 exec_lo, exec_lo, s1
	s_waitcnt lgkmcnt(0)
	s_barrier
	buffer_gl0_inv
	s_and_saveexec_b32 s0, vcc_lo
	s_cbranch_execz .LBB63_45
; %bb.44:
	v_lshlrev_b32_e32 v1, 2, v0
	v_lshl_or_b32 v0, s15, 3, v0
	ds_load_b32 v2, v1
	v_mov_b32_e32 v1, 0
	s_delay_alu instid0(VALU_DEP_1) | instskip(NEXT) | instid1(VALU_DEP_1)
	v_lshlrev_b64 v[0:1], 2, v[0:1]
	v_add_co_u32 v0, vcc_lo, s2, v0
	s_delay_alu instid0(VALU_DEP_2)
	v_add_co_ci_u32_e32 v1, vcc_lo, s3, v1, vcc_lo
	s_waitcnt lgkmcnt(0)
	global_store_b32 v[0:1], v2, off
.LBB63_45:
	s_nop 0
	s_sendmsg sendmsg(MSG_DEALLOC_VGPRS)
	s_endpgm
	.section	.rodata,"a",@progbits
	.p2align	6, 0x0
	.amdhsa_kernel _ZN9rocsparseL26bsrgemm_group_reduce_part2ILj256ELj8ELj2E21rocsparse_complex_numIdEiiEEvT4_PKT3_PS3_Pi
		.amdhsa_group_segment_fixed_size 8192
		.amdhsa_private_segment_fixed_size 0
		.amdhsa_kernarg_size 288
		.amdhsa_user_sgpr_count 15
		.amdhsa_user_sgpr_dispatch_ptr 0
		.amdhsa_user_sgpr_queue_ptr 0
		.amdhsa_user_sgpr_kernarg_segment_ptr 1
		.amdhsa_user_sgpr_dispatch_id 0
		.amdhsa_user_sgpr_private_segment_size 0
		.amdhsa_wavefront_size32 1
		.amdhsa_uses_dynamic_stack 0
		.amdhsa_enable_private_segment 0
		.amdhsa_system_sgpr_workgroup_id_x 1
		.amdhsa_system_sgpr_workgroup_id_y 0
		.amdhsa_system_sgpr_workgroup_id_z 0
		.amdhsa_system_sgpr_workgroup_info 0
		.amdhsa_system_vgpr_workitem_id 0
		.amdhsa_next_free_vgpr 21
		.amdhsa_next_free_sgpr 17
		.amdhsa_reserve_vcc 1
		.amdhsa_float_round_mode_32 0
		.amdhsa_float_round_mode_16_64 0
		.amdhsa_float_denorm_mode_32 3
		.amdhsa_float_denorm_mode_16_64 3
		.amdhsa_dx10_clamp 1
		.amdhsa_ieee_mode 1
		.amdhsa_fp16_overflow 0
		.amdhsa_workgroup_processor_mode 1
		.amdhsa_memory_ordered 1
		.amdhsa_forward_progress 0
		.amdhsa_shared_vgpr_count 0
		.amdhsa_exception_fp_ieee_invalid_op 0
		.amdhsa_exception_fp_denorm_src 0
		.amdhsa_exception_fp_ieee_div_zero 0
		.amdhsa_exception_fp_ieee_overflow 0
		.amdhsa_exception_fp_ieee_underflow 0
		.amdhsa_exception_fp_ieee_inexact 0
		.amdhsa_exception_int_div_zero 0
	.end_amdhsa_kernel
	.section	.text._ZN9rocsparseL26bsrgemm_group_reduce_part2ILj256ELj8ELj2E21rocsparse_complex_numIdEiiEEvT4_PKT3_PS3_Pi,"axG",@progbits,_ZN9rocsparseL26bsrgemm_group_reduce_part2ILj256ELj8ELj2E21rocsparse_complex_numIdEiiEEvT4_PKT3_PS3_Pi,comdat
.Lfunc_end63:
	.size	_ZN9rocsparseL26bsrgemm_group_reduce_part2ILj256ELj8ELj2E21rocsparse_complex_numIdEiiEEvT4_PKT3_PS3_Pi, .Lfunc_end63-_ZN9rocsparseL26bsrgemm_group_reduce_part2ILj256ELj8ELj2E21rocsparse_complex_numIdEiiEEvT4_PKT3_PS3_Pi
                                        ; -- End function
	.section	.AMDGPU.csdata,"",@progbits
; Kernel info:
; codeLenInByte = 1860
; NumSgprs: 19
; NumVgprs: 21
; ScratchSize: 0
; MemoryBound: 0
; FloatMode: 240
; IeeeMode: 1
; LDSByteSize: 8192 bytes/workgroup (compile time only)
; SGPRBlocks: 2
; VGPRBlocks: 2
; NumSGPRsForWavesPerEU: 19
; NumVGPRsForWavesPerEU: 21
; Occupancy: 16
; WaveLimiterHint : 0
; COMPUTE_PGM_RSRC2:SCRATCH_EN: 0
; COMPUTE_PGM_RSRC2:USER_SGPR: 15
; COMPUTE_PGM_RSRC2:TRAP_HANDLER: 0
; COMPUTE_PGM_RSRC2:TGID_X_EN: 1
; COMPUTE_PGM_RSRC2:TGID_Y_EN: 0
; COMPUTE_PGM_RSRC2:TGID_Z_EN: 0
; COMPUTE_PGM_RSRC2:TIDIG_COMP_CNT: 0
	.section	.text._ZN9rocsparseL26bsrgemm_group_reduce_part2ILj256ELj8ELj8E21rocsparse_complex_numIdEiiEEvT4_PKT3_PS3_Pi,"axG",@progbits,_ZN9rocsparseL26bsrgemm_group_reduce_part2ILj256ELj8ELj8E21rocsparse_complex_numIdEiiEEvT4_PKT3_PS3_Pi,comdat
	.globl	_ZN9rocsparseL26bsrgemm_group_reduce_part2ILj256ELj8ELj8E21rocsparse_complex_numIdEiiEEvT4_PKT3_PS3_Pi ; -- Begin function _ZN9rocsparseL26bsrgemm_group_reduce_part2ILj256ELj8ELj8E21rocsparse_complex_numIdEiiEEvT4_PKT3_PS3_Pi
	.p2align	8
	.type	_ZN9rocsparseL26bsrgemm_group_reduce_part2ILj256ELj8ELj8E21rocsparse_complex_numIdEiiEEvT4_PKT3_PS3_Pi,@function
_ZN9rocsparseL26bsrgemm_group_reduce_part2ILj256ELj8ELj8E21rocsparse_complex_numIdEiiEEvT4_PKT3_PS3_Pi: ; @_ZN9rocsparseL26bsrgemm_group_reduce_part2ILj256ELj8ELj8E21rocsparse_complex_numIdEiiEEvT4_PKT3_PS3_Pi
; %bb.0:
	s_clause 0x1
	s_load_b32 s10, s[0:1], 0x0
	s_load_b64 s[2:3], s[0:1], 0x10
	s_mov_b32 s4, 0
	v_lshl_or_b32 v1, s15, 8, v0
	s_mov_b32 s7, s4
	s_mov_b32 s5, s4
	;; [unrolled: 1-line block ×3, first 2 shown]
	v_dual_mov_b32 v8, s7 :: v_dual_mov_b32 v5, s4
	v_dual_mov_b32 v7, s6 :: v_dual_lshlrev_b32 v4, 5, v0
	v_mov_b32_e32 v6, s5
	s_mov_b32 s5, exec_lo
	ds_store_b128 v4, v[5:8]
	ds_store_b128 v4, v[5:8] offset:16
	s_waitcnt lgkmcnt(0)
	buffer_gl0_inv
	v_cmpx_gt_i32_e64 s10, v1
	s_cbranch_execz .LBB64_31
; %bb.1:
	s_clause 0x2
	s_load_b32 s11, s[0:1], 0x20
	s_load_b64 s[6:7], s[0:1], 0x8
	s_load_b64 s[8:9], s[0:1], 0x18
	v_dual_mov_b32 v5, 7 :: v_dual_mov_b32 v6, 6
	v_dual_mov_b32 v7, 5 :: v_dual_mov_b32 v8, 4
	;; [unrolled: 1-line block ×4, first 2 shown]
	s_waitcnt lgkmcnt(0)
	s_lshl_b32 s1, s11, 8
	s_branch .LBB64_3
.LBB64_2:                               ;   in Loop: Header=BB64_3 Depth=1
	s_or_b32 exec_lo, exec_lo, s0
	v_add_nc_u32_e32 v1, s1, v1
	s_delay_alu instid0(VALU_DEP_1) | instskip(SKIP_1) | instid1(SALU_CYCLE_1)
	v_cmp_le_i32_e32 vcc_lo, s10, v1
	s_or_b32 s4, vcc_lo, s4
	s_and_not1_b32 exec_lo, exec_lo, s4
	s_cbranch_execz .LBB64_31
.LBB64_3:                               ; =>This Inner Loop Header: Depth=1
	v_ashrrev_i32_e32 v2, 31, v1
	s_mov_b32 s0, exec_lo
	s_delay_alu instid0(VALU_DEP_1) | instskip(NEXT) | instid1(VALU_DEP_1)
	v_lshlrev_b64 v[2:3], 2, v[1:2]
	v_add_co_u32 v13, vcc_lo, s6, v2
	s_delay_alu instid0(VALU_DEP_2) | instskip(SKIP_3) | instid1(VALU_DEP_1)
	v_add_co_ci_u32_e32 v14, vcc_lo, s7, v3, vcc_lo
	global_load_b64 v[13:14], v[13:14], off
	s_waitcnt vmcnt(0)
	v_sub_nc_u32_e32 v13, v14, v13
	v_cmpx_lt_i32_e32 8, v13
	s_xor_b32 s11, exec_lo, s0
	s_cbranch_execz .LBB64_29
; %bb.4:                                ;   in Loop: Header=BB64_3 Depth=1
	s_mov_b32 s0, exec_lo
	v_cmpx_lt_u32_e32 16, v13
	s_xor_b32 s12, exec_lo, s0
	s_cbranch_execz .LBB64_26
; %bb.5:                                ;   in Loop: Header=BB64_3 Depth=1
	s_mov_b32 s0, exec_lo
	v_cmpx_lt_u32_e32 32, v13
	;; [unrolled: 5-line block ×5, first 2 shown]
	s_xor_b32 s17, exec_lo, s0
	s_cbranch_execz .LBB64_14
; %bb.9:                                ;   in Loop: Header=BB64_3 Depth=1
	v_add_co_u32 v2, s0, s8, v2
	s_delay_alu instid0(VALU_DEP_1)
	v_add_co_ci_u32_e64 v3, s0, s9, v3, s0
	s_mov_b32 s0, exec_lo
	v_cmpx_lt_u32_e32 0x200, v13
	s_xor_b32 s0, exec_lo, s0
	s_cbranch_execz .LBB64_11
; %bb.10:                               ;   in Loop: Header=BB64_3 Depth=1
	ds_load_b32 v13, v4 offset:28
	global_store_b32 v[2:3], v5, off
                                        ; implicit-def: $vgpr2_vgpr3
	s_waitcnt lgkmcnt(0)
	v_add_nc_u32_e32 v13, 1, v13
	ds_store_b32 v4, v13 offset:28
.LBB64_11:                              ;   in Loop: Header=BB64_3 Depth=1
	s_and_not1_saveexec_b32 s0, s0
	s_cbranch_execz .LBB64_13
; %bb.12:                               ;   in Loop: Header=BB64_3 Depth=1
	ds_load_b32 v13, v4 offset:24
	global_store_b32 v[2:3], v6, off
	s_waitcnt lgkmcnt(0)
	v_add_nc_u32_e32 v13, 1, v13
	ds_store_b32 v4, v13 offset:24
.LBB64_13:                              ;   in Loop: Header=BB64_3 Depth=1
	s_or_b32 exec_lo, exec_lo, s0
                                        ; implicit-def: $vgpr2_vgpr3
.LBB64_14:                              ;   in Loop: Header=BB64_3 Depth=1
	s_and_not1_saveexec_b32 s0, s17
	s_cbranch_execz .LBB64_16
; %bb.15:                               ;   in Loop: Header=BB64_3 Depth=1
	ds_load_b32 v13, v4 offset:20
	v_add_co_u32 v2, vcc_lo, s8, v2
	v_add_co_ci_u32_e32 v3, vcc_lo, s9, v3, vcc_lo
	global_store_b32 v[2:3], v7, off
	s_waitcnt lgkmcnt(0)
	v_add_nc_u32_e32 v13, 1, v13
	ds_store_b32 v4, v13 offset:20
.LBB64_16:                              ;   in Loop: Header=BB64_3 Depth=1
	s_or_b32 exec_lo, exec_lo, s0
                                        ; implicit-def: $vgpr2_vgpr3
.LBB64_17:                              ;   in Loop: Header=BB64_3 Depth=1
	s_and_not1_saveexec_b32 s0, s16
	s_cbranch_execz .LBB64_19
; %bb.18:                               ;   in Loop: Header=BB64_3 Depth=1
	ds_load_b32 v13, v4 offset:16
	v_add_co_u32 v2, vcc_lo, s8, v2
	v_add_co_ci_u32_e32 v3, vcc_lo, s9, v3, vcc_lo
	global_store_b32 v[2:3], v8, off
	s_waitcnt lgkmcnt(0)
	v_add_nc_u32_e32 v13, 1, v13
	ds_store_b32 v4, v13 offset:16
.LBB64_19:                              ;   in Loop: Header=BB64_3 Depth=1
	s_or_b32 exec_lo, exec_lo, s0
                                        ; implicit-def: $vgpr2_vgpr3
.LBB64_20:                              ;   in Loop: Header=BB64_3 Depth=1
	s_and_not1_saveexec_b32 s0, s14
	s_cbranch_execz .LBB64_22
; %bb.21:                               ;   in Loop: Header=BB64_3 Depth=1
	ds_load_b32 v13, v4 offset:12
	v_add_co_u32 v2, vcc_lo, s8, v2
	v_add_co_ci_u32_e32 v3, vcc_lo, s9, v3, vcc_lo
	global_store_b32 v[2:3], v9, off
	s_waitcnt lgkmcnt(0)
	v_add_nc_u32_e32 v13, 1, v13
	ds_store_b32 v4, v13 offset:12
.LBB64_22:                              ;   in Loop: Header=BB64_3 Depth=1
	s_or_b32 exec_lo, exec_lo, s0
                                        ; implicit-def: $vgpr2_vgpr3
.LBB64_23:                              ;   in Loop: Header=BB64_3 Depth=1
	s_and_not1_saveexec_b32 s0, s13
	s_cbranch_execz .LBB64_25
; %bb.24:                               ;   in Loop: Header=BB64_3 Depth=1
	ds_load_b32 v13, v4 offset:8
	v_add_co_u32 v2, vcc_lo, s8, v2
	v_add_co_ci_u32_e32 v3, vcc_lo, s9, v3, vcc_lo
	global_store_b32 v[2:3], v10, off
	s_waitcnt lgkmcnt(0)
	v_add_nc_u32_e32 v13, 1, v13
	ds_store_b32 v4, v13 offset:8
.LBB64_25:                              ;   in Loop: Header=BB64_3 Depth=1
	s_or_b32 exec_lo, exec_lo, s0
                                        ; implicit-def: $vgpr2_vgpr3
.LBB64_26:                              ;   in Loop: Header=BB64_3 Depth=1
	s_and_not1_saveexec_b32 s0, s12
	s_cbranch_execz .LBB64_28
; %bb.27:                               ;   in Loop: Header=BB64_3 Depth=1
	ds_load_b32 v13, v4 offset:4
	v_add_co_u32 v2, vcc_lo, s8, v2
	v_add_co_ci_u32_e32 v3, vcc_lo, s9, v3, vcc_lo
	global_store_b32 v[2:3], v11, off
	s_waitcnt lgkmcnt(0)
	v_add_nc_u32_e32 v13, 1, v13
	ds_store_b32 v4, v13 offset:4
.LBB64_28:                              ;   in Loop: Header=BB64_3 Depth=1
	s_or_b32 exec_lo, exec_lo, s0
                                        ; implicit-def: $vgpr2_vgpr3
.LBB64_29:                              ;   in Loop: Header=BB64_3 Depth=1
	s_and_not1_saveexec_b32 s0, s11
	s_cbranch_execz .LBB64_2
; %bb.30:                               ;   in Loop: Header=BB64_3 Depth=1
	ds_load_b32 v13, v4
	v_add_co_u32 v2, vcc_lo, s8, v2
	v_add_co_ci_u32_e32 v3, vcc_lo, s9, v3, vcc_lo
	global_store_b32 v[2:3], v12, off
	s_waitcnt lgkmcnt(0)
	v_add_nc_u32_e32 v13, 1, v13
	ds_store_b32 v4, v13
	s_branch .LBB64_2
.LBB64_31:
	s_or_b32 exec_lo, exec_lo, s5
	s_delay_alu instid0(SALU_CYCLE_1)
	s_mov_b32 s0, exec_lo
	s_waitcnt lgkmcnt(0)
	s_waitcnt_vscnt null, 0x0
	s_barrier
	buffer_gl0_inv
	s_barrier
	buffer_gl0_inv
	;; [unrolled: 2-line block ×3, first 2 shown]
	v_cmpx_gt_u32_e32 0x80, v0
	s_cbranch_execz .LBB64_33
; %bb.32:
	ds_load_b128 v[5:8], v4 offset:4096
	ds_load_b128 v[9:12], v4
	ds_load_b128 v[13:16], v4 offset:16
	ds_load_b128 v[17:20], v4 offset:4112
	s_waitcnt lgkmcnt(2)
	v_add_nc_u32_e32 v5, v9, v5
	v_add_nc_u32_e32 v6, v10, v6
	v_add_nc_u32_e32 v7, v11, v7
	v_add_nc_u32_e32 v8, v12, v8
	s_waitcnt lgkmcnt(0)
	v_add_nc_u32_e32 v9, v13, v17
	v_add_nc_u32_e32 v10, v14, v18
	v_add_nc_u32_e32 v11, v15, v19
	v_add_nc_u32_e32 v12, v16, v20
	ds_store_b128 v4, v[5:8]
	ds_store_b128 v4, v[9:12] offset:16
.LBB64_33:
	s_or_b32 exec_lo, exec_lo, s0
	s_delay_alu instid0(SALU_CYCLE_1)
	s_mov_b32 s0, exec_lo
	s_waitcnt lgkmcnt(0)
	s_barrier
	buffer_gl0_inv
	v_cmpx_gt_u32_e32 64, v0
	s_cbranch_execz .LBB64_35
; %bb.34:
	ds_load_b128 v[5:8], v4 offset:2048
	ds_load_b128 v[9:12], v4
	ds_load_b128 v[13:16], v4 offset:16
	ds_load_b128 v[17:20], v4 offset:2064
	s_waitcnt lgkmcnt(2)
	v_add_nc_u32_e32 v5, v9, v5
	v_add_nc_u32_e32 v6, v10, v6
	v_add_nc_u32_e32 v7, v11, v7
	v_add_nc_u32_e32 v8, v12, v8
	s_waitcnt lgkmcnt(0)
	v_add_nc_u32_e32 v9, v13, v17
	v_add_nc_u32_e32 v10, v14, v18
	v_add_nc_u32_e32 v11, v15, v19
	v_add_nc_u32_e32 v12, v16, v20
	ds_store_b128 v4, v[5:8]
	ds_store_b128 v4, v[9:12] offset:16
.LBB64_35:
	s_or_b32 exec_lo, exec_lo, s0
	s_delay_alu instid0(SALU_CYCLE_1)
	s_mov_b32 s0, exec_lo
	s_waitcnt lgkmcnt(0)
	s_barrier
	buffer_gl0_inv
	;; [unrolled: 26-line block ×3, first 2 shown]
	v_cmpx_gt_u32_e32 16, v0
	s_cbranch_execz .LBB64_39
; %bb.38:
	ds_load_b128 v[5:8], v4 offset:512
	ds_load_b128 v[9:12], v4
	ds_load_b128 v[13:16], v4 offset:16
	ds_load_b128 v[17:20], v4 offset:528
	s_waitcnt lgkmcnt(2)
	v_add_nc_u32_e32 v5, v9, v5
	v_add_nc_u32_e32 v6, v10, v6
	;; [unrolled: 1-line block ×4, first 2 shown]
	s_waitcnt lgkmcnt(0)
	v_add_nc_u32_e32 v9, v13, v17
	v_add_nc_u32_e32 v10, v14, v18
	;; [unrolled: 1-line block ×4, first 2 shown]
	ds_store_b128 v4, v[5:8]
	ds_store_b128 v4, v[9:12] offset:16
.LBB64_39:
	s_or_b32 exec_lo, exec_lo, s0
	v_cmp_gt_u32_e32 vcc_lo, 8, v0
	s_waitcnt lgkmcnt(0)
	s_barrier
	buffer_gl0_inv
	s_and_saveexec_b32 s0, vcc_lo
	s_cbranch_execz .LBB64_41
; %bb.40:
	ds_load_b128 v[5:8], v4 offset:256
	ds_load_b128 v[9:12], v4
	ds_load_b128 v[13:16], v4 offset:16
	ds_load_b128 v[17:20], v4 offset:272
	s_waitcnt lgkmcnt(2)
	v_add_nc_u32_e32 v5, v9, v5
	v_add_nc_u32_e32 v6, v10, v6
	;; [unrolled: 1-line block ×4, first 2 shown]
	s_waitcnt lgkmcnt(0)
	v_add_nc_u32_e32 v9, v13, v17
	v_add_nc_u32_e32 v10, v14, v18
	;; [unrolled: 1-line block ×4, first 2 shown]
	ds_store_b128 v4, v[5:8]
	ds_store_b128 v4, v[9:12] offset:16
.LBB64_41:
	s_or_b32 exec_lo, exec_lo, s0
	s_delay_alu instid0(SALU_CYCLE_1)
	s_mov_b32 s1, exec_lo
	s_waitcnt lgkmcnt(0)
	s_barrier
	buffer_gl0_inv
	v_cmpx_gt_u32_e32 4, v0
	s_cbranch_execz .LBB64_43
; %bb.42:
	ds_load_b128 v[5:8], v4 offset:128
	ds_load_b128 v[9:12], v4
	ds_load_b128 v[13:16], v4 offset:16
	ds_load_b128 v[17:20], v4 offset:144
	s_waitcnt lgkmcnt(2)
	v_add_nc_u32_e32 v5, v9, v5
	v_add_nc_u32_e32 v6, v10, v6
	;; [unrolled: 1-line block ×4, first 2 shown]
	s_waitcnt lgkmcnt(0)
	v_add_nc_u32_e32 v9, v13, v17
	v_add_nc_u32_e32 v10, v14, v18
	;; [unrolled: 1-line block ×4, first 2 shown]
	ds_store_b128 v4, v[5:8]
	ds_store_b128 v4, v[9:12] offset:16
.LBB64_43:
	s_or_b32 exec_lo, exec_lo, s1
	s_delay_alu instid0(SALU_CYCLE_1)
	s_mov_b32 s1, exec_lo
	s_waitcnt lgkmcnt(0)
	s_barrier
	buffer_gl0_inv
	v_cmpx_gt_u32_e32 2, v0
	s_cbranch_execz .LBB64_45
; %bb.44:
	ds_load_b128 v[5:8], v4 offset:64
	ds_load_b128 v[9:12], v4
	ds_load_b128 v[13:16], v4 offset:16
	ds_load_b128 v[17:20], v4 offset:80
	s_waitcnt lgkmcnt(2)
	v_add_nc_u32_e32 v5, v9, v5
	v_add_nc_u32_e32 v6, v10, v6
	;; [unrolled: 1-line block ×4, first 2 shown]
	s_waitcnt lgkmcnt(0)
	v_add_nc_u32_e32 v9, v13, v17
	v_add_nc_u32_e32 v10, v14, v18
	v_add_nc_u32_e32 v11, v15, v19
	v_add_nc_u32_e32 v12, v16, v20
	ds_store_b128 v4, v[5:8]
	ds_store_b128 v4, v[9:12] offset:16
.LBB64_45:
	s_or_b32 exec_lo, exec_lo, s1
	s_delay_alu instid0(SALU_CYCLE_1)
	s_mov_b32 s1, exec_lo
	s_waitcnt lgkmcnt(0)
	s_barrier
	buffer_gl0_inv
	v_cmpx_eq_u32_e32 0, v0
	s_cbranch_execz .LBB64_47
; %bb.46:
	v_mov_b32_e32 v17, 0
	ds_load_b128 v[1:4], v17 offset:32
	ds_load_b128 v[5:8], v17
	ds_load_b128 v[9:12], v17 offset:16
	ds_load_b128 v[13:16], v17 offset:48
	s_waitcnt lgkmcnt(2)
	v_add_nc_u32_e32 v2, v6, v2
	v_add_nc_u32_e32 v1, v5, v1
	v_add_nc_u32_e32 v3, v7, v3
	v_add_nc_u32_e32 v4, v8, v4
	s_waitcnt lgkmcnt(0)
	v_add_nc_u32_e32 v5, v9, v13
	v_add_nc_u32_e32 v6, v10, v14
	v_add_nc_u32_e32 v7, v11, v15
	v_add_nc_u32_e32 v8, v12, v16
	ds_store_b128 v17, v[1:4]
	ds_store_b128 v17, v[5:8] offset:16
.LBB64_47:
	s_or_b32 exec_lo, exec_lo, s1
	s_waitcnt lgkmcnt(0)
	s_barrier
	buffer_gl0_inv
	s_and_saveexec_b32 s0, vcc_lo
	s_cbranch_execz .LBB64_49
; %bb.48:
	v_lshlrev_b32_e32 v1, 2, v0
	v_lshl_or_b32 v0, s15, 3, v0
	ds_load_b32 v2, v1
	v_mov_b32_e32 v1, 0
	s_delay_alu instid0(VALU_DEP_1) | instskip(NEXT) | instid1(VALU_DEP_1)
	v_lshlrev_b64 v[0:1], 2, v[0:1]
	v_add_co_u32 v0, vcc_lo, s2, v0
	s_delay_alu instid0(VALU_DEP_2)
	v_add_co_ci_u32_e32 v1, vcc_lo, s3, v1, vcc_lo
	s_waitcnt lgkmcnt(0)
	global_store_b32 v[0:1], v2, off
.LBB64_49:
	s_nop 0
	s_sendmsg sendmsg(MSG_DEALLOC_VGPRS)
	s_endpgm
	.section	.rodata,"a",@progbits
	.p2align	6, 0x0
	.amdhsa_kernel _ZN9rocsparseL26bsrgemm_group_reduce_part2ILj256ELj8ELj8E21rocsparse_complex_numIdEiiEEvT4_PKT3_PS3_Pi
		.amdhsa_group_segment_fixed_size 8192
		.amdhsa_private_segment_fixed_size 0
		.amdhsa_kernarg_size 288
		.amdhsa_user_sgpr_count 15
		.amdhsa_user_sgpr_dispatch_ptr 0
		.amdhsa_user_sgpr_queue_ptr 0
		.amdhsa_user_sgpr_kernarg_segment_ptr 1
		.amdhsa_user_sgpr_dispatch_id 0
		.amdhsa_user_sgpr_private_segment_size 0
		.amdhsa_wavefront_size32 1
		.amdhsa_uses_dynamic_stack 0
		.amdhsa_enable_private_segment 0
		.amdhsa_system_sgpr_workgroup_id_x 1
		.amdhsa_system_sgpr_workgroup_id_y 0
		.amdhsa_system_sgpr_workgroup_id_z 0
		.amdhsa_system_sgpr_workgroup_info 0
		.amdhsa_system_vgpr_workitem_id 0
		.amdhsa_next_free_vgpr 21
		.amdhsa_next_free_sgpr 18
		.amdhsa_reserve_vcc 1
		.amdhsa_float_round_mode_32 0
		.amdhsa_float_round_mode_16_64 0
		.amdhsa_float_denorm_mode_32 3
		.amdhsa_float_denorm_mode_16_64 3
		.amdhsa_dx10_clamp 1
		.amdhsa_ieee_mode 1
		.amdhsa_fp16_overflow 0
		.amdhsa_workgroup_processor_mode 1
		.amdhsa_memory_ordered 1
		.amdhsa_forward_progress 0
		.amdhsa_shared_vgpr_count 0
		.amdhsa_exception_fp_ieee_invalid_op 0
		.amdhsa_exception_fp_denorm_src 0
		.amdhsa_exception_fp_ieee_div_zero 0
		.amdhsa_exception_fp_ieee_overflow 0
		.amdhsa_exception_fp_ieee_underflow 0
		.amdhsa_exception_fp_ieee_inexact 0
		.amdhsa_exception_int_div_zero 0
	.end_amdhsa_kernel
	.section	.text._ZN9rocsparseL26bsrgemm_group_reduce_part2ILj256ELj8ELj8E21rocsparse_complex_numIdEiiEEvT4_PKT3_PS3_Pi,"axG",@progbits,_ZN9rocsparseL26bsrgemm_group_reduce_part2ILj256ELj8ELj8E21rocsparse_complex_numIdEiiEEvT4_PKT3_PS3_Pi,comdat
.Lfunc_end64:
	.size	_ZN9rocsparseL26bsrgemm_group_reduce_part2ILj256ELj8ELj8E21rocsparse_complex_numIdEiiEEvT4_PKT3_PS3_Pi, .Lfunc_end64-_ZN9rocsparseL26bsrgemm_group_reduce_part2ILj256ELj8ELj8E21rocsparse_complex_numIdEiiEEvT4_PKT3_PS3_Pi
                                        ; -- End function
	.section	.AMDGPU.csdata,"",@progbits
; Kernel info:
; codeLenInByte = 1940
; NumSgprs: 20
; NumVgprs: 21
; ScratchSize: 0
; MemoryBound: 0
; FloatMode: 240
; IeeeMode: 1
; LDSByteSize: 8192 bytes/workgroup (compile time only)
; SGPRBlocks: 2
; VGPRBlocks: 2
; NumSGPRsForWavesPerEU: 20
; NumVGPRsForWavesPerEU: 21
; Occupancy: 16
; WaveLimiterHint : 0
; COMPUTE_PGM_RSRC2:SCRATCH_EN: 0
; COMPUTE_PGM_RSRC2:USER_SGPR: 15
; COMPUTE_PGM_RSRC2:TRAP_HANDLER: 0
; COMPUTE_PGM_RSRC2:TGID_X_EN: 1
; COMPUTE_PGM_RSRC2:TGID_Y_EN: 0
; COMPUTE_PGM_RSRC2:TGID_Z_EN: 0
; COMPUTE_PGM_RSRC2:TIDIG_COMP_CNT: 0
	.section	.text._ZN9rocsparseL27bsrgemm_fill_wf_per_row_2x2ILj256ELj16ELj8ELj137Eii21rocsparse_complex_numIdEEEv20rocsparse_direction_T4_S4_PKS4_S6_NS_24const_host_device_scalarIT5_EEPKT3_S6_PKS8_SC_S6_SE_S9_SC_S6_SE_SC_PS4_PS8_21rocsparse_index_base_SH_SH_SH_bbb,"axG",@progbits,_ZN9rocsparseL27bsrgemm_fill_wf_per_row_2x2ILj256ELj16ELj8ELj137Eii21rocsparse_complex_numIdEEEv20rocsparse_direction_T4_S4_PKS4_S6_NS_24const_host_device_scalarIT5_EEPKT3_S6_PKS8_SC_S6_SE_S9_SC_S6_SE_SC_PS4_PS8_21rocsparse_index_base_SH_SH_SH_bbb,comdat
	.globl	_ZN9rocsparseL27bsrgemm_fill_wf_per_row_2x2ILj256ELj16ELj8ELj137Eii21rocsparse_complex_numIdEEEv20rocsparse_direction_T4_S4_PKS4_S6_NS_24const_host_device_scalarIT5_EEPKT3_S6_PKS8_SC_S6_SE_S9_SC_S6_SE_SC_PS4_PS8_21rocsparse_index_base_SH_SH_SH_bbb ; -- Begin function _ZN9rocsparseL27bsrgemm_fill_wf_per_row_2x2ILj256ELj16ELj8ELj137Eii21rocsparse_complex_numIdEEEv20rocsparse_direction_T4_S4_PKS4_S6_NS_24const_host_device_scalarIT5_EEPKT3_S6_PKS8_SC_S6_SE_S9_SC_S6_SE_SC_PS4_PS8_21rocsparse_index_base_SH_SH_SH_bbb
	.p2align	8
	.type	_ZN9rocsparseL27bsrgemm_fill_wf_per_row_2x2ILj256ELj16ELj8ELj137Eii21rocsparse_complex_numIdEEEv20rocsparse_direction_T4_S4_PKS4_S6_NS_24const_host_device_scalarIT5_EEPKT3_S6_PKS8_SC_S6_SE_S9_SC_S6_SE_SC_PS4_PS8_21rocsparse_index_base_SH_SH_SH_bbb,@function
_ZN9rocsparseL27bsrgemm_fill_wf_per_row_2x2ILj256ELj16ELj8ELj137Eii21rocsparse_complex_numIdEEEv20rocsparse_direction_T4_S4_PKS4_S6_NS_24const_host_device_scalarIT5_EEPKT3_S6_PKS8_SC_S6_SE_S9_SC_S6_SE_SC_PS4_PS8_21rocsparse_index_base_SH_SH_SH_bbb: ; @_ZN9rocsparseL27bsrgemm_fill_wf_per_row_2x2ILj256ELj16ELj8ELj137Eii21rocsparse_complex_numIdEEEv20rocsparse_direction_T4_S4_PKS4_S6_NS_24const_host_device_scalarIT5_EEPKT3_S6_PKS8_SC_S6_SE_S9_SC_S6_SE_SC_PS4_PS8_21rocsparse_index_base_SH_SH_SH_bbb
; %bb.0:
	s_load_b32 s13, s[2:3], 0xb0
	s_load_b64 s[16:17], s[0:1], 0x4
	s_clause 0x1
	s_load_b128 s[8:11], s[2:3], 0x20
	s_load_b128 s[4:7], s[2:3], 0x60
	v_dual_mov_b32 v16, 0 :: v_dual_and_b32 v1, 0x3ff, v0
	v_bfe_u32 v3, v0, 10, 10
	v_mov_b32_e32 v17, 0
	v_bfe_u32 v0, v0, 20, 10
	s_waitcnt lgkmcnt(0)
	s_bitcmp1_b32 s13, 0
	s_cselect_b32 s12, -1, 0
	s_bitcmp1_b32 s13, 16
	v_mov_b32_e32 v4, s4
	s_cselect_b32 s0, -1, 0
	s_lshr_b32 s1, s16, 16
	s_xor_b32 s14, s0, -1
	s_mul_i32 s1, s1, s17
	v_cndmask_b32_e64 v6, 0, 1, s14
	v_mul_lo_u32 v2, s1, v1
	s_bitcmp0_b32 s13, 0
	s_delay_alu instid0(VALU_DEP_2) | instskip(NEXT) | instid1(VALU_DEP_2)
	v_cmp_ne_u32_e32 vcc_lo, 1, v6
	v_mad_u32_u24 v7, v3, s17, v2
	v_dual_mov_b32 v2, s8 :: v_dual_mov_b32 v3, s9
	v_mov_b32_e32 v23, v17
	v_dual_mov_b32 v25, v17 :: v_dual_mov_b32 v24, v16
	v_dual_mov_b32 v5, s5 :: v_dual_mov_b32 v22, v16
	v_add_lshl_u32 v0, v7, v0, 3
	ds_store_2addr_stride64_b64 v0, v[4:5], v[2:3] offset0:17 offset1:21
	s_cbranch_scc1 .LBB65_3
; %bb.1:
	s_mov_b64 s[16:17], src_shared_base
	s_and_b32 s1, s0, exec_lo
	s_cselect_b32 s1, s17, s9
	s_delay_alu instid0(SALU_CYCLE_1) | instskip(SKIP_2) | instid1(VALU_DEP_2)
	v_dual_mov_b32 v3, s1 :: v_dual_add_nc_u32 v2, 0x2a00, v0
	v_dual_mov_b32 v25, s11 :: v_dual_mov_b32 v24, s10
	s_and_b32 vcc_lo, exec_lo, vcc_lo
	v_cndmask_b32_e64 v2, s8, v2, s0
	flat_load_b64 v[22:23], v[2:3]
	s_cbranch_vccnz .LBB65_3
; %bb.2:
	v_dual_mov_b32 v2, s8 :: v_dual_mov_b32 v3, s9
	flat_load_b64 v[24:25], v[2:3] offset:8
.LBB65_3:
	s_load_b128 s[36:39], s[2:3], 0xa0
	s_bitcmp1_b32 s13, 8
	v_dual_mov_b32 v19, v17 :: v_dual_mov_b32 v18, v16
	s_cselect_b32 s1, -1, 0
	s_bfe_u32 s8, s13, 0x10008
	s_delay_alu instid0(SALU_CYCLE_1)
	s_cmp_eq_u32 s8, 0
	s_cbranch_scc1 .LBB65_6
; %bb.4:
	s_mov_b64 s[8:9], src_shared_base
	s_and_b32 s8, s0, exec_lo
	s_cselect_b32 s8, s9, s5
	s_delay_alu instid0(SALU_CYCLE_1) | instskip(SKIP_2) | instid1(VALU_DEP_2)
	v_dual_mov_b32 v3, s8 :: v_dual_add_nc_u32 v0, 0x2200, v0
	v_dual_mov_b32 v17, s7 :: v_dual_mov_b32 v16, s6
	s_and_not1_b32 vcc_lo, exec_lo, s14
	v_cndmask_b32_e64 v2, s4, v0, s0
	flat_load_b64 v[18:19], v[2:3]
	s_cbranch_vccnz .LBB65_6
; %bb.5:
	v_dual_mov_b32 v2, s4 :: v_dual_mov_b32 v3, s5
	flat_load_b64 v[16:17], v[2:3] offset:8
.LBB65_6:
	s_clause 0x4
	s_load_b128 s[40:43], s[2:3], 0x90
	s_load_b256 s[4:11], s[2:3], 0x70
	s_load_b128 s[44:47], s[2:3], 0x50
	s_load_b256 s[16:23], s[2:3], 0x0
	s_load_b256 s[24:31], s[2:3], 0x30
	v_lshrrev_b32_e32 v4, 4, v1
	v_and_b32_e32 v50, 15, v1
	s_delay_alu instid0(VALU_DEP_2) | instskip(NEXT) | instid1(VALU_DEP_2)
	v_lshl_or_b32 v51, v4, 5, 0x2000
	v_cmp_gt_u32_e64 s0, 8, v50
	s_delay_alu instid0(VALU_DEP_1)
	s_and_saveexec_b32 s2, s0
	s_cbranch_execz .LBB65_8
; %bb.7:
	s_delay_alu instid0(VALU_DEP_2)
	v_lshl_add_u32 v0, v50, 2, v51
	s_waitcnt lgkmcnt(0)
	v_mov_b32_e32 v1, s18
	ds_store_b32 v0, v1
.LBB65_8:
	s_or_b32 exec_lo, exec_lo, s2
	v_dual_mov_b32 v0, 0 :: v_dual_lshlrev_b32 v1, 4, v50
	v_or_b32_e32 v5, -16, v50
	s_mov_b32 s2, 0
	s_delay_alu instid0(VALU_DEP_2) | instskip(NEXT) | instid1(VALU_DEP_3)
	v_lshl_or_b32 v6, v4, 9, v1
	v_mov_b32_e32 v1, v0
	v_mov_b32_e32 v2, v0
	;; [unrolled: 1-line block ×3, first 2 shown]
.LBB65_9:                               ; =>This Inner Loop Header: Depth=1
	v_add_co_u32 v5, s3, v5, 16
	s_delay_alu instid0(VALU_DEP_1) | instskip(SKIP_3) | instid1(SALU_CYCLE_1)
	s_xor_b32 s3, s3, -1
	ds_store_b128 v6, v[0:3]
	v_add_nc_u32_e32 v6, 0x100, v6
	s_and_b32 s3, exec_lo, s3
	s_or_b32 s2, s3, s2
	s_delay_alu instid0(SALU_CYCLE_1)
	s_and_not1_b32 exec_lo, exec_lo, s2
	s_cbranch_execnz .LBB65_9
; %bb.10:
	s_or_b32 exec_lo, exec_lo, s2
	v_lshl_or_b32 v20, s15, 4, v4
	s_waitcnt vmcnt(0) lgkmcnt(0)
	s_barrier
	buffer_gl0_inv
	s_mov_b32 s2, exec_lo
	v_cmpx_gt_i32_e64 s17, v20
	s_cbranch_execz .LBB65_16
; %bb.11:
	s_cmp_eq_u64 s[22:23], 0
	s_cbranch_scc1 .LBB65_13
; %bb.12:
	s_load_b32 s2, s[20:21], 0x0
	s_waitcnt lgkmcnt(0)
	v_add_nc_u32_e32 v0, s2, v20
	s_delay_alu instid0(VALU_DEP_1) | instskip(NEXT) | instid1(VALU_DEP_1)
	v_ashrrev_i32_e32 v1, 31, v0
	v_lshlrev_b64 v[0:1], 2, v[0:1]
	s_delay_alu instid0(VALU_DEP_1) | instskip(NEXT) | instid1(VALU_DEP_2)
	v_add_co_u32 v0, vcc_lo, s22, v0
	v_add_co_ci_u32_e32 v1, vcc_lo, s23, v1, vcc_lo
	global_load_b32 v20, v[0:1], off
.LBB65_13:
	v_lshlrev_b32_e32 v52, 9, v4
	s_waitcnt vmcnt(0)
	v_ashrrev_i32_e32 v21, 31, v20
	s_and_not1_b32 vcc_lo, exec_lo, s12
	s_cbranch_vccz .LBB65_17
; %bb.14:
	s_and_not1_b32 vcc_lo, exec_lo, s1
	buffer_gl0_inv
	s_cbranch_vccz .LBB65_104
.LBB65_15:
	buffer_gl0_inv
	s_and_b32 exec_lo, exec_lo, s0
	s_cbranch_execnz .LBB65_188
.LBB65_16:
	s_endpgm
.LBB65_17:
	s_delay_alu instid0(VALU_DEP_1) | instskip(SKIP_2) | instid1(VALU_DEP_2)
	v_lshlrev_b64 v[0:1], 2, v[20:21]
	v_subrev_nc_u32_e32 v2, s36, v50
	s_mov_b32 s2, exec_lo
	v_add_co_u32 v0, vcc_lo, s24, v0
	s_delay_alu instid0(VALU_DEP_3) | instskip(SKIP_4) | instid1(VALU_DEP_1)
	v_add_co_ci_u32_e32 v1, vcc_lo, s25, v1, vcc_lo
	global_load_b64 v[0:1], v[0:1], off
	s_waitcnt vmcnt(0)
	v_subrev_nc_u32_e32 v53, s36, v1
	v_add_nc_u32_e32 v26, v0, v2
	v_cmpx_lt_i32_e64 v26, v53
	s_cbranch_execz .LBB65_103
; %bb.18:
	v_add_nc_u32_e32 v54, 16, v52
	v_add_nc_u32_e32 v55, 32, v52
	v_add_nc_u32_e32 v56, 48, v52
	s_cmp_eq_u32 s16, 0
	s_mov_b32 s3, 0
	s_cselect_b32 s12, 1, 2
	s_cselect_b32 s13, 2, 1
	s_branch .LBB65_20
.LBB65_19:                              ;   in Loop: Header=BB65_20 Depth=1
	s_or_b32 exec_lo, exec_lo, s14
	v_add_nc_u32_e32 v26, 16, v26
	s_delay_alu instid0(VALU_DEP_1) | instskip(SKIP_1) | instid1(SALU_CYCLE_1)
	v_cmp_ge_i32_e32 vcc_lo, v26, v53
	s_or_b32 s3, vcc_lo, s3
	s_and_not1_b32 exec_lo, exec_lo, s3
	s_cbranch_execz .LBB65_103
.LBB65_20:                              ; =>This Loop Header: Depth=1
                                        ;     Child Loop BB65_23 Depth 2
                                        ;       Child Loop BB65_25 Depth 3
                                        ;         Child Loop BB65_31 Depth 4
                                        ;         Child Loop BB65_33 Depth 4
                                        ;         Child Loop BB65_39 Depth 4
                                        ;         Child Loop BB65_41 Depth 4
                                        ;       Child Loop BB65_45 Depth 3
                                        ;         Child Loop BB65_51 Depth 4
                                        ;         Child Loop BB65_53 Depth 4
                                        ;         Child Loop BB65_59 Depth 4
                                        ;         Child Loop BB65_61 Depth 4
                                        ;       Child Loop BB65_65 Depth 3
                                        ;         Child Loop BB65_71 Depth 4
                                        ;         Child Loop BB65_73 Depth 4
                                        ;         Child Loop BB65_79 Depth 4
                                        ;         Child Loop BB65_81 Depth 4
                                        ;       Child Loop BB65_85 Depth 3
                                        ;         Child Loop BB65_91 Depth 4
                                        ;         Child Loop BB65_93 Depth 4
                                        ;         Child Loop BB65_99 Depth 4
                                        ;         Child Loop BB65_101 Depth 4
	v_ashrrev_i32_e32 v27, 31, v26
	s_mov_b32 s14, exec_lo
	s_delay_alu instid0(VALU_DEP_1) | instskip(NEXT) | instid1(VALU_DEP_1)
	v_lshlrev_b64 v[0:1], 2, v[26:27]
	v_add_co_u32 v0, vcc_lo, s26, v0
	s_delay_alu instid0(VALU_DEP_2) | instskip(SKIP_3) | instid1(VALU_DEP_1)
	v_add_co_ci_u32_e32 v1, vcc_lo, s27, v1, vcc_lo
	global_load_b32 v0, v[0:1], off
	s_waitcnt vmcnt(0)
	v_subrev_nc_u32_e32 v0, s36, v0
	v_ashrrev_i32_e32 v1, 31, v0
	s_delay_alu instid0(VALU_DEP_1) | instskip(NEXT) | instid1(VALU_DEP_1)
	v_lshlrev_b64 v[0:1], 2, v[0:1]
	v_add_co_u32 v0, vcc_lo, s30, v0
	s_delay_alu instid0(VALU_DEP_2)
	v_add_co_ci_u32_e32 v1, vcc_lo, s31, v1, vcc_lo
	global_load_b64 v[0:1], v[0:1], off
	s_waitcnt vmcnt(0)
	v_cmpx_lt_i32_e64 v0, v1
	s_cbranch_execz .LBB65_19
; %bb.21:                               ;   in Loop: Header=BB65_20 Depth=1
	v_lshlrev_b32_e32 v2, 2, v26
	v_subrev_nc_u32_e32 v57, s37, v1
	s_mov_b32 s15, 0
	s_delay_alu instid0(VALU_DEP_2) | instskip(SKIP_2) | instid1(VALU_DEP_3)
	v_or_b32_e32 v4, s12, v2
	v_ashrrev_i32_e32 v3, 31, v2
	v_or_b32_e32 v6, s13, v2
	v_ashrrev_i32_e32 v5, 31, v4
	s_delay_alu instid0(VALU_DEP_3) | instskip(NEXT) | instid1(VALU_DEP_3)
	v_lshlrev_b64 v[2:3], 4, v[2:3]
	v_ashrrev_i32_e32 v7, 31, v6
	s_delay_alu instid0(VALU_DEP_3) | instskip(NEXT) | instid1(VALU_DEP_3)
	v_lshlrev_b64 v[10:11], 4, v[4:5]
	v_add_co_u32 v8, vcc_lo, s28, v2
	s_delay_alu instid0(VALU_DEP_3) | instskip(SKIP_1) | instid1(VALU_DEP_4)
	v_lshlrev_b64 v[6:7], 4, v[6:7]
	v_add_co_ci_u32_e32 v9, vcc_lo, s29, v3, vcc_lo
	v_add_co_u32 v10, vcc_lo, s28, v10
	v_add_co_ci_u32_e32 v11, vcc_lo, s29, v11, vcc_lo
	s_delay_alu instid0(VALU_DEP_4)
	v_add_co_u32 v14, vcc_lo, s28, v6
	v_add_co_ci_u32_e32 v15, vcc_lo, s29, v7, vcc_lo
	s_clause 0x3
	global_load_b128 v[2:5], v[8:9], off
	global_load_b128 v[6:9], v[8:9], off offset:48
	global_load_b128 v[10:13], v[10:11], off
	global_load_b128 v[41:44], v[14:15], off
	s_waitcnt vmcnt(2)
	v_mul_f64 v[31:32], v[8:9], -v[24:25]
	v_mul_f64 v[14:15], v[4:5], -v[24:25]
	v_mul_f64 v[4:5], v[22:23], v[4:5]
	v_mul_f64 v[8:9], v[22:23], v[8:9]
	s_waitcnt vmcnt(1)
	v_mul_f64 v[35:36], v[12:13], -v[24:25]
	v_mul_f64 v[12:13], v[22:23], v[12:13]
	s_waitcnt vmcnt(0)
	v_mul_f64 v[39:40], v[43:44], -v[24:25]
	v_mul_f64 v[43:44], v[22:23], v[43:44]
	v_fma_f64 v[31:32], v[22:23], v[6:7], v[31:32]
	v_fma_f64 v[27:28], v[22:23], v[2:3], v[14:15]
	;; [unrolled: 1-line block ×8, first 2 shown]
	v_subrev_nc_u32_e32 v43, s37, v0
	s_branch .LBB65_23
.LBB65_22:                              ;   in Loop: Header=BB65_23 Depth=2
	s_or_b32 exec_lo, exec_lo, s17
	v_add_nc_u32_e32 v43, 1, v43
	s_delay_alu instid0(VALU_DEP_1) | instskip(SKIP_1) | instid1(SALU_CYCLE_1)
	v_cmp_ge_i32_e32 vcc_lo, v43, v57
	s_or_b32 s15, vcc_lo, s15
	s_and_not1_b32 exec_lo, exec_lo, s15
	s_cbranch_execz .LBB65_19
.LBB65_23:                              ;   Parent Loop BB65_20 Depth=1
                                        ; =>  This Loop Header: Depth=2
                                        ;       Child Loop BB65_25 Depth 3
                                        ;         Child Loop BB65_31 Depth 4
                                        ;         Child Loop BB65_33 Depth 4
                                        ;         Child Loop BB65_39 Depth 4
                                        ;         Child Loop BB65_41 Depth 4
                                        ;       Child Loop BB65_45 Depth 3
                                        ;         Child Loop BB65_51 Depth 4
                                        ;         Child Loop BB65_53 Depth 4
                                        ;         Child Loop BB65_59 Depth 4
                                        ;         Child Loop BB65_61 Depth 4
	;; [unrolled: 5-line block ×4, first 2 shown]
	s_delay_alu instid0(VALU_DEP_1) | instskip(SKIP_2) | instid1(VALU_DEP_2)
	v_lshlrev_b32_e32 v0, 2, v43
	v_ashrrev_i32_e32 v44, 31, v43
	s_mov_b32 s17, 0
	v_or_b32_e32 v1, s13, v0
	s_delay_alu instid0(VALU_DEP_1) | instskip(NEXT) | instid1(VALU_DEP_1)
	v_ashrrev_i32_e32 v2, 31, v1
	v_lshlrev_b64 v[1:2], 4, v[1:2]
	s_delay_alu instid0(VALU_DEP_1) | instskip(NEXT) | instid1(VALU_DEP_2)
	v_add_co_u32 v1, vcc_lo, s46, v1
	v_add_co_ci_u32_e32 v2, vcc_lo, s47, v2, vcc_lo
	global_load_b128 v[12:15], v[1:2], off
	v_ashrrev_i32_e32 v1, 31, v0
	s_delay_alu instid0(VALU_DEP_1) | instskip(SKIP_1) | instid1(VALU_DEP_2)
	v_lshlrev_b64 v[1:2], 4, v[0:1]
	v_or_b32_e32 v0, s12, v0
	v_add_co_u32 v4, vcc_lo, s46, v1
	s_delay_alu instid0(VALU_DEP_3)
	v_add_co_ci_u32_e32 v5, vcc_lo, s47, v2, vcc_lo
	v_lshlrev_b64 v[1:2], 2, v[43:44]
	global_load_b128 v[8:11], v[4:5], off
	v_add_co_u32 v6, vcc_lo, s44, v1
	v_add_co_ci_u32_e32 v7, vcc_lo, s45, v2, vcc_lo
	v_ashrrev_i32_e32 v1, 31, v0
	global_load_b32 v48, v[6:7], off
	v_lshlrev_b64 v[0:1], 4, v[0:1]
	s_delay_alu instid0(VALU_DEP_1) | instskip(NEXT) | instid1(VALU_DEP_2)
	v_add_co_u32 v0, vcc_lo, s46, v0
	v_add_co_ci_u32_e32 v1, vcc_lo, s47, v1, vcc_lo
	s_clause 0x1
	global_load_b128 v[0:3], v[0:1], off
	global_load_b128 v[4:7], v[4:5], off offset:48
	s_waitcnt vmcnt(4)
	v_mul_f64 v[44:45], v[14:15], -v[37:38]
	v_mul_f64 v[46:47], v[35:36], v[14:15]
	s_waitcnt vmcnt(2)
	v_subrev_nc_u32_e32 v58, s37, v48
	s_delay_alu instid0(VALU_DEP_1) | instskip(NEXT) | instid1(VALU_DEP_4)
	v_and_b32_e32 v59, 7, v58
	v_fma_f64 v[44:45], v[35:36], v[12:13], v[44:45]
	s_delay_alu instid0(VALU_DEP_4) | instskip(NEXT) | instid1(VALU_DEP_3)
	v_fma_f64 v[46:47], v[37:38], v[12:13], v[46:47]
	v_mov_b32_e32 v60, v59
	s_delay_alu instid0(VALU_DEP_3) | instskip(NEXT) | instid1(VALU_DEP_3)
	v_fma_f64 v[44:45], v[27:28], v[8:9], v[44:45]
	v_fma_f64 v[46:47], v[29:30], v[8:9], v[46:47]
	s_delay_alu instid0(VALU_DEP_2) | instskip(NEXT) | instid1(VALU_DEP_2)
	v_fma_f64 v[44:45], -v[29:30], v[10:11], v[44:45]
	v_fma_f64 v[46:47], v[27:28], v[10:11], v[46:47]
	s_branch .LBB65_25
.LBB65_24:                              ;   in Loop: Header=BB65_25 Depth=3
	s_or_b32 exec_lo, exec_lo, s19
	s_xor_b32 s19, s20, -1
	s_delay_alu instid0(SALU_CYCLE_1) | instskip(NEXT) | instid1(SALU_CYCLE_1)
	s_and_b32 s19, exec_lo, s19
	s_or_b32 s17, s19, s17
	s_delay_alu instid0(SALU_CYCLE_1)
	s_and_not1_b32 exec_lo, exec_lo, s17
	s_cbranch_execz .LBB65_43
.LBB65_25:                              ;   Parent Loop BB65_20 Depth=1
                                        ;     Parent Loop BB65_23 Depth=2
                                        ; =>    This Loop Header: Depth=3
                                        ;         Child Loop BB65_31 Depth 4
                                        ;         Child Loop BB65_33 Depth 4
	;; [unrolled: 1-line block ×4, first 2 shown]
	v_lshl_add_u32 v48, v60, 2, v51
	s_mov_b32 s19, exec_lo
                                        ; implicit-def: $sgpr20
	ds_load_b32 v49, v48
	s_waitcnt lgkmcnt(0)
	v_cmpx_ne_u32_e64 v49, v58
	s_xor_b32 s19, exec_lo, s19
	s_cbranch_execz .LBB65_37
; %bb.26:                               ;   in Loop: Header=BB65_25 Depth=3
	s_mov_b32 s21, exec_lo
                                        ; implicit-def: $sgpr20
	v_cmpx_ne_u32_e64 s18, v49
	s_xor_b32 s21, exec_lo, s21
; %bb.27:                               ;   in Loop: Header=BB65_25 Depth=3
	v_add_nc_u32_e32 v48, 1, v60
	s_mov_b32 s20, -1
	s_delay_alu instid0(VALU_DEP_1)
	v_and_b32_e32 v60, 7, v48
                                        ; implicit-def: $vgpr48
; %bb.28:                               ;   in Loop: Header=BB65_25 Depth=3
	s_and_not1_saveexec_b32 s21, s21
	s_cbranch_execz .LBB65_36
; %bb.29:                               ;   in Loop: Header=BB65_25 Depth=3
	v_mov_b32_e32 v49, s18
	s_mov_b32 s23, -1
	s_mov_b32 s22, exec_lo
	ds_cmpstore_rtn_b32 v48, v48, v58, v49
	s_waitcnt lgkmcnt(0)
	v_cmpx_eq_u32_e64 s18, v48
	s_cbranch_execz .LBB65_35
; %bb.30:                               ;   in Loop: Header=BB65_25 Depth=3
	v_lshlrev_b32_e32 v48, 6, v60
	s_mov_b32 s23, 0
	s_delay_alu instid0(VALU_DEP_1)
	v_add_nc_u32_e32 v61, v52, v48
	ds_load_b64 v[48:49], v61
.LBB65_31:                              ;   Parent Loop BB65_20 Depth=1
                                        ;     Parent Loop BB65_23 Depth=2
                                        ;       Parent Loop BB65_25 Depth=3
                                        ; =>      This Inner Loop Header: Depth=4
	s_waitcnt lgkmcnt(0)
	v_add_f64 v[62:63], v[48:49], v[44:45]
	ds_cmpstore_rtn_b64 v[62:63], v61, v[62:63], v[48:49]
	s_waitcnt lgkmcnt(0)
	v_cmp_eq_u64_e32 vcc_lo, v[62:63], v[48:49]
	v_dual_mov_b32 v48, v62 :: v_dual_mov_b32 v49, v63
	s_or_b32 s23, vcc_lo, s23
	s_delay_alu instid0(SALU_CYCLE_1)
	s_and_not1_b32 exec_lo, exec_lo, s23
	s_cbranch_execnz .LBB65_31
; %bb.32:                               ;   in Loop: Header=BB65_25 Depth=3
	s_or_b32 exec_lo, exec_lo, s23
	ds_load_b64 v[48:49], v61 offset:8
	s_mov_b32 s23, 0
.LBB65_33:                              ;   Parent Loop BB65_20 Depth=1
                                        ;     Parent Loop BB65_23 Depth=2
                                        ;       Parent Loop BB65_25 Depth=3
                                        ; =>      This Inner Loop Header: Depth=4
	s_waitcnt lgkmcnt(0)
	v_add_f64 v[62:63], v[48:49], v[46:47]
	ds_cmpstore_rtn_b64 v[62:63], v61, v[62:63], v[48:49] offset:8
	s_waitcnt lgkmcnt(0)
	v_cmp_eq_u64_e32 vcc_lo, v[62:63], v[48:49]
	v_dual_mov_b32 v48, v62 :: v_dual_mov_b32 v49, v63
	s_or_b32 s23, vcc_lo, s23
	s_delay_alu instid0(SALU_CYCLE_1)
	s_and_not1_b32 exec_lo, exec_lo, s23
	s_cbranch_execnz .LBB65_33
; %bb.34:                               ;   in Loop: Header=BB65_25 Depth=3
	s_or_b32 exec_lo, exec_lo, s23
	s_delay_alu instid0(SALU_CYCLE_1)
	s_xor_b32 s23, exec_lo, -1
.LBB65_35:                              ;   in Loop: Header=BB65_25 Depth=3
	s_or_b32 exec_lo, exec_lo, s22
	s_delay_alu instid0(SALU_CYCLE_1) | instskip(SKIP_1) | instid1(SALU_CYCLE_1)
	s_and_not1_b32 s20, s20, exec_lo
	s_and_b32 s22, s23, exec_lo
	s_or_b32 s20, s20, s22
.LBB65_36:                              ;   in Loop: Header=BB65_25 Depth=3
	s_or_b32 exec_lo, exec_lo, s21
	s_delay_alu instid0(SALU_CYCLE_1)
	s_and_b32 s20, s20, exec_lo
.LBB65_37:                              ;   in Loop: Header=BB65_25 Depth=3
	s_and_not1_saveexec_b32 s19, s19
	s_cbranch_execz .LBB65_24
; %bb.38:                               ;   in Loop: Header=BB65_25 Depth=3
	v_lshlrev_b32_e32 v48, 6, v60
	s_mov_b32 s21, 0
	s_delay_alu instid0(VALU_DEP_1)
	v_add_nc_u32_e32 v61, v52, v48
	ds_load_b64 v[48:49], v61
.LBB65_39:                              ;   Parent Loop BB65_20 Depth=1
                                        ;     Parent Loop BB65_23 Depth=2
                                        ;       Parent Loop BB65_25 Depth=3
                                        ; =>      This Inner Loop Header: Depth=4
	s_waitcnt lgkmcnt(0)
	v_add_f64 v[62:63], v[48:49], v[44:45]
	ds_cmpstore_rtn_b64 v[62:63], v61, v[62:63], v[48:49]
	s_waitcnt lgkmcnt(0)
	v_cmp_eq_u64_e32 vcc_lo, v[62:63], v[48:49]
	v_dual_mov_b32 v48, v62 :: v_dual_mov_b32 v49, v63
	s_or_b32 s21, vcc_lo, s21
	s_delay_alu instid0(SALU_CYCLE_1)
	s_and_not1_b32 exec_lo, exec_lo, s21
	s_cbranch_execnz .LBB65_39
; %bb.40:                               ;   in Loop: Header=BB65_25 Depth=3
	s_or_b32 exec_lo, exec_lo, s21
	ds_load_b64 v[48:49], v61 offset:8
	s_mov_b32 s21, 0
.LBB65_41:                              ;   Parent Loop BB65_20 Depth=1
                                        ;     Parent Loop BB65_23 Depth=2
                                        ;       Parent Loop BB65_25 Depth=3
                                        ; =>      This Inner Loop Header: Depth=4
	s_waitcnt lgkmcnt(0)
	v_add_f64 v[62:63], v[48:49], v[46:47]
	ds_cmpstore_rtn_b64 v[62:63], v61, v[62:63], v[48:49] offset:8
	s_waitcnt lgkmcnt(0)
	v_cmp_eq_u64_e32 vcc_lo, v[62:63], v[48:49]
	v_dual_mov_b32 v48, v62 :: v_dual_mov_b32 v49, v63
	s_or_b32 s21, vcc_lo, s21
	s_delay_alu instid0(SALU_CYCLE_1)
	s_and_not1_b32 exec_lo, exec_lo, s21
	s_cbranch_execnz .LBB65_41
; %bb.42:                               ;   in Loop: Header=BB65_25 Depth=3
	s_or_b32 exec_lo, exec_lo, s21
	s_delay_alu instid0(SALU_CYCLE_1)
	s_and_not1_b32 s20, s20, exec_lo
	s_branch .LBB65_24
.LBB65_43:                              ;   in Loop: Header=BB65_23 Depth=2
	s_or_b32 exec_lo, exec_lo, s17
	s_waitcnt vmcnt(0)
	v_mul_f64 v[44:45], v[6:7], -v[37:38]
	v_mul_f64 v[46:47], v[35:36], v[6:7]
	v_mov_b32_e32 v60, v59
	s_mov_b32 s17, 0
	s_delay_alu instid0(VALU_DEP_3) | instskip(NEXT) | instid1(VALU_DEP_3)
	v_fma_f64 v[44:45], v[35:36], v[4:5], v[44:45]
	v_fma_f64 v[46:47], v[37:38], v[4:5], v[46:47]
	s_delay_alu instid0(VALU_DEP_2) | instskip(NEXT) | instid1(VALU_DEP_2)
	v_fma_f64 v[44:45], v[27:28], v[0:1], v[44:45]
	v_fma_f64 v[46:47], v[29:30], v[0:1], v[46:47]
	s_delay_alu instid0(VALU_DEP_2) | instskip(NEXT) | instid1(VALU_DEP_2)
	v_fma_f64 v[44:45], -v[29:30], v[2:3], v[44:45]
	v_fma_f64 v[46:47], v[27:28], v[2:3], v[46:47]
	s_branch .LBB65_45
.LBB65_44:                              ;   in Loop: Header=BB65_45 Depth=3
	s_or_b32 exec_lo, exec_lo, s19
	s_xor_b32 s19, s20, -1
	s_delay_alu instid0(SALU_CYCLE_1) | instskip(NEXT) | instid1(SALU_CYCLE_1)
	s_and_b32 s19, exec_lo, s19
	s_or_b32 s17, s19, s17
	s_delay_alu instid0(SALU_CYCLE_1)
	s_and_not1_b32 exec_lo, exec_lo, s17
	s_cbranch_execz .LBB65_63
.LBB65_45:                              ;   Parent Loop BB65_20 Depth=1
                                        ;     Parent Loop BB65_23 Depth=2
                                        ; =>    This Loop Header: Depth=3
                                        ;         Child Loop BB65_51 Depth 4
                                        ;         Child Loop BB65_53 Depth 4
	;; [unrolled: 1-line block ×4, first 2 shown]
	v_lshl_add_u32 v48, v60, 2, v51
	s_mov_b32 s19, exec_lo
                                        ; implicit-def: $sgpr20
	ds_load_b32 v49, v48
	s_waitcnt lgkmcnt(0)
	v_cmpx_ne_u32_e64 v49, v58
	s_xor_b32 s19, exec_lo, s19
	s_cbranch_execz .LBB65_57
; %bb.46:                               ;   in Loop: Header=BB65_45 Depth=3
	s_mov_b32 s21, exec_lo
                                        ; implicit-def: $sgpr20
	v_cmpx_ne_u32_e64 s18, v49
	s_xor_b32 s21, exec_lo, s21
; %bb.47:                               ;   in Loop: Header=BB65_45 Depth=3
	v_add_nc_u32_e32 v48, 1, v60
	s_mov_b32 s20, -1
	s_delay_alu instid0(VALU_DEP_1)
	v_and_b32_e32 v60, 7, v48
                                        ; implicit-def: $vgpr48
; %bb.48:                               ;   in Loop: Header=BB65_45 Depth=3
	s_and_not1_saveexec_b32 s21, s21
	s_cbranch_execz .LBB65_56
; %bb.49:                               ;   in Loop: Header=BB65_45 Depth=3
	v_mov_b32_e32 v49, s18
	s_mov_b32 s23, -1
	s_mov_b32 s22, exec_lo
	ds_cmpstore_rtn_b32 v48, v48, v58, v49
	s_waitcnt lgkmcnt(0)
	v_cmpx_eq_u32_e64 s18, v48
	s_cbranch_execz .LBB65_55
; %bb.50:                               ;   in Loop: Header=BB65_45 Depth=3
	v_lshl_add_u32 v61, v60, 6, v54
	s_mov_b32 s23, 0
	ds_load_b64 v[48:49], v61
.LBB65_51:                              ;   Parent Loop BB65_20 Depth=1
                                        ;     Parent Loop BB65_23 Depth=2
                                        ;       Parent Loop BB65_45 Depth=3
                                        ; =>      This Inner Loop Header: Depth=4
	s_waitcnt lgkmcnt(0)
	v_add_f64 v[62:63], v[48:49], v[44:45]
	ds_cmpstore_rtn_b64 v[62:63], v61, v[62:63], v[48:49]
	s_waitcnt lgkmcnt(0)
	v_cmp_eq_u64_e32 vcc_lo, v[62:63], v[48:49]
	v_dual_mov_b32 v48, v62 :: v_dual_mov_b32 v49, v63
	s_or_b32 s23, vcc_lo, s23
	s_delay_alu instid0(SALU_CYCLE_1)
	s_and_not1_b32 exec_lo, exec_lo, s23
	s_cbranch_execnz .LBB65_51
; %bb.52:                               ;   in Loop: Header=BB65_45 Depth=3
	s_or_b32 exec_lo, exec_lo, s23
	ds_load_b64 v[48:49], v61 offset:8
	s_mov_b32 s23, 0
.LBB65_53:                              ;   Parent Loop BB65_20 Depth=1
                                        ;     Parent Loop BB65_23 Depth=2
                                        ;       Parent Loop BB65_45 Depth=3
                                        ; =>      This Inner Loop Header: Depth=4
	s_waitcnt lgkmcnt(0)
	v_add_f64 v[62:63], v[48:49], v[46:47]
	ds_cmpstore_rtn_b64 v[62:63], v61, v[62:63], v[48:49] offset:8
	s_waitcnt lgkmcnt(0)
	v_cmp_eq_u64_e32 vcc_lo, v[62:63], v[48:49]
	v_dual_mov_b32 v48, v62 :: v_dual_mov_b32 v49, v63
	s_or_b32 s23, vcc_lo, s23
	s_delay_alu instid0(SALU_CYCLE_1)
	s_and_not1_b32 exec_lo, exec_lo, s23
	s_cbranch_execnz .LBB65_53
; %bb.54:                               ;   in Loop: Header=BB65_45 Depth=3
	s_or_b32 exec_lo, exec_lo, s23
	s_delay_alu instid0(SALU_CYCLE_1)
	s_xor_b32 s23, exec_lo, -1
.LBB65_55:                              ;   in Loop: Header=BB65_45 Depth=3
	s_or_b32 exec_lo, exec_lo, s22
	s_delay_alu instid0(SALU_CYCLE_1) | instskip(SKIP_1) | instid1(SALU_CYCLE_1)
	s_and_not1_b32 s20, s20, exec_lo
	s_and_b32 s22, s23, exec_lo
	s_or_b32 s20, s20, s22
.LBB65_56:                              ;   in Loop: Header=BB65_45 Depth=3
	s_or_b32 exec_lo, exec_lo, s21
	s_delay_alu instid0(SALU_CYCLE_1)
	s_and_b32 s20, s20, exec_lo
.LBB65_57:                              ;   in Loop: Header=BB65_45 Depth=3
	s_and_not1_saveexec_b32 s19, s19
	s_cbranch_execz .LBB65_44
; %bb.58:                               ;   in Loop: Header=BB65_45 Depth=3
	v_lshl_add_u32 v61, v60, 6, v54
	s_mov_b32 s21, 0
	ds_load_b64 v[48:49], v61
.LBB65_59:                              ;   Parent Loop BB65_20 Depth=1
                                        ;     Parent Loop BB65_23 Depth=2
                                        ;       Parent Loop BB65_45 Depth=3
                                        ; =>      This Inner Loop Header: Depth=4
	s_waitcnt lgkmcnt(0)
	v_add_f64 v[62:63], v[48:49], v[44:45]
	ds_cmpstore_rtn_b64 v[62:63], v61, v[62:63], v[48:49]
	s_waitcnt lgkmcnt(0)
	v_cmp_eq_u64_e32 vcc_lo, v[62:63], v[48:49]
	v_dual_mov_b32 v48, v62 :: v_dual_mov_b32 v49, v63
	s_or_b32 s21, vcc_lo, s21
	s_delay_alu instid0(SALU_CYCLE_1)
	s_and_not1_b32 exec_lo, exec_lo, s21
	s_cbranch_execnz .LBB65_59
; %bb.60:                               ;   in Loop: Header=BB65_45 Depth=3
	s_or_b32 exec_lo, exec_lo, s21
	ds_load_b64 v[48:49], v61 offset:8
	s_mov_b32 s21, 0
.LBB65_61:                              ;   Parent Loop BB65_20 Depth=1
                                        ;     Parent Loop BB65_23 Depth=2
                                        ;       Parent Loop BB65_45 Depth=3
                                        ; =>      This Inner Loop Header: Depth=4
	s_waitcnt lgkmcnt(0)
	v_add_f64 v[62:63], v[48:49], v[46:47]
	ds_cmpstore_rtn_b64 v[62:63], v61, v[62:63], v[48:49] offset:8
	s_waitcnt lgkmcnt(0)
	v_cmp_eq_u64_e32 vcc_lo, v[62:63], v[48:49]
	v_dual_mov_b32 v48, v62 :: v_dual_mov_b32 v49, v63
	s_or_b32 s21, vcc_lo, s21
	s_delay_alu instid0(SALU_CYCLE_1)
	s_and_not1_b32 exec_lo, exec_lo, s21
	s_cbranch_execnz .LBB65_61
; %bb.62:                               ;   in Loop: Header=BB65_45 Depth=3
	s_or_b32 exec_lo, exec_lo, s21
	s_delay_alu instid0(SALU_CYCLE_1)
	s_and_not1_b32 s20, s20, exec_lo
	s_branch .LBB65_44
.LBB65_63:                              ;   in Loop: Header=BB65_23 Depth=2
	s_or_b32 exec_lo, exec_lo, s17
	v_mul_f64 v[44:45], v[14:15], -v[33:34]
	v_mul_f64 v[14:15], v[31:32], v[14:15]
	s_mov_b32 s17, 0
	s_delay_alu instid0(VALU_DEP_2) | instskip(NEXT) | instid1(VALU_DEP_2)
	v_fma_f64 v[44:45], v[31:32], v[12:13], v[44:45]
	v_fma_f64 v[12:13], v[33:34], v[12:13], v[14:15]
	s_delay_alu instid0(VALU_DEP_2) | instskip(NEXT) | instid1(VALU_DEP_2)
	v_fma_f64 v[14:15], v[39:40], v[8:9], v[44:45]
	v_fma_f64 v[12:13], v[41:42], v[8:9], v[12:13]
	s_delay_alu instid0(VALU_DEP_2) | instskip(NEXT) | instid1(VALU_DEP_2)
	v_fma_f64 v[8:9], -v[41:42], v[10:11], v[14:15]
	v_fma_f64 v[10:11], v[39:40], v[10:11], v[12:13]
	v_mov_b32_e32 v14, v59
	s_branch .LBB65_65
.LBB65_64:                              ;   in Loop: Header=BB65_65 Depth=3
	s_or_b32 exec_lo, exec_lo, s19
	s_xor_b32 s19, s20, -1
	s_delay_alu instid0(SALU_CYCLE_1) | instskip(NEXT) | instid1(SALU_CYCLE_1)
	s_and_b32 s19, exec_lo, s19
	s_or_b32 s17, s19, s17
	s_delay_alu instid0(SALU_CYCLE_1)
	s_and_not1_b32 exec_lo, exec_lo, s17
	s_cbranch_execz .LBB65_83
.LBB65_65:                              ;   Parent Loop BB65_20 Depth=1
                                        ;     Parent Loop BB65_23 Depth=2
                                        ; =>    This Loop Header: Depth=3
                                        ;         Child Loop BB65_71 Depth 4
                                        ;         Child Loop BB65_73 Depth 4
	;; [unrolled: 1-line block ×4, first 2 shown]
	s_delay_alu instid0(VALU_DEP_1)
	v_lshl_add_u32 v12, v14, 2, v51
	s_mov_b32 s19, exec_lo
                                        ; implicit-def: $sgpr20
	ds_load_b32 v13, v12
	s_waitcnt lgkmcnt(0)
	v_cmpx_ne_u32_e64 v13, v58
	s_xor_b32 s19, exec_lo, s19
	s_cbranch_execz .LBB65_77
; %bb.66:                               ;   in Loop: Header=BB65_65 Depth=3
	s_mov_b32 s21, exec_lo
                                        ; implicit-def: $sgpr20
	v_cmpx_ne_u32_e64 s18, v13
	s_xor_b32 s21, exec_lo, s21
; %bb.67:                               ;   in Loop: Header=BB65_65 Depth=3
	v_add_nc_u32_e32 v12, 1, v14
	s_mov_b32 s20, -1
	s_delay_alu instid0(VALU_DEP_1)
	v_and_b32_e32 v14, 7, v12
                                        ; implicit-def: $vgpr12
; %bb.68:                               ;   in Loop: Header=BB65_65 Depth=3
	s_and_not1_saveexec_b32 s21, s21
	s_cbranch_execz .LBB65_76
; %bb.69:                               ;   in Loop: Header=BB65_65 Depth=3
	v_mov_b32_e32 v13, s18
	s_mov_b32 s23, -1
	s_mov_b32 s22, exec_lo
	ds_cmpstore_rtn_b32 v12, v12, v58, v13
	s_waitcnt lgkmcnt(0)
	v_cmpx_eq_u32_e64 s18, v12
	s_cbranch_execz .LBB65_75
; %bb.70:                               ;   in Loop: Header=BB65_65 Depth=3
	v_lshl_add_u32 v15, v14, 6, v55
	s_mov_b32 s23, 0
	ds_load_b64 v[12:13], v15
.LBB65_71:                              ;   Parent Loop BB65_20 Depth=1
                                        ;     Parent Loop BB65_23 Depth=2
                                        ;       Parent Loop BB65_65 Depth=3
                                        ; =>      This Inner Loop Header: Depth=4
	s_waitcnt lgkmcnt(0)
	v_add_f64 v[44:45], v[12:13], v[8:9]
	ds_cmpstore_rtn_b64 v[44:45], v15, v[44:45], v[12:13]
	s_waitcnt lgkmcnt(0)
	v_cmp_eq_u64_e32 vcc_lo, v[44:45], v[12:13]
	v_dual_mov_b32 v12, v44 :: v_dual_mov_b32 v13, v45
	s_or_b32 s23, vcc_lo, s23
	s_delay_alu instid0(SALU_CYCLE_1)
	s_and_not1_b32 exec_lo, exec_lo, s23
	s_cbranch_execnz .LBB65_71
; %bb.72:                               ;   in Loop: Header=BB65_65 Depth=3
	s_or_b32 exec_lo, exec_lo, s23
	ds_load_b64 v[12:13], v15 offset:8
	s_mov_b32 s23, 0
.LBB65_73:                              ;   Parent Loop BB65_20 Depth=1
                                        ;     Parent Loop BB65_23 Depth=2
                                        ;       Parent Loop BB65_65 Depth=3
                                        ; =>      This Inner Loop Header: Depth=4
	s_waitcnt lgkmcnt(0)
	v_add_f64 v[44:45], v[12:13], v[10:11]
	ds_cmpstore_rtn_b64 v[44:45], v15, v[44:45], v[12:13] offset:8
	s_waitcnt lgkmcnt(0)
	v_cmp_eq_u64_e32 vcc_lo, v[44:45], v[12:13]
	v_dual_mov_b32 v12, v44 :: v_dual_mov_b32 v13, v45
	s_or_b32 s23, vcc_lo, s23
	s_delay_alu instid0(SALU_CYCLE_1)
	s_and_not1_b32 exec_lo, exec_lo, s23
	s_cbranch_execnz .LBB65_73
; %bb.74:                               ;   in Loop: Header=BB65_65 Depth=3
	s_or_b32 exec_lo, exec_lo, s23
	s_delay_alu instid0(SALU_CYCLE_1)
	s_xor_b32 s23, exec_lo, -1
.LBB65_75:                              ;   in Loop: Header=BB65_65 Depth=3
	s_or_b32 exec_lo, exec_lo, s22
	s_delay_alu instid0(SALU_CYCLE_1) | instskip(SKIP_1) | instid1(SALU_CYCLE_1)
	s_and_not1_b32 s20, s20, exec_lo
	s_and_b32 s22, s23, exec_lo
	s_or_b32 s20, s20, s22
.LBB65_76:                              ;   in Loop: Header=BB65_65 Depth=3
	s_or_b32 exec_lo, exec_lo, s21
	s_delay_alu instid0(SALU_CYCLE_1)
	s_and_b32 s20, s20, exec_lo
.LBB65_77:                              ;   in Loop: Header=BB65_65 Depth=3
	s_and_not1_saveexec_b32 s19, s19
	s_cbranch_execz .LBB65_64
; %bb.78:                               ;   in Loop: Header=BB65_65 Depth=3
	v_lshl_add_u32 v15, v14, 6, v55
	s_mov_b32 s21, 0
	ds_load_b64 v[12:13], v15
.LBB65_79:                              ;   Parent Loop BB65_20 Depth=1
                                        ;     Parent Loop BB65_23 Depth=2
                                        ;       Parent Loop BB65_65 Depth=3
                                        ; =>      This Inner Loop Header: Depth=4
	s_waitcnt lgkmcnt(0)
	v_add_f64 v[44:45], v[12:13], v[8:9]
	ds_cmpstore_rtn_b64 v[44:45], v15, v[44:45], v[12:13]
	s_waitcnt lgkmcnt(0)
	v_cmp_eq_u64_e32 vcc_lo, v[44:45], v[12:13]
	v_dual_mov_b32 v12, v44 :: v_dual_mov_b32 v13, v45
	s_or_b32 s21, vcc_lo, s21
	s_delay_alu instid0(SALU_CYCLE_1)
	s_and_not1_b32 exec_lo, exec_lo, s21
	s_cbranch_execnz .LBB65_79
; %bb.80:                               ;   in Loop: Header=BB65_65 Depth=3
	s_or_b32 exec_lo, exec_lo, s21
	ds_load_b64 v[12:13], v15 offset:8
	s_mov_b32 s21, 0
.LBB65_81:                              ;   Parent Loop BB65_20 Depth=1
                                        ;     Parent Loop BB65_23 Depth=2
                                        ;       Parent Loop BB65_65 Depth=3
                                        ; =>      This Inner Loop Header: Depth=4
	s_waitcnt lgkmcnt(0)
	v_add_f64 v[44:45], v[12:13], v[10:11]
	ds_cmpstore_rtn_b64 v[44:45], v15, v[44:45], v[12:13] offset:8
	s_waitcnt lgkmcnt(0)
	v_cmp_eq_u64_e32 vcc_lo, v[44:45], v[12:13]
	v_dual_mov_b32 v12, v44 :: v_dual_mov_b32 v13, v45
	s_or_b32 s21, vcc_lo, s21
	s_delay_alu instid0(SALU_CYCLE_1)
	s_and_not1_b32 exec_lo, exec_lo, s21
	s_cbranch_execnz .LBB65_81
; %bb.82:                               ;   in Loop: Header=BB65_65 Depth=3
	s_or_b32 exec_lo, exec_lo, s21
	s_delay_alu instid0(SALU_CYCLE_1)
	s_and_not1_b32 s20, s20, exec_lo
	s_branch .LBB65_64
.LBB65_83:                              ;   in Loop: Header=BB65_23 Depth=2
	s_or_b32 exec_lo, exec_lo, s17
	v_mul_f64 v[8:9], v[6:7], -v[33:34]
	v_mul_f64 v[6:7], v[31:32], v[6:7]
	s_mov_b32 s17, 0
	s_delay_alu instid0(VALU_DEP_2) | instskip(NEXT) | instid1(VALU_DEP_2)
	v_fma_f64 v[8:9], v[31:32], v[4:5], v[8:9]
	v_fma_f64 v[4:5], v[33:34], v[4:5], v[6:7]
	s_delay_alu instid0(VALU_DEP_2) | instskip(NEXT) | instid1(VALU_DEP_2)
	v_fma_f64 v[6:7], v[39:40], v[0:1], v[8:9]
	v_fma_f64 v[4:5], v[41:42], v[0:1], v[4:5]
	s_delay_alu instid0(VALU_DEP_2) | instskip(NEXT) | instid1(VALU_DEP_2)
	v_fma_f64 v[0:1], -v[41:42], v[2:3], v[6:7]
	v_fma_f64 v[2:3], v[39:40], v[2:3], v[4:5]
	s_branch .LBB65_85
.LBB65_84:                              ;   in Loop: Header=BB65_85 Depth=3
	s_or_b32 exec_lo, exec_lo, s19
	s_xor_b32 s19, s20, -1
	s_delay_alu instid0(SALU_CYCLE_1) | instskip(NEXT) | instid1(SALU_CYCLE_1)
	s_and_b32 s19, exec_lo, s19
	s_or_b32 s17, s19, s17
	s_delay_alu instid0(SALU_CYCLE_1)
	s_and_not1_b32 exec_lo, exec_lo, s17
	s_cbranch_execz .LBB65_22
.LBB65_85:                              ;   Parent Loop BB65_20 Depth=1
                                        ;     Parent Loop BB65_23 Depth=2
                                        ; =>    This Loop Header: Depth=3
                                        ;         Child Loop BB65_91 Depth 4
                                        ;         Child Loop BB65_93 Depth 4
	;; [unrolled: 1-line block ×4, first 2 shown]
	v_lshl_add_u32 v4, v59, 2, v51
	s_mov_b32 s19, exec_lo
                                        ; implicit-def: $sgpr20
	ds_load_b32 v5, v4
	s_waitcnt lgkmcnt(0)
	v_cmpx_ne_u32_e64 v5, v58
	s_xor_b32 s19, exec_lo, s19
	s_cbranch_execz .LBB65_97
; %bb.86:                               ;   in Loop: Header=BB65_85 Depth=3
	s_mov_b32 s21, exec_lo
                                        ; implicit-def: $sgpr20
	v_cmpx_ne_u32_e64 s18, v5
	s_xor_b32 s21, exec_lo, s21
; %bb.87:                               ;   in Loop: Header=BB65_85 Depth=3
	v_add_nc_u32_e32 v4, 1, v59
	s_mov_b32 s20, -1
	s_delay_alu instid0(VALU_DEP_1)
	v_and_b32_e32 v59, 7, v4
                                        ; implicit-def: $vgpr4
; %bb.88:                               ;   in Loop: Header=BB65_85 Depth=3
	s_and_not1_saveexec_b32 s21, s21
	s_cbranch_execz .LBB65_96
; %bb.89:                               ;   in Loop: Header=BB65_85 Depth=3
	v_mov_b32_e32 v5, s18
	s_mov_b32 s23, -1
	s_mov_b32 s22, exec_lo
	ds_cmpstore_rtn_b32 v4, v4, v58, v5
	s_waitcnt lgkmcnt(0)
	v_cmpx_eq_u32_e64 s18, v4
	s_cbranch_execz .LBB65_95
; %bb.90:                               ;   in Loop: Header=BB65_85 Depth=3
	v_lshl_add_u32 v6, v59, 6, v56
	s_mov_b32 s23, 0
	ds_load_b64 v[4:5], v6
.LBB65_91:                              ;   Parent Loop BB65_20 Depth=1
                                        ;     Parent Loop BB65_23 Depth=2
                                        ;       Parent Loop BB65_85 Depth=3
                                        ; =>      This Inner Loop Header: Depth=4
	s_waitcnt lgkmcnt(0)
	v_add_f64 v[7:8], v[4:5], v[0:1]
	ds_cmpstore_rtn_b64 v[7:8], v6, v[7:8], v[4:5]
	s_waitcnt lgkmcnt(0)
	v_cmp_eq_u64_e32 vcc_lo, v[7:8], v[4:5]
	v_dual_mov_b32 v4, v7 :: v_dual_mov_b32 v5, v8
	s_or_b32 s23, vcc_lo, s23
	s_delay_alu instid0(SALU_CYCLE_1)
	s_and_not1_b32 exec_lo, exec_lo, s23
	s_cbranch_execnz .LBB65_91
; %bb.92:                               ;   in Loop: Header=BB65_85 Depth=3
	s_or_b32 exec_lo, exec_lo, s23
	ds_load_b64 v[4:5], v6 offset:8
	s_mov_b32 s23, 0
.LBB65_93:                              ;   Parent Loop BB65_20 Depth=1
                                        ;     Parent Loop BB65_23 Depth=2
                                        ;       Parent Loop BB65_85 Depth=3
                                        ; =>      This Inner Loop Header: Depth=4
	s_waitcnt lgkmcnt(0)
	v_add_f64 v[7:8], v[4:5], v[2:3]
	ds_cmpstore_rtn_b64 v[7:8], v6, v[7:8], v[4:5] offset:8
	s_waitcnt lgkmcnt(0)
	v_cmp_eq_u64_e32 vcc_lo, v[7:8], v[4:5]
	v_dual_mov_b32 v4, v7 :: v_dual_mov_b32 v5, v8
	s_or_b32 s23, vcc_lo, s23
	s_delay_alu instid0(SALU_CYCLE_1)
	s_and_not1_b32 exec_lo, exec_lo, s23
	s_cbranch_execnz .LBB65_93
; %bb.94:                               ;   in Loop: Header=BB65_85 Depth=3
	s_or_b32 exec_lo, exec_lo, s23
	s_delay_alu instid0(SALU_CYCLE_1)
	s_xor_b32 s23, exec_lo, -1
.LBB65_95:                              ;   in Loop: Header=BB65_85 Depth=3
	s_or_b32 exec_lo, exec_lo, s22
	s_delay_alu instid0(SALU_CYCLE_1) | instskip(SKIP_1) | instid1(SALU_CYCLE_1)
	s_and_not1_b32 s20, s20, exec_lo
	s_and_b32 s22, s23, exec_lo
	s_or_b32 s20, s20, s22
.LBB65_96:                              ;   in Loop: Header=BB65_85 Depth=3
	s_or_b32 exec_lo, exec_lo, s21
	s_delay_alu instid0(SALU_CYCLE_1)
	s_and_b32 s20, s20, exec_lo
.LBB65_97:                              ;   in Loop: Header=BB65_85 Depth=3
	s_and_not1_saveexec_b32 s19, s19
	s_cbranch_execz .LBB65_84
; %bb.98:                               ;   in Loop: Header=BB65_85 Depth=3
	v_lshl_add_u32 v6, v59, 6, v56
	s_mov_b32 s21, 0
	ds_load_b64 v[4:5], v6
.LBB65_99:                              ;   Parent Loop BB65_20 Depth=1
                                        ;     Parent Loop BB65_23 Depth=2
                                        ;       Parent Loop BB65_85 Depth=3
                                        ; =>      This Inner Loop Header: Depth=4
	s_waitcnt lgkmcnt(0)
	v_add_f64 v[7:8], v[4:5], v[0:1]
	ds_cmpstore_rtn_b64 v[7:8], v6, v[7:8], v[4:5]
	s_waitcnt lgkmcnt(0)
	v_cmp_eq_u64_e32 vcc_lo, v[7:8], v[4:5]
	v_dual_mov_b32 v4, v7 :: v_dual_mov_b32 v5, v8
	s_or_b32 s21, vcc_lo, s21
	s_delay_alu instid0(SALU_CYCLE_1)
	s_and_not1_b32 exec_lo, exec_lo, s21
	s_cbranch_execnz .LBB65_99
; %bb.100:                              ;   in Loop: Header=BB65_85 Depth=3
	s_or_b32 exec_lo, exec_lo, s21
	ds_load_b64 v[4:5], v6 offset:8
	s_mov_b32 s21, 0
.LBB65_101:                             ;   Parent Loop BB65_20 Depth=1
                                        ;     Parent Loop BB65_23 Depth=2
                                        ;       Parent Loop BB65_85 Depth=3
                                        ; =>      This Inner Loop Header: Depth=4
	s_waitcnt lgkmcnt(0)
	v_add_f64 v[7:8], v[4:5], v[2:3]
	ds_cmpstore_rtn_b64 v[7:8], v6, v[7:8], v[4:5] offset:8
	s_waitcnt lgkmcnt(0)
	v_cmp_eq_u64_e32 vcc_lo, v[7:8], v[4:5]
	v_dual_mov_b32 v4, v7 :: v_dual_mov_b32 v5, v8
	s_or_b32 s21, vcc_lo, s21
	s_delay_alu instid0(SALU_CYCLE_1)
	s_and_not1_b32 exec_lo, exec_lo, s21
	s_cbranch_execnz .LBB65_101
; %bb.102:                              ;   in Loop: Header=BB65_85 Depth=3
	s_or_b32 exec_lo, exec_lo, s21
	s_delay_alu instid0(SALU_CYCLE_1)
	s_and_not1_b32 s20, s20, exec_lo
	s_branch .LBB65_84
.LBB65_103:
	s_or_b32 exec_lo, exec_lo, s2
	s_delay_alu instid0(SALU_CYCLE_1)
	s_and_not1_b32 vcc_lo, exec_lo, s1
	buffer_gl0_inv
	s_cbranch_vccnz .LBB65_15
.LBB65_104:
	v_lshlrev_b64 v[0:1], 2, v[20:21]
	v_subrev_nc_u32_e32 v2, s39, v50
	s_mov_b32 s1, exec_lo
	s_delay_alu instid0(VALU_DEP_2) | instskip(NEXT) | instid1(VALU_DEP_3)
	v_add_co_u32 v0, vcc_lo, s4, v0
	v_add_co_ci_u32_e32 v1, vcc_lo, s5, v1, vcc_lo
	global_load_b64 v[0:1], v[0:1], off
	s_waitcnt vmcnt(0)
	v_subrev_nc_u32_e32 v15, s39, v1
	v_add_nc_u32_e32 v12, v0, v2
	s_delay_alu instid0(VALU_DEP_1)
	v_cmpx_lt_i32_e64 v12, v15
	s_cbranch_execz .LBB65_187
; %bb.105:
	v_add_nc_u32_e32 v26, 16, v52
	v_add_nc_u32_e32 v27, 32, v52
	;; [unrolled: 1-line block ×3, first 2 shown]
	s_cmp_eq_u32 s16, 0
	s_mov_b32 s2, 0
	s_cselect_b32 s3, 1, 2
	s_cselect_b32 s4, 2, 1
	s_branch .LBB65_107
.LBB65_106:                             ;   in Loop: Header=BB65_107 Depth=1
	s_or_b32 exec_lo, exec_lo, s5
	v_add_nc_u32_e32 v12, 16, v12
	s_delay_alu instid0(VALU_DEP_1) | instskip(SKIP_1) | instid1(SALU_CYCLE_1)
	v_cmp_ge_i32_e32 vcc_lo, v12, v15
	s_or_b32 s2, vcc_lo, s2
	s_and_not1_b32 exec_lo, exec_lo, s2
	s_cbranch_execz .LBB65_187
.LBB65_107:                             ; =>This Loop Header: Depth=1
                                        ;     Child Loop BB65_109 Depth 2
                                        ;       Child Loop BB65_115 Depth 3
                                        ;       Child Loop BB65_117 Depth 3
                                        ;       Child Loop BB65_123 Depth 3
                                        ;       Child Loop BB65_125 Depth 3
                                        ;     Child Loop BB65_129 Depth 2
                                        ;       Child Loop BB65_135 Depth 3
                                        ;       Child Loop BB65_137 Depth 3
                                        ;       Child Loop BB65_143 Depth 3
                                        ;       Child Loop BB65_145 Depth 3
	;; [unrolled: 5-line block ×4, first 2 shown]
	v_lshlrev_b32_e32 v0, 2, v12
	v_ashrrev_i32_e32 v13, 31, v12
	s_mov_b32 s5, 0
	s_delay_alu instid0(VALU_DEP_2) | instskip(NEXT) | instid1(VALU_DEP_2)
	v_ashrrev_i32_e32 v1, 31, v0
	v_lshlrev_b64 v[5:6], 2, v[12:13]
	s_delay_alu instid0(VALU_DEP_2) | instskip(NEXT) | instid1(VALU_DEP_1)
	v_lshlrev_b64 v[1:2], 4, v[0:1]
	v_add_co_u32 v1, vcc_lo, s8, v1
	s_delay_alu instid0(VALU_DEP_2) | instskip(NEXT) | instid1(VALU_DEP_4)
	v_add_co_ci_u32_e32 v2, vcc_lo, s9, v2, vcc_lo
	v_add_co_u32 v5, vcc_lo, s6, v5
	v_add_co_ci_u32_e32 v6, vcc_lo, s7, v6, vcc_lo
	global_load_b128 v[22:25], v[1:2], off
	global_load_b32 v29, v[5:6], off
	s_waitcnt vmcnt(1)
	v_mul_f64 v[13:14], v[24:25], -v[16:17]
	v_mul_f64 v[24:25], v[18:19], v[24:25]
	s_waitcnt vmcnt(0)
	v_subrev_nc_u32_e32 v29, s39, v29
	s_delay_alu instid0(VALU_DEP_1) | instskip(NEXT) | instid1(VALU_DEP_1)
	v_and_b32_e32 v30, 7, v29
	v_mov_b32_e32 v31, v30
	v_or_b32_e32 v3, s3, v0
	v_or_b32_e32 v7, s4, v0
	s_delay_alu instid0(VALU_DEP_2) | instskip(NEXT) | instid1(VALU_DEP_2)
	v_ashrrev_i32_e32 v4, 31, v3
	v_ashrrev_i32_e32 v8, 31, v7
	s_delay_alu instid0(VALU_DEP_2) | instskip(NEXT) | instid1(VALU_DEP_2)
	v_lshlrev_b64 v[3:4], 4, v[3:4]
	v_lshlrev_b64 v[5:6], 4, v[7:8]
	s_delay_alu instid0(VALU_DEP_2) | instskip(NEXT) | instid1(VALU_DEP_3)
	v_add_co_u32 v7, vcc_lo, s8, v3
	v_add_co_ci_u32_e32 v8, vcc_lo, s9, v4, vcc_lo
	s_delay_alu instid0(VALU_DEP_3) | instskip(NEXT) | instid1(VALU_DEP_4)
	v_add_co_u32 v4, vcc_lo, s8, v5
	v_add_co_ci_u32_e32 v5, vcc_lo, s9, v6, vcc_lo
	s_clause 0x2
	global_load_b128 v[0:3], v[1:2], off offset:48
	global_load_b128 v[8:11], v[7:8], off
	global_load_b128 v[4:7], v[4:5], off
	v_fma_f64 v[13:14], v[18:19], v[22:23], v[13:14]
	v_fma_f64 v[22:23], v[16:17], v[22:23], v[24:25]
	s_branch .LBB65_109
.LBB65_108:                             ;   in Loop: Header=BB65_109 Depth=2
	s_or_b32 exec_lo, exec_lo, s12
	s_xor_b32 s12, s13, -1
	s_delay_alu instid0(SALU_CYCLE_1) | instskip(NEXT) | instid1(SALU_CYCLE_1)
	s_and_b32 s12, exec_lo, s12
	s_or_b32 s5, s12, s5
	s_delay_alu instid0(SALU_CYCLE_1)
	s_and_not1_b32 exec_lo, exec_lo, s5
	s_cbranch_execz .LBB65_127
.LBB65_109:                             ;   Parent Loop BB65_107 Depth=1
                                        ; =>  This Loop Header: Depth=2
                                        ;       Child Loop BB65_115 Depth 3
                                        ;       Child Loop BB65_117 Depth 3
	;; [unrolled: 1-line block ×4, first 2 shown]
	v_lshl_add_u32 v24, v31, 2, v51
	s_mov_b32 s12, exec_lo
                                        ; implicit-def: $sgpr13
	ds_load_b32 v25, v24
	s_waitcnt lgkmcnt(0)
	v_cmpx_ne_u32_e64 v25, v29
	s_xor_b32 s12, exec_lo, s12
	s_cbranch_execz .LBB65_121
; %bb.110:                              ;   in Loop: Header=BB65_109 Depth=2
	s_mov_b32 s14, exec_lo
                                        ; implicit-def: $sgpr13
	v_cmpx_ne_u32_e64 s18, v25
	s_xor_b32 s14, exec_lo, s14
; %bb.111:                              ;   in Loop: Header=BB65_109 Depth=2
	v_add_nc_u32_e32 v24, 1, v31
	s_mov_b32 s13, -1
	s_delay_alu instid0(VALU_DEP_1)
	v_and_b32_e32 v31, 7, v24
                                        ; implicit-def: $vgpr24
; %bb.112:                              ;   in Loop: Header=BB65_109 Depth=2
	s_and_not1_saveexec_b32 s14, s14
	s_cbranch_execz .LBB65_120
; %bb.113:                              ;   in Loop: Header=BB65_109 Depth=2
	v_mov_b32_e32 v25, s18
	s_mov_b32 s17, -1
	s_mov_b32 s15, exec_lo
	ds_cmpstore_rtn_b32 v24, v24, v29, v25
	s_waitcnt lgkmcnt(0)
	v_cmpx_eq_u32_e64 s18, v24
	s_cbranch_execz .LBB65_119
; %bb.114:                              ;   in Loop: Header=BB65_109 Depth=2
	v_lshlrev_b32_e32 v24, 6, v31
	s_mov_b32 s17, 0
	s_delay_alu instid0(VALU_DEP_1)
	v_add_nc_u32_e32 v32, v52, v24
	ds_load_b64 v[24:25], v32
.LBB65_115:                             ;   Parent Loop BB65_107 Depth=1
                                        ;     Parent Loop BB65_109 Depth=2
                                        ; =>    This Inner Loop Header: Depth=3
	s_waitcnt lgkmcnt(0)
	v_add_f64 v[33:34], v[24:25], v[13:14]
	ds_cmpstore_rtn_b64 v[33:34], v32, v[33:34], v[24:25]
	s_waitcnt lgkmcnt(0)
	v_cmp_eq_u64_e32 vcc_lo, v[33:34], v[24:25]
	v_dual_mov_b32 v24, v33 :: v_dual_mov_b32 v25, v34
	s_or_b32 s17, vcc_lo, s17
	s_delay_alu instid0(SALU_CYCLE_1)
	s_and_not1_b32 exec_lo, exec_lo, s17
	s_cbranch_execnz .LBB65_115
; %bb.116:                              ;   in Loop: Header=BB65_109 Depth=2
	s_or_b32 exec_lo, exec_lo, s17
	ds_load_b64 v[24:25], v32 offset:8
	s_mov_b32 s17, 0
.LBB65_117:                             ;   Parent Loop BB65_107 Depth=1
                                        ;     Parent Loop BB65_109 Depth=2
                                        ; =>    This Inner Loop Header: Depth=3
	s_waitcnt lgkmcnt(0)
	v_add_f64 v[33:34], v[24:25], v[22:23]
	ds_cmpstore_rtn_b64 v[33:34], v32, v[33:34], v[24:25] offset:8
	s_waitcnt lgkmcnt(0)
	v_cmp_eq_u64_e32 vcc_lo, v[33:34], v[24:25]
	v_dual_mov_b32 v24, v33 :: v_dual_mov_b32 v25, v34
	s_or_b32 s17, vcc_lo, s17
	s_delay_alu instid0(SALU_CYCLE_1)
	s_and_not1_b32 exec_lo, exec_lo, s17
	s_cbranch_execnz .LBB65_117
; %bb.118:                              ;   in Loop: Header=BB65_109 Depth=2
	s_or_b32 exec_lo, exec_lo, s17
	s_delay_alu instid0(SALU_CYCLE_1)
	s_xor_b32 s17, exec_lo, -1
.LBB65_119:                             ;   in Loop: Header=BB65_109 Depth=2
	s_or_b32 exec_lo, exec_lo, s15
	s_delay_alu instid0(SALU_CYCLE_1) | instskip(SKIP_1) | instid1(SALU_CYCLE_1)
	s_and_not1_b32 s13, s13, exec_lo
	s_and_b32 s15, s17, exec_lo
	s_or_b32 s13, s13, s15
.LBB65_120:                             ;   in Loop: Header=BB65_109 Depth=2
	s_or_b32 exec_lo, exec_lo, s14
	s_delay_alu instid0(SALU_CYCLE_1)
	s_and_b32 s13, s13, exec_lo
.LBB65_121:                             ;   in Loop: Header=BB65_109 Depth=2
	s_and_not1_saveexec_b32 s12, s12
	s_cbranch_execz .LBB65_108
; %bb.122:                              ;   in Loop: Header=BB65_109 Depth=2
	v_lshlrev_b32_e32 v24, 6, v31
	s_mov_b32 s14, 0
	s_delay_alu instid0(VALU_DEP_1)
	v_add_nc_u32_e32 v32, v52, v24
	ds_load_b64 v[24:25], v32
.LBB65_123:                             ;   Parent Loop BB65_107 Depth=1
                                        ;     Parent Loop BB65_109 Depth=2
                                        ; =>    This Inner Loop Header: Depth=3
	s_waitcnt lgkmcnt(0)
	v_add_f64 v[33:34], v[24:25], v[13:14]
	ds_cmpstore_rtn_b64 v[33:34], v32, v[33:34], v[24:25]
	s_waitcnt lgkmcnt(0)
	v_cmp_eq_u64_e32 vcc_lo, v[33:34], v[24:25]
	v_dual_mov_b32 v24, v33 :: v_dual_mov_b32 v25, v34
	s_or_b32 s14, vcc_lo, s14
	s_delay_alu instid0(SALU_CYCLE_1)
	s_and_not1_b32 exec_lo, exec_lo, s14
	s_cbranch_execnz .LBB65_123
; %bb.124:                              ;   in Loop: Header=BB65_109 Depth=2
	s_or_b32 exec_lo, exec_lo, s14
	ds_load_b64 v[24:25], v32 offset:8
	s_mov_b32 s14, 0
.LBB65_125:                             ;   Parent Loop BB65_107 Depth=1
                                        ;     Parent Loop BB65_109 Depth=2
                                        ; =>    This Inner Loop Header: Depth=3
	s_waitcnt lgkmcnt(0)
	v_add_f64 v[33:34], v[24:25], v[22:23]
	ds_cmpstore_rtn_b64 v[33:34], v32, v[33:34], v[24:25] offset:8
	s_waitcnt lgkmcnt(0)
	v_cmp_eq_u64_e32 vcc_lo, v[33:34], v[24:25]
	v_dual_mov_b32 v24, v33 :: v_dual_mov_b32 v25, v34
	s_or_b32 s14, vcc_lo, s14
	s_delay_alu instid0(SALU_CYCLE_1)
	s_and_not1_b32 exec_lo, exec_lo, s14
	s_cbranch_execnz .LBB65_125
; %bb.126:                              ;   in Loop: Header=BB65_109 Depth=2
	s_or_b32 exec_lo, exec_lo, s14
	s_delay_alu instid0(SALU_CYCLE_1)
	s_and_not1_b32 s13, s13, exec_lo
	s_branch .LBB65_108
.LBB65_127:                             ;   in Loop: Header=BB65_107 Depth=1
	s_or_b32 exec_lo, exec_lo, s5
	s_waitcnt vmcnt(1)
	v_mul_f64 v[13:14], v[10:11], -v[16:17]
	v_mul_f64 v[22:23], v[18:19], v[10:11]
	s_mov_b32 s5, 0
	s_delay_alu instid0(VALU_DEP_2) | instskip(NEXT) | instid1(VALU_DEP_2)
	v_fma_f64 v[10:11], v[18:19], v[8:9], v[13:14]
	v_fma_f64 v[8:9], v[16:17], v[8:9], v[22:23]
	v_mov_b32_e32 v22, v30
	s_branch .LBB65_129
.LBB65_128:                             ;   in Loop: Header=BB65_129 Depth=2
	s_or_b32 exec_lo, exec_lo, s12
	s_xor_b32 s12, s13, -1
	s_delay_alu instid0(SALU_CYCLE_1) | instskip(NEXT) | instid1(SALU_CYCLE_1)
	s_and_b32 s12, exec_lo, s12
	s_or_b32 s5, s12, s5
	s_delay_alu instid0(SALU_CYCLE_1)
	s_and_not1_b32 exec_lo, exec_lo, s5
	s_cbranch_execz .LBB65_147
.LBB65_129:                             ;   Parent Loop BB65_107 Depth=1
                                        ; =>  This Loop Header: Depth=2
                                        ;       Child Loop BB65_135 Depth 3
                                        ;       Child Loop BB65_137 Depth 3
                                        ;       Child Loop BB65_143 Depth 3
                                        ;       Child Loop BB65_145 Depth 3
	s_delay_alu instid0(VALU_DEP_1)
	v_lshl_add_u32 v13, v22, 2, v51
	s_mov_b32 s12, exec_lo
                                        ; implicit-def: $sgpr13
	ds_load_b32 v14, v13
	s_waitcnt lgkmcnt(0)
	v_cmpx_ne_u32_e64 v14, v29
	s_xor_b32 s12, exec_lo, s12
	s_cbranch_execz .LBB65_141
; %bb.130:                              ;   in Loop: Header=BB65_129 Depth=2
	s_mov_b32 s14, exec_lo
                                        ; implicit-def: $sgpr13
	v_cmpx_ne_u32_e64 s18, v14
	s_xor_b32 s14, exec_lo, s14
; %bb.131:                              ;   in Loop: Header=BB65_129 Depth=2
	v_add_nc_u32_e32 v13, 1, v22
	s_mov_b32 s13, -1
	s_delay_alu instid0(VALU_DEP_1)
	v_and_b32_e32 v22, 7, v13
                                        ; implicit-def: $vgpr13
; %bb.132:                              ;   in Loop: Header=BB65_129 Depth=2
	s_and_not1_saveexec_b32 s14, s14
	s_cbranch_execz .LBB65_140
; %bb.133:                              ;   in Loop: Header=BB65_129 Depth=2
	v_mov_b32_e32 v14, s18
	s_mov_b32 s17, -1
	s_mov_b32 s15, exec_lo
	ds_cmpstore_rtn_b32 v13, v13, v29, v14
	s_waitcnt lgkmcnt(0)
	v_cmpx_eq_u32_e64 s18, v13
	s_cbranch_execz .LBB65_139
; %bb.134:                              ;   in Loop: Header=BB65_129 Depth=2
	v_lshl_add_u32 v23, v22, 6, v26
	s_mov_b32 s17, 0
	ds_load_b64 v[13:14], v23
.LBB65_135:                             ;   Parent Loop BB65_107 Depth=1
                                        ;     Parent Loop BB65_129 Depth=2
                                        ; =>    This Inner Loop Header: Depth=3
	s_waitcnt lgkmcnt(0)
	v_add_f64 v[24:25], v[13:14], v[10:11]
	ds_cmpstore_rtn_b64 v[24:25], v23, v[24:25], v[13:14]
	s_waitcnt lgkmcnt(0)
	v_cmp_eq_u64_e32 vcc_lo, v[24:25], v[13:14]
	v_dual_mov_b32 v13, v24 :: v_dual_mov_b32 v14, v25
	s_or_b32 s17, vcc_lo, s17
	s_delay_alu instid0(SALU_CYCLE_1)
	s_and_not1_b32 exec_lo, exec_lo, s17
	s_cbranch_execnz .LBB65_135
; %bb.136:                              ;   in Loop: Header=BB65_129 Depth=2
	s_or_b32 exec_lo, exec_lo, s17
	ds_load_b64 v[13:14], v23 offset:8
	s_mov_b32 s17, 0
.LBB65_137:                             ;   Parent Loop BB65_107 Depth=1
                                        ;     Parent Loop BB65_129 Depth=2
                                        ; =>    This Inner Loop Header: Depth=3
	s_waitcnt lgkmcnt(0)
	v_add_f64 v[24:25], v[13:14], v[8:9]
	ds_cmpstore_rtn_b64 v[24:25], v23, v[24:25], v[13:14] offset:8
	s_waitcnt lgkmcnt(0)
	v_cmp_eq_u64_e32 vcc_lo, v[24:25], v[13:14]
	v_dual_mov_b32 v13, v24 :: v_dual_mov_b32 v14, v25
	s_or_b32 s17, vcc_lo, s17
	s_delay_alu instid0(SALU_CYCLE_1)
	s_and_not1_b32 exec_lo, exec_lo, s17
	s_cbranch_execnz .LBB65_137
; %bb.138:                              ;   in Loop: Header=BB65_129 Depth=2
	s_or_b32 exec_lo, exec_lo, s17
	s_delay_alu instid0(SALU_CYCLE_1)
	s_xor_b32 s17, exec_lo, -1
.LBB65_139:                             ;   in Loop: Header=BB65_129 Depth=2
	s_or_b32 exec_lo, exec_lo, s15
	s_delay_alu instid0(SALU_CYCLE_1) | instskip(SKIP_1) | instid1(SALU_CYCLE_1)
	s_and_not1_b32 s13, s13, exec_lo
	s_and_b32 s15, s17, exec_lo
	s_or_b32 s13, s13, s15
.LBB65_140:                             ;   in Loop: Header=BB65_129 Depth=2
	s_or_b32 exec_lo, exec_lo, s14
	s_delay_alu instid0(SALU_CYCLE_1)
	s_and_b32 s13, s13, exec_lo
.LBB65_141:                             ;   in Loop: Header=BB65_129 Depth=2
	s_and_not1_saveexec_b32 s12, s12
	s_cbranch_execz .LBB65_128
; %bb.142:                              ;   in Loop: Header=BB65_129 Depth=2
	v_lshl_add_u32 v23, v22, 6, v26
	s_mov_b32 s14, 0
	ds_load_b64 v[13:14], v23
.LBB65_143:                             ;   Parent Loop BB65_107 Depth=1
                                        ;     Parent Loop BB65_129 Depth=2
                                        ; =>    This Inner Loop Header: Depth=3
	s_waitcnt lgkmcnt(0)
	v_add_f64 v[24:25], v[13:14], v[10:11]
	ds_cmpstore_rtn_b64 v[24:25], v23, v[24:25], v[13:14]
	s_waitcnt lgkmcnt(0)
	v_cmp_eq_u64_e32 vcc_lo, v[24:25], v[13:14]
	v_dual_mov_b32 v13, v24 :: v_dual_mov_b32 v14, v25
	s_or_b32 s14, vcc_lo, s14
	s_delay_alu instid0(SALU_CYCLE_1)
	s_and_not1_b32 exec_lo, exec_lo, s14
	s_cbranch_execnz .LBB65_143
; %bb.144:                              ;   in Loop: Header=BB65_129 Depth=2
	s_or_b32 exec_lo, exec_lo, s14
	ds_load_b64 v[13:14], v23 offset:8
	s_mov_b32 s14, 0
.LBB65_145:                             ;   Parent Loop BB65_107 Depth=1
                                        ;     Parent Loop BB65_129 Depth=2
                                        ; =>    This Inner Loop Header: Depth=3
	s_waitcnt lgkmcnt(0)
	v_add_f64 v[24:25], v[13:14], v[8:9]
	ds_cmpstore_rtn_b64 v[24:25], v23, v[24:25], v[13:14] offset:8
	s_waitcnt lgkmcnt(0)
	v_cmp_eq_u64_e32 vcc_lo, v[24:25], v[13:14]
	v_dual_mov_b32 v13, v24 :: v_dual_mov_b32 v14, v25
	s_or_b32 s14, vcc_lo, s14
	s_delay_alu instid0(SALU_CYCLE_1)
	s_and_not1_b32 exec_lo, exec_lo, s14
	s_cbranch_execnz .LBB65_145
; %bb.146:                              ;   in Loop: Header=BB65_129 Depth=2
	s_or_b32 exec_lo, exec_lo, s14
	s_delay_alu instid0(SALU_CYCLE_1)
	s_and_not1_b32 s13, s13, exec_lo
	s_branch .LBB65_128
.LBB65_147:                             ;   in Loop: Header=BB65_107 Depth=1
	s_or_b32 exec_lo, exec_lo, s5
	s_waitcnt vmcnt(0)
	v_mul_f64 v[8:9], v[6:7], -v[16:17]
	v_mul_f64 v[10:11], v[18:19], v[6:7]
	s_mov_b32 s5, 0
	s_delay_alu instid0(VALU_DEP_2) | instskip(NEXT) | instid1(VALU_DEP_2)
	v_fma_f64 v[6:7], v[18:19], v[4:5], v[8:9]
	v_fma_f64 v[4:5], v[16:17], v[4:5], v[10:11]
	v_mov_b32_e32 v10, v30
	s_branch .LBB65_149
.LBB65_148:                             ;   in Loop: Header=BB65_149 Depth=2
	s_or_b32 exec_lo, exec_lo, s12
	s_xor_b32 s12, s13, -1
	s_delay_alu instid0(SALU_CYCLE_1) | instskip(NEXT) | instid1(SALU_CYCLE_1)
	s_and_b32 s12, exec_lo, s12
	s_or_b32 s5, s12, s5
	s_delay_alu instid0(SALU_CYCLE_1)
	s_and_not1_b32 exec_lo, exec_lo, s5
	s_cbranch_execz .LBB65_167
.LBB65_149:                             ;   Parent Loop BB65_107 Depth=1
                                        ; =>  This Loop Header: Depth=2
                                        ;       Child Loop BB65_155 Depth 3
                                        ;       Child Loop BB65_157 Depth 3
                                        ;       Child Loop BB65_163 Depth 3
                                        ;       Child Loop BB65_165 Depth 3
	s_delay_alu instid0(VALU_DEP_1)
	v_lshl_add_u32 v8, v10, 2, v51
	s_mov_b32 s12, exec_lo
                                        ; implicit-def: $sgpr13
	ds_load_b32 v9, v8
	s_waitcnt lgkmcnt(0)
	v_cmpx_ne_u32_e64 v9, v29
	s_xor_b32 s12, exec_lo, s12
	s_cbranch_execz .LBB65_161
; %bb.150:                              ;   in Loop: Header=BB65_149 Depth=2
	s_mov_b32 s14, exec_lo
                                        ; implicit-def: $sgpr13
	v_cmpx_ne_u32_e64 s18, v9
	s_xor_b32 s14, exec_lo, s14
; %bb.151:                              ;   in Loop: Header=BB65_149 Depth=2
	v_add_nc_u32_e32 v8, 1, v10
	s_mov_b32 s13, -1
	s_delay_alu instid0(VALU_DEP_1)
	v_and_b32_e32 v10, 7, v8
                                        ; implicit-def: $vgpr8
; %bb.152:                              ;   in Loop: Header=BB65_149 Depth=2
	s_and_not1_saveexec_b32 s14, s14
	s_cbranch_execz .LBB65_160
; %bb.153:                              ;   in Loop: Header=BB65_149 Depth=2
	v_mov_b32_e32 v9, s18
	s_mov_b32 s17, -1
	s_mov_b32 s15, exec_lo
	ds_cmpstore_rtn_b32 v8, v8, v29, v9
	s_waitcnt lgkmcnt(0)
	v_cmpx_eq_u32_e64 s18, v8
	s_cbranch_execz .LBB65_159
; %bb.154:                              ;   in Loop: Header=BB65_149 Depth=2
	v_lshl_add_u32 v11, v10, 6, v27
	s_mov_b32 s17, 0
	ds_load_b64 v[8:9], v11
.LBB65_155:                             ;   Parent Loop BB65_107 Depth=1
                                        ;     Parent Loop BB65_149 Depth=2
                                        ; =>    This Inner Loop Header: Depth=3
	s_waitcnt lgkmcnt(0)
	v_add_f64 v[13:14], v[8:9], v[6:7]
	ds_cmpstore_rtn_b64 v[13:14], v11, v[13:14], v[8:9]
	s_waitcnt lgkmcnt(0)
	v_cmp_eq_u64_e32 vcc_lo, v[13:14], v[8:9]
	v_dual_mov_b32 v8, v13 :: v_dual_mov_b32 v9, v14
	s_or_b32 s17, vcc_lo, s17
	s_delay_alu instid0(SALU_CYCLE_1)
	s_and_not1_b32 exec_lo, exec_lo, s17
	s_cbranch_execnz .LBB65_155
; %bb.156:                              ;   in Loop: Header=BB65_149 Depth=2
	s_or_b32 exec_lo, exec_lo, s17
	ds_load_b64 v[8:9], v11 offset:8
	s_mov_b32 s17, 0
.LBB65_157:                             ;   Parent Loop BB65_107 Depth=1
                                        ;     Parent Loop BB65_149 Depth=2
                                        ; =>    This Inner Loop Header: Depth=3
	s_waitcnt lgkmcnt(0)
	v_add_f64 v[13:14], v[8:9], v[4:5]
	ds_cmpstore_rtn_b64 v[13:14], v11, v[13:14], v[8:9] offset:8
	s_waitcnt lgkmcnt(0)
	v_cmp_eq_u64_e32 vcc_lo, v[13:14], v[8:9]
	v_dual_mov_b32 v8, v13 :: v_dual_mov_b32 v9, v14
	s_or_b32 s17, vcc_lo, s17
	s_delay_alu instid0(SALU_CYCLE_1)
	s_and_not1_b32 exec_lo, exec_lo, s17
	s_cbranch_execnz .LBB65_157
; %bb.158:                              ;   in Loop: Header=BB65_149 Depth=2
	s_or_b32 exec_lo, exec_lo, s17
	s_delay_alu instid0(SALU_CYCLE_1)
	s_xor_b32 s17, exec_lo, -1
.LBB65_159:                             ;   in Loop: Header=BB65_149 Depth=2
	s_or_b32 exec_lo, exec_lo, s15
	s_delay_alu instid0(SALU_CYCLE_1) | instskip(SKIP_1) | instid1(SALU_CYCLE_1)
	s_and_not1_b32 s13, s13, exec_lo
	s_and_b32 s15, s17, exec_lo
	s_or_b32 s13, s13, s15
.LBB65_160:                             ;   in Loop: Header=BB65_149 Depth=2
	s_or_b32 exec_lo, exec_lo, s14
	s_delay_alu instid0(SALU_CYCLE_1)
	s_and_b32 s13, s13, exec_lo
.LBB65_161:                             ;   in Loop: Header=BB65_149 Depth=2
	s_and_not1_saveexec_b32 s12, s12
	s_cbranch_execz .LBB65_148
; %bb.162:                              ;   in Loop: Header=BB65_149 Depth=2
	v_lshl_add_u32 v11, v10, 6, v27
	s_mov_b32 s14, 0
	ds_load_b64 v[8:9], v11
.LBB65_163:                             ;   Parent Loop BB65_107 Depth=1
                                        ;     Parent Loop BB65_149 Depth=2
                                        ; =>    This Inner Loop Header: Depth=3
	s_waitcnt lgkmcnt(0)
	v_add_f64 v[13:14], v[8:9], v[6:7]
	ds_cmpstore_rtn_b64 v[13:14], v11, v[13:14], v[8:9]
	s_waitcnt lgkmcnt(0)
	v_cmp_eq_u64_e32 vcc_lo, v[13:14], v[8:9]
	v_dual_mov_b32 v8, v13 :: v_dual_mov_b32 v9, v14
	s_or_b32 s14, vcc_lo, s14
	s_delay_alu instid0(SALU_CYCLE_1)
	s_and_not1_b32 exec_lo, exec_lo, s14
	s_cbranch_execnz .LBB65_163
; %bb.164:                              ;   in Loop: Header=BB65_149 Depth=2
	s_or_b32 exec_lo, exec_lo, s14
	ds_load_b64 v[8:9], v11 offset:8
	s_mov_b32 s14, 0
.LBB65_165:                             ;   Parent Loop BB65_107 Depth=1
                                        ;     Parent Loop BB65_149 Depth=2
                                        ; =>    This Inner Loop Header: Depth=3
	s_waitcnt lgkmcnt(0)
	v_add_f64 v[13:14], v[8:9], v[4:5]
	ds_cmpstore_rtn_b64 v[13:14], v11, v[13:14], v[8:9] offset:8
	s_waitcnt lgkmcnt(0)
	v_cmp_eq_u64_e32 vcc_lo, v[13:14], v[8:9]
	v_dual_mov_b32 v8, v13 :: v_dual_mov_b32 v9, v14
	s_or_b32 s14, vcc_lo, s14
	s_delay_alu instid0(SALU_CYCLE_1)
	s_and_not1_b32 exec_lo, exec_lo, s14
	s_cbranch_execnz .LBB65_165
; %bb.166:                              ;   in Loop: Header=BB65_149 Depth=2
	s_or_b32 exec_lo, exec_lo, s14
	s_delay_alu instid0(SALU_CYCLE_1)
	s_and_not1_b32 s13, s13, exec_lo
	s_branch .LBB65_148
.LBB65_167:                             ;   in Loop: Header=BB65_107 Depth=1
	s_or_b32 exec_lo, exec_lo, s5
	v_mul_f64 v[4:5], v[2:3], -v[16:17]
	v_mul_f64 v[6:7], v[18:19], v[2:3]
	s_mov_b32 s5, 0
	s_delay_alu instid0(VALU_DEP_2) | instskip(NEXT) | instid1(VALU_DEP_2)
	v_fma_f64 v[2:3], v[18:19], v[0:1], v[4:5]
	v_fma_f64 v[0:1], v[16:17], v[0:1], v[6:7]
	s_branch .LBB65_169
.LBB65_168:                             ;   in Loop: Header=BB65_169 Depth=2
	s_or_b32 exec_lo, exec_lo, s12
	s_xor_b32 s12, s13, -1
	s_delay_alu instid0(SALU_CYCLE_1) | instskip(NEXT) | instid1(SALU_CYCLE_1)
	s_and_b32 s12, exec_lo, s12
	s_or_b32 s5, s12, s5
	s_delay_alu instid0(SALU_CYCLE_1)
	s_and_not1_b32 exec_lo, exec_lo, s5
	s_cbranch_execz .LBB65_106
.LBB65_169:                             ;   Parent Loop BB65_107 Depth=1
                                        ; =>  This Loop Header: Depth=2
                                        ;       Child Loop BB65_175 Depth 3
                                        ;       Child Loop BB65_177 Depth 3
	;; [unrolled: 1-line block ×4, first 2 shown]
	v_lshl_add_u32 v4, v30, 2, v51
	s_mov_b32 s12, exec_lo
                                        ; implicit-def: $sgpr13
	ds_load_b32 v5, v4
	s_waitcnt lgkmcnt(0)
	v_cmpx_ne_u32_e64 v5, v29
	s_xor_b32 s12, exec_lo, s12
	s_cbranch_execz .LBB65_181
; %bb.170:                              ;   in Loop: Header=BB65_169 Depth=2
	s_mov_b32 s14, exec_lo
                                        ; implicit-def: $sgpr13
	v_cmpx_ne_u32_e64 s18, v5
	s_xor_b32 s14, exec_lo, s14
; %bb.171:                              ;   in Loop: Header=BB65_169 Depth=2
	v_add_nc_u32_e32 v4, 1, v30
	s_mov_b32 s13, -1
	s_delay_alu instid0(VALU_DEP_1)
	v_and_b32_e32 v30, 7, v4
                                        ; implicit-def: $vgpr4
; %bb.172:                              ;   in Loop: Header=BB65_169 Depth=2
	s_and_not1_saveexec_b32 s14, s14
	s_cbranch_execz .LBB65_180
; %bb.173:                              ;   in Loop: Header=BB65_169 Depth=2
	v_mov_b32_e32 v5, s18
	s_mov_b32 s17, -1
	s_mov_b32 s15, exec_lo
	ds_cmpstore_rtn_b32 v4, v4, v29, v5
	s_waitcnt lgkmcnt(0)
	v_cmpx_eq_u32_e64 s18, v4
	s_cbranch_execz .LBB65_179
; %bb.174:                              ;   in Loop: Header=BB65_169 Depth=2
	v_lshl_add_u32 v6, v30, 6, v28
	s_mov_b32 s17, 0
	ds_load_b64 v[4:5], v6
.LBB65_175:                             ;   Parent Loop BB65_107 Depth=1
                                        ;     Parent Loop BB65_169 Depth=2
                                        ; =>    This Inner Loop Header: Depth=3
	s_waitcnt lgkmcnt(0)
	v_add_f64 v[7:8], v[4:5], v[2:3]
	ds_cmpstore_rtn_b64 v[7:8], v6, v[7:8], v[4:5]
	s_waitcnt lgkmcnt(0)
	v_cmp_eq_u64_e32 vcc_lo, v[7:8], v[4:5]
	v_dual_mov_b32 v4, v7 :: v_dual_mov_b32 v5, v8
	s_or_b32 s17, vcc_lo, s17
	s_delay_alu instid0(SALU_CYCLE_1)
	s_and_not1_b32 exec_lo, exec_lo, s17
	s_cbranch_execnz .LBB65_175
; %bb.176:                              ;   in Loop: Header=BB65_169 Depth=2
	s_or_b32 exec_lo, exec_lo, s17
	ds_load_b64 v[4:5], v6 offset:8
	s_mov_b32 s17, 0
.LBB65_177:                             ;   Parent Loop BB65_107 Depth=1
                                        ;     Parent Loop BB65_169 Depth=2
                                        ; =>    This Inner Loop Header: Depth=3
	s_waitcnt lgkmcnt(0)
	v_add_f64 v[7:8], v[4:5], v[0:1]
	ds_cmpstore_rtn_b64 v[7:8], v6, v[7:8], v[4:5] offset:8
	s_waitcnt lgkmcnt(0)
	v_cmp_eq_u64_e32 vcc_lo, v[7:8], v[4:5]
	v_dual_mov_b32 v4, v7 :: v_dual_mov_b32 v5, v8
	s_or_b32 s17, vcc_lo, s17
	s_delay_alu instid0(SALU_CYCLE_1)
	s_and_not1_b32 exec_lo, exec_lo, s17
	s_cbranch_execnz .LBB65_177
; %bb.178:                              ;   in Loop: Header=BB65_169 Depth=2
	s_or_b32 exec_lo, exec_lo, s17
	s_delay_alu instid0(SALU_CYCLE_1)
	s_xor_b32 s17, exec_lo, -1
.LBB65_179:                             ;   in Loop: Header=BB65_169 Depth=2
	s_or_b32 exec_lo, exec_lo, s15
	s_delay_alu instid0(SALU_CYCLE_1) | instskip(SKIP_1) | instid1(SALU_CYCLE_1)
	s_and_not1_b32 s13, s13, exec_lo
	s_and_b32 s15, s17, exec_lo
	s_or_b32 s13, s13, s15
.LBB65_180:                             ;   in Loop: Header=BB65_169 Depth=2
	s_or_b32 exec_lo, exec_lo, s14
	s_delay_alu instid0(SALU_CYCLE_1)
	s_and_b32 s13, s13, exec_lo
.LBB65_181:                             ;   in Loop: Header=BB65_169 Depth=2
	s_and_not1_saveexec_b32 s12, s12
	s_cbranch_execz .LBB65_168
; %bb.182:                              ;   in Loop: Header=BB65_169 Depth=2
	v_lshl_add_u32 v6, v30, 6, v28
	s_mov_b32 s14, 0
	ds_load_b64 v[4:5], v6
.LBB65_183:                             ;   Parent Loop BB65_107 Depth=1
                                        ;     Parent Loop BB65_169 Depth=2
                                        ; =>    This Inner Loop Header: Depth=3
	s_waitcnt lgkmcnt(0)
	v_add_f64 v[7:8], v[4:5], v[2:3]
	ds_cmpstore_rtn_b64 v[7:8], v6, v[7:8], v[4:5]
	s_waitcnt lgkmcnt(0)
	v_cmp_eq_u64_e32 vcc_lo, v[7:8], v[4:5]
	v_dual_mov_b32 v4, v7 :: v_dual_mov_b32 v5, v8
	s_or_b32 s14, vcc_lo, s14
	s_delay_alu instid0(SALU_CYCLE_1)
	s_and_not1_b32 exec_lo, exec_lo, s14
	s_cbranch_execnz .LBB65_183
; %bb.184:                              ;   in Loop: Header=BB65_169 Depth=2
	s_or_b32 exec_lo, exec_lo, s14
	ds_load_b64 v[4:5], v6 offset:8
	s_mov_b32 s14, 0
.LBB65_185:                             ;   Parent Loop BB65_107 Depth=1
                                        ;     Parent Loop BB65_169 Depth=2
                                        ; =>    This Inner Loop Header: Depth=3
	s_waitcnt lgkmcnt(0)
	v_add_f64 v[7:8], v[4:5], v[0:1]
	ds_cmpstore_rtn_b64 v[7:8], v6, v[7:8], v[4:5] offset:8
	s_waitcnt lgkmcnt(0)
	v_cmp_eq_u64_e32 vcc_lo, v[7:8], v[4:5]
	v_dual_mov_b32 v4, v7 :: v_dual_mov_b32 v5, v8
	s_or_b32 s14, vcc_lo, s14
	s_delay_alu instid0(SALU_CYCLE_1)
	s_and_not1_b32 exec_lo, exec_lo, s14
	s_cbranch_execnz .LBB65_185
; %bb.186:                              ;   in Loop: Header=BB65_169 Depth=2
	s_or_b32 exec_lo, exec_lo, s14
	s_delay_alu instid0(SALU_CYCLE_1)
	s_and_not1_b32 s13, s13, exec_lo
	s_branch .LBB65_168
.LBB65_187:
	s_or_b32 exec_lo, exec_lo, s1
	buffer_gl0_inv
	s_and_b32 exec_lo, exec_lo, s0
	s_cbranch_execz .LBB65_16
.LBB65_188:
	v_lshl_add_u32 v0, v50, 2, v51
	ds_load_b32 v0, v0
	s_waitcnt lgkmcnt(0)
	v_cmp_gt_i32_e32 vcc_lo, s18, v0
	s_and_b32 exec_lo, exec_lo, vcc_lo
	s_cbranch_execz .LBB65_16
; %bb.189:
	v_lshlrev_b64 v[1:2], 2, v[20:21]
	v_lshlrev_b32_e32 v10, 2, v50
	s_cmp_eq_u32 s16, 0
	s_cselect_b32 s0, 1, 2
	s_cselect_b32 s1, 2, 1
	s_delay_alu instid0(VALU_DEP_2)
	v_add_co_u32 v1, vcc_lo, s10, v1
	v_add_co_ci_u32_e32 v2, vcc_lo, s11, v2, vcc_lo
	global_load_b32 v9, v[1:2], off
	ds_load_b128 v[1:4], v51
	ds_load_b128 v[5:8], v51 offset:16
	s_waitcnt lgkmcnt(1)
	v_cmp_gt_i32_e32 vcc_lo, v0, v1
	v_cndmask_b32_e64 v1, 0, 1, vcc_lo
	v_cmp_gt_i32_e32 vcc_lo, v0, v3
	v_cndmask_b32_e64 v3, 0, 1, vcc_lo
	v_cmp_gt_i32_e32 vcc_lo, v0, v2
	s_waitcnt vmcnt(0)
	v_subrev_nc_u32_e32 v9, s38, v9
	s_delay_alu instid0(VALU_DEP_1)
	v_add_co_ci_u32_e32 v1, vcc_lo, v9, v1, vcc_lo
	s_waitcnt lgkmcnt(0)
	v_cmp_gt_i32_e32 vcc_lo, v0, v5
	v_lshl_add_u32 v5, v50, 6, v52
	v_cndmask_b32_e64 v2, 0, 1, vcc_lo
	v_cmp_gt_i32_e32 vcc_lo, v0, v4
	v_or_b32_e32 v4, s1, v10
	v_add_co_ci_u32_e32 v1, vcc_lo, v1, v3, vcc_lo
	v_cmp_gt_i32_e32 vcc_lo, v0, v7
	s_delay_alu instid0(VALU_DEP_3)
	v_lshl_add_u32 v13, v4, 4, v52
	v_cndmask_b32_e64 v3, 0, 1, vcc_lo
	v_cmp_gt_i32_e32 vcc_lo, v0, v6
	v_add_co_ci_u32_e32 v1, vcc_lo, v1, v2, vcc_lo
	v_cmp_gt_i32_e32 vcc_lo, v0, v8
	v_or_b32_e32 v2, s0, v10
	v_add_nc_u32_e32 v0, s38, v0
	s_delay_alu instid0(VALU_DEP_4) | instskip(NEXT) | instid1(VALU_DEP_3)
	v_add_co_ci_u32_e32 v17, vcc_lo, v1, v3, vcc_lo
	v_lshl_add_u32 v9, v2, 4, v52
	ds_load_2addr_b64 v[1:4], v5 offset1:1
	ds_load_2addr_b64 v[5:8], v5 offset0:6 offset1:7
	ds_load_2addr_b64 v[9:12], v9 offset1:1
	ds_load_2addr_b64 v[13:16], v13 offset1:1
	v_lshlrev_b32_e32 v19, 2, v17
	v_ashrrev_i32_e32 v18, 31, v17
	s_delay_alu instid0(VALU_DEP_2) | instskip(NEXT) | instid1(VALU_DEP_2)
	v_ashrrev_i32_e32 v20, 31, v19
	v_lshlrev_b64 v[17:18], 2, v[17:18]
	s_delay_alu instid0(VALU_DEP_2) | instskip(NEXT) | instid1(VALU_DEP_2)
	v_lshlrev_b64 v[19:20], 4, v[19:20]
	v_add_co_u32 v17, vcc_lo, s40, v17
	s_delay_alu instid0(VALU_DEP_3) | instskip(NEXT) | instid1(VALU_DEP_3)
	v_add_co_ci_u32_e32 v18, vcc_lo, s41, v18, vcc_lo
	v_add_co_u32 v19, vcc_lo, s42, v19
	s_delay_alu instid0(VALU_DEP_4)
	v_add_co_ci_u32_e32 v20, vcc_lo, s43, v20, vcc_lo
	global_store_b32 v[17:18], v0, off
	s_waitcnt lgkmcnt(3)
	global_store_b128 v[19:20], v[1:4], off
	s_waitcnt lgkmcnt(1)
	global_store_b128 v[19:20], v[9:12], off offset:16
	s_waitcnt lgkmcnt(0)
	s_clause 0x1
	global_store_b128 v[19:20], v[13:16], off offset:32
	global_store_b128 v[19:20], v[5:8], off offset:48
	s_nop 0
	s_sendmsg sendmsg(MSG_DEALLOC_VGPRS)
	s_endpgm
	.section	.rodata,"a",@progbits
	.p2align	6, 0x0
	.amdhsa_kernel _ZN9rocsparseL27bsrgemm_fill_wf_per_row_2x2ILj256ELj16ELj8ELj137Eii21rocsparse_complex_numIdEEEv20rocsparse_direction_T4_S4_PKS4_S6_NS_24const_host_device_scalarIT5_EEPKT3_S6_PKS8_SC_S6_SE_S9_SC_S6_SE_SC_PS4_PS8_21rocsparse_index_base_SH_SH_SH_bbb
		.amdhsa_group_segment_fixed_size 12800
		.amdhsa_private_segment_fixed_size 0
		.amdhsa_kernarg_size 180
		.amdhsa_user_sgpr_count 15
		.amdhsa_user_sgpr_dispatch_ptr 1
		.amdhsa_user_sgpr_queue_ptr 0
		.amdhsa_user_sgpr_kernarg_segment_ptr 1
		.amdhsa_user_sgpr_dispatch_id 0
		.amdhsa_user_sgpr_private_segment_size 0
		.amdhsa_wavefront_size32 1
		.amdhsa_uses_dynamic_stack 0
		.amdhsa_enable_private_segment 0
		.amdhsa_system_sgpr_workgroup_id_x 1
		.amdhsa_system_sgpr_workgroup_id_y 0
		.amdhsa_system_sgpr_workgroup_id_z 0
		.amdhsa_system_sgpr_workgroup_info 0
		.amdhsa_system_vgpr_workitem_id 2
		.amdhsa_next_free_vgpr 64
		.amdhsa_next_free_sgpr 48
		.amdhsa_reserve_vcc 1
		.amdhsa_float_round_mode_32 0
		.amdhsa_float_round_mode_16_64 0
		.amdhsa_float_denorm_mode_32 3
		.amdhsa_float_denorm_mode_16_64 3
		.amdhsa_dx10_clamp 1
		.amdhsa_ieee_mode 1
		.amdhsa_fp16_overflow 0
		.amdhsa_workgroup_processor_mode 1
		.amdhsa_memory_ordered 1
		.amdhsa_forward_progress 0
		.amdhsa_shared_vgpr_count 0
		.amdhsa_exception_fp_ieee_invalid_op 0
		.amdhsa_exception_fp_denorm_src 0
		.amdhsa_exception_fp_ieee_div_zero 0
		.amdhsa_exception_fp_ieee_overflow 0
		.amdhsa_exception_fp_ieee_underflow 0
		.amdhsa_exception_fp_ieee_inexact 0
		.amdhsa_exception_int_div_zero 0
	.end_amdhsa_kernel
	.section	.text._ZN9rocsparseL27bsrgemm_fill_wf_per_row_2x2ILj256ELj16ELj8ELj137Eii21rocsparse_complex_numIdEEEv20rocsparse_direction_T4_S4_PKS4_S6_NS_24const_host_device_scalarIT5_EEPKT3_S6_PKS8_SC_S6_SE_S9_SC_S6_SE_SC_PS4_PS8_21rocsparse_index_base_SH_SH_SH_bbb,"axG",@progbits,_ZN9rocsparseL27bsrgemm_fill_wf_per_row_2x2ILj256ELj16ELj8ELj137Eii21rocsparse_complex_numIdEEEv20rocsparse_direction_T4_S4_PKS4_S6_NS_24const_host_device_scalarIT5_EEPKT3_S6_PKS8_SC_S6_SE_S9_SC_S6_SE_SC_PS4_PS8_21rocsparse_index_base_SH_SH_SH_bbb,comdat
.Lfunc_end65:
	.size	_ZN9rocsparseL27bsrgemm_fill_wf_per_row_2x2ILj256ELj16ELj8ELj137Eii21rocsparse_complex_numIdEEEv20rocsparse_direction_T4_S4_PKS4_S6_NS_24const_host_device_scalarIT5_EEPKT3_S6_PKS8_SC_S6_SE_S9_SC_S6_SE_SC_PS4_PS8_21rocsparse_index_base_SH_SH_SH_bbb, .Lfunc_end65-_ZN9rocsparseL27bsrgemm_fill_wf_per_row_2x2ILj256ELj16ELj8ELj137Eii21rocsparse_complex_numIdEEEv20rocsparse_direction_T4_S4_PKS4_S6_NS_24const_host_device_scalarIT5_EEPKT3_S6_PKS8_SC_S6_SE_S9_SC_S6_SE_SC_PS4_PS8_21rocsparse_index_base_SH_SH_SH_bbb
                                        ; -- End function
	.section	.AMDGPU.csdata,"",@progbits
; Kernel info:
; codeLenInByte = 6860
; NumSgprs: 50
; NumVgprs: 64
; ScratchSize: 0
; MemoryBound: 0
; FloatMode: 240
; IeeeMode: 1
; LDSByteSize: 12800 bytes/workgroup (compile time only)
; SGPRBlocks: 6
; VGPRBlocks: 7
; NumSGPRsForWavesPerEU: 50
; NumVGPRsForWavesPerEU: 64
; Occupancy: 16
; WaveLimiterHint : 1
; COMPUTE_PGM_RSRC2:SCRATCH_EN: 0
; COMPUTE_PGM_RSRC2:USER_SGPR: 15
; COMPUTE_PGM_RSRC2:TRAP_HANDLER: 0
; COMPUTE_PGM_RSRC2:TGID_X_EN: 1
; COMPUTE_PGM_RSRC2:TGID_Y_EN: 0
; COMPUTE_PGM_RSRC2:TGID_Z_EN: 0
; COMPUTE_PGM_RSRC2:TIDIG_COMP_CNT: 2
	.section	.text._ZN9rocsparseL27bsrgemm_fill_wf_per_row_2x2ILj256ELj16ELj16ELj137Eii21rocsparse_complex_numIdEEEv20rocsparse_direction_T4_S4_PKS4_S6_NS_24const_host_device_scalarIT5_EEPKT3_S6_PKS8_SC_S6_SE_S9_SC_S6_SE_SC_PS4_PS8_21rocsparse_index_base_SH_SH_SH_bbb,"axG",@progbits,_ZN9rocsparseL27bsrgemm_fill_wf_per_row_2x2ILj256ELj16ELj16ELj137Eii21rocsparse_complex_numIdEEEv20rocsparse_direction_T4_S4_PKS4_S6_NS_24const_host_device_scalarIT5_EEPKT3_S6_PKS8_SC_S6_SE_S9_SC_S6_SE_SC_PS4_PS8_21rocsparse_index_base_SH_SH_SH_bbb,comdat
	.globl	_ZN9rocsparseL27bsrgemm_fill_wf_per_row_2x2ILj256ELj16ELj16ELj137Eii21rocsparse_complex_numIdEEEv20rocsparse_direction_T4_S4_PKS4_S6_NS_24const_host_device_scalarIT5_EEPKT3_S6_PKS8_SC_S6_SE_S9_SC_S6_SE_SC_PS4_PS8_21rocsparse_index_base_SH_SH_SH_bbb ; -- Begin function _ZN9rocsparseL27bsrgemm_fill_wf_per_row_2x2ILj256ELj16ELj16ELj137Eii21rocsparse_complex_numIdEEEv20rocsparse_direction_T4_S4_PKS4_S6_NS_24const_host_device_scalarIT5_EEPKT3_S6_PKS8_SC_S6_SE_S9_SC_S6_SE_SC_PS4_PS8_21rocsparse_index_base_SH_SH_SH_bbb
	.p2align	8
	.type	_ZN9rocsparseL27bsrgemm_fill_wf_per_row_2x2ILj256ELj16ELj16ELj137Eii21rocsparse_complex_numIdEEEv20rocsparse_direction_T4_S4_PKS4_S6_NS_24const_host_device_scalarIT5_EEPKT3_S6_PKS8_SC_S6_SE_S9_SC_S6_SE_SC_PS4_PS8_21rocsparse_index_base_SH_SH_SH_bbb,@function
_ZN9rocsparseL27bsrgemm_fill_wf_per_row_2x2ILj256ELj16ELj16ELj137Eii21rocsparse_complex_numIdEEEv20rocsparse_direction_T4_S4_PKS4_S6_NS_24const_host_device_scalarIT5_EEPKT3_S6_PKS8_SC_S6_SE_S9_SC_S6_SE_SC_PS4_PS8_21rocsparse_index_base_SH_SH_SH_bbb: ; @_ZN9rocsparseL27bsrgemm_fill_wf_per_row_2x2ILj256ELj16ELj16ELj137Eii21rocsparse_complex_numIdEEEv20rocsparse_direction_T4_S4_PKS4_S6_NS_24const_host_device_scalarIT5_EEPKT3_S6_PKS8_SC_S6_SE_S9_SC_S6_SE_SC_PS4_PS8_21rocsparse_index_base_SH_SH_SH_bbb
; %bb.0:
	s_clause 0x3
	s_load_b32 s14, s[0:1], 0xb0
	s_load_b128 s[4:7], s[0:1], 0x20
	s_load_b128 s[44:47], s[0:1], 0x60
	;; [unrolled: 1-line block ×3, first 2 shown]
	v_mov_b32_e32 v16, 0
	v_mov_b32_e32 v17, 0
	s_waitcnt lgkmcnt(0)
	s_bitcmp1_b32 s14, 0
	v_dual_mov_b32 v1, s4 :: v_dual_mov_b32 v2, s5
	s_cselect_b32 s13, -1, 0
	s_bitcmp1_b32 s14, 16
	v_dual_mov_b32 v23, v17 :: v_dual_mov_b32 v22, v16
	s_cselect_b32 s2, -1, 0
	v_dual_mov_b32 v25, v17 :: v_dual_mov_b32 v24, v16
	s_xor_b32 s3, s2, -1
	v_dual_mov_b32 v3, s44 :: v_dual_mov_b32 v4, s45
	v_cndmask_b32_e64 v5, 0, 1, s3
	s_bitcmp0_b32 s14, 0
	s_clause 0x1
	scratch_store_b64 off, v[1:2], off
	scratch_store_b64 off, v[3:4], off offset:8
	v_cmp_ne_u32_e32 vcc_lo, 1, v5
	s_cbranch_scc1 .LBB66_3
; %bb.1:
	s_mov_b64 s[8:9], src_private_base
	s_and_b32 s8, s2, exec_lo
	s_cselect_b32 s8, s9, s5
	s_delay_alu instid0(SALU_CYCLE_1) | instskip(SKIP_2) | instid1(VALU_DEP_2)
	v_dual_mov_b32 v1, 0 :: v_dual_mov_b32 v2, s8
	v_dual_mov_b32 v25, s7 :: v_dual_mov_b32 v24, s6
	s_and_b32 vcc_lo, exec_lo, vcc_lo
	v_cndmask_b32_e64 v1, s4, v1, s2
	flat_load_b64 v[22:23], v[1:2]
	s_cbranch_vccnz .LBB66_3
; %bb.2:
	v_dual_mov_b32 v1, s4 :: v_dual_mov_b32 v2, s5
	flat_load_b64 v[24:25], v[1:2] offset:8
.LBB66_3:
	s_clause 0x4
	s_load_b128 s[28:31], s[0:1], 0x90
	s_load_b256 s[4:11], s[0:1], 0x70
	s_load_b128 s[36:39], s[0:1], 0x50
	s_load_b128 s[40:43], s[0:1], 0x10
	s_load_b256 s[16:23], s[0:1], 0x30
	s_bitcmp1_b32 s14, 8
	v_dual_mov_b32 v19, v17 :: v_dual_mov_b32 v18, v16
	s_cselect_b32 s12, -1, 0
	s_bfe_u32 s14, s14, 0x10008
	s_delay_alu instid0(SALU_CYCLE_1)
	s_cmp_eq_u32 s14, 0
	s_cbranch_scc1 .LBB66_6
; %bb.4:
	s_mov_b64 s[34:35], src_private_base
	s_and_b32 s14, s2, exec_lo
	s_cselect_b32 s14, s35, s45
	s_delay_alu instid0(SALU_CYCLE_1) | instskip(SKIP_2) | instid1(VALU_DEP_2)
	v_dual_mov_b32 v1, 8 :: v_dual_mov_b32 v2, s14
	v_dual_mov_b32 v16, s46 :: v_dual_mov_b32 v17, s47
	s_and_not1_b32 vcc_lo, exec_lo, s3
	v_cndmask_b32_e64 v1, s44, v1, s2
	flat_load_b64 v[18:19], v[1:2]
	s_cbranch_vccnz .LBB66_6
; %bb.5:
	v_dual_mov_b32 v1, s44 :: v_dual_mov_b32 v2, s45
	flat_load_b64 v[16:17], v[1:2] offset:8
.LBB66_6:
	s_load_b128 s[0:3], s[0:1], 0x0
	v_and_b32_e32 v1, 0xf0, v0
	v_and_b32_e32 v50, 15, v0
	v_lshrrev_b32_e32 v4, 4, v0
	v_mov_b32_e32 v0, 0
	s_waitcnt lgkmcnt(0)
	s_mov_b32 s3, 0
	v_lshl_or_b32 v52, v1, 2, 0x4000
	s_delay_alu instid0(VALU_DEP_2) | instskip(SKIP_1) | instid1(VALU_DEP_3)
	v_dual_mov_b32 v1, v0 :: v_dual_lshlrev_b32 v2, 4, v50
	v_or_b32_e32 v5, -16, v50
	v_lshl_or_b32 v53, v50, 2, v52
	v_mov_b32_e32 v3, v0
	v_mov_b32_e32 v7, s2
	v_lshl_or_b32 v6, v4, 10, v2
	v_mov_b32_e32 v2, v0
	ds_store_b32 v53, v7
.LBB66_7:                               ; =>This Inner Loop Header: Depth=1
	v_add_nc_u32_e32 v5, 16, v5
	ds_store_b128 v6, v[0:3]
	v_add_nc_u32_e32 v6, 0x100, v6
	v_cmp_lt_u32_e32 vcc_lo, 47, v5
	s_or_b32 s3, vcc_lo, s3
	s_delay_alu instid0(SALU_CYCLE_1)
	s_and_not1_b32 exec_lo, exec_lo, s3
	s_cbranch_execnz .LBB66_7
; %bb.8:
	s_or_b32 exec_lo, exec_lo, s3
	v_lshl_or_b32 v0, s15, 4, v4
	s_waitcnt vmcnt(0) lgkmcnt(0)
	s_waitcnt_vscnt null, 0x0
	s_barrier
	buffer_gl0_inv
	v_cmp_gt_i32_e32 vcc_lo, s1, v0
	s_and_saveexec_b32 s1, vcc_lo
	s_cbranch_execz .LBB66_186
; %bb.9:
	s_cmp_eq_u64 s[42:43], 0
	s_cbranch_scc1 .LBB66_11
; %bb.10:
	s_load_b32 s1, s[40:41], 0x0
	s_waitcnt lgkmcnt(0)
	v_add_nc_u32_e32 v0, s1, v0
	s_delay_alu instid0(VALU_DEP_1) | instskip(NEXT) | instid1(VALU_DEP_1)
	v_ashrrev_i32_e32 v1, 31, v0
	v_lshlrev_b64 v[0:1], 2, v[0:1]
	s_delay_alu instid0(VALU_DEP_1) | instskip(NEXT) | instid1(VALU_DEP_2)
	v_add_co_u32 v0, vcc_lo, s42, v0
	v_add_co_ci_u32_e32 v1, vcc_lo, s43, v1, vcc_lo
	global_load_b32 v0, v[0:1], off
.LBB66_11:
	s_waitcnt vmcnt(0)
	v_ashrrev_i32_e32 v1, 31, v0
	v_lshlrev_b32_e32 v51, 10, v4
	s_and_not1_b32 vcc_lo, exec_lo, s13
	s_delay_alu instid0(VALU_DEP_2)
	v_lshlrev_b64 v[20:21], 2, v[0:1]
	s_cbranch_vccnz .LBB66_99
; %bb.12:
	s_delay_alu instid0(VALU_DEP_1) | instskip(NEXT) | instid1(VALU_DEP_2)
	v_add_co_u32 v0, vcc_lo, s16, v20
	v_add_co_ci_u32_e32 v1, vcc_lo, s17, v21, vcc_lo
	v_subrev_nc_u32_e32 v2, s24, v50
	s_mov_b32 s1, exec_lo
	global_load_b64 v[0:1], v[0:1], off
	s_waitcnt vmcnt(0)
	v_subrev_nc_u32_e32 v54, s24, v1
	v_add_nc_u32_e32 v26, v0, v2
	s_delay_alu instid0(VALU_DEP_1)
	v_cmpx_lt_i32_e64 v26, v54
	s_cbranch_execz .LBB66_98
; %bb.13:
	v_add_nc_u32_e32 v55, 16, v51
	v_add_nc_u32_e32 v56, 32, v51
	;; [unrolled: 1-line block ×3, first 2 shown]
	s_cmp_eq_u32 s0, 0
	s_mov_b32 s3, 0
	s_cselect_b32 s13, 1, 2
	s_cselect_b32 s14, 2, 1
	s_branch .LBB66_15
.LBB66_14:                              ;   in Loop: Header=BB66_15 Depth=1
	s_or_b32 exec_lo, exec_lo, s15
	v_add_nc_u32_e32 v26, 16, v26
	s_delay_alu instid0(VALU_DEP_1) | instskip(SKIP_1) | instid1(SALU_CYCLE_1)
	v_cmp_ge_i32_e32 vcc_lo, v26, v54
	s_or_b32 s3, vcc_lo, s3
	s_and_not1_b32 exec_lo, exec_lo, s3
	s_cbranch_execz .LBB66_98
.LBB66_15:                              ; =>This Loop Header: Depth=1
                                        ;     Child Loop BB66_18 Depth 2
                                        ;       Child Loop BB66_20 Depth 3
                                        ;         Child Loop BB66_26 Depth 4
                                        ;         Child Loop BB66_28 Depth 4
                                        ;         Child Loop BB66_34 Depth 4
                                        ;         Child Loop BB66_36 Depth 4
                                        ;       Child Loop BB66_40 Depth 3
                                        ;         Child Loop BB66_46 Depth 4
                                        ;         Child Loop BB66_48 Depth 4
                                        ;         Child Loop BB66_54 Depth 4
                                        ;         Child Loop BB66_56 Depth 4
	;; [unrolled: 5-line block ×4, first 2 shown]
	v_ashrrev_i32_e32 v27, 31, v26
	s_mov_b32 s15, exec_lo
	s_delay_alu instid0(VALU_DEP_1) | instskip(NEXT) | instid1(VALU_DEP_1)
	v_lshlrev_b64 v[0:1], 2, v[26:27]
	v_add_co_u32 v0, vcc_lo, s18, v0
	s_delay_alu instid0(VALU_DEP_2) | instskip(SKIP_3) | instid1(VALU_DEP_1)
	v_add_co_ci_u32_e32 v1, vcc_lo, s19, v1, vcc_lo
	global_load_b32 v0, v[0:1], off
	s_waitcnt vmcnt(0)
	v_subrev_nc_u32_e32 v0, s24, v0
	v_ashrrev_i32_e32 v1, 31, v0
	s_delay_alu instid0(VALU_DEP_1) | instskip(NEXT) | instid1(VALU_DEP_1)
	v_lshlrev_b64 v[0:1], 2, v[0:1]
	v_add_co_u32 v0, vcc_lo, s22, v0
	s_delay_alu instid0(VALU_DEP_2)
	v_add_co_ci_u32_e32 v1, vcc_lo, s23, v1, vcc_lo
	global_load_b64 v[0:1], v[0:1], off
	s_waitcnt vmcnt(0)
	v_cmpx_lt_i32_e64 v0, v1
	s_cbranch_execz .LBB66_14
; %bb.16:                               ;   in Loop: Header=BB66_15 Depth=1
	v_lshlrev_b32_e32 v2, 2, v26
	v_subrev_nc_u32_e32 v58, s25, v1
	s_mov_b32 s16, 0
	s_delay_alu instid0(VALU_DEP_2) | instskip(SKIP_2) | instid1(VALU_DEP_3)
	v_or_b32_e32 v4, s13, v2
	v_ashrrev_i32_e32 v3, 31, v2
	v_or_b32_e32 v6, s14, v2
	v_ashrrev_i32_e32 v5, 31, v4
	s_delay_alu instid0(VALU_DEP_3) | instskip(NEXT) | instid1(VALU_DEP_3)
	v_lshlrev_b64 v[2:3], 4, v[2:3]
	v_ashrrev_i32_e32 v7, 31, v6
	s_delay_alu instid0(VALU_DEP_3) | instskip(NEXT) | instid1(VALU_DEP_3)
	v_lshlrev_b64 v[10:11], 4, v[4:5]
	v_add_co_u32 v8, vcc_lo, s20, v2
	s_delay_alu instid0(VALU_DEP_3) | instskip(SKIP_1) | instid1(VALU_DEP_4)
	v_lshlrev_b64 v[6:7], 4, v[6:7]
	v_add_co_ci_u32_e32 v9, vcc_lo, s21, v3, vcc_lo
	v_add_co_u32 v10, vcc_lo, s20, v10
	v_add_co_ci_u32_e32 v11, vcc_lo, s21, v11, vcc_lo
	s_delay_alu instid0(VALU_DEP_4)
	v_add_co_u32 v14, vcc_lo, s20, v6
	v_add_co_ci_u32_e32 v15, vcc_lo, s21, v7, vcc_lo
	s_clause 0x3
	global_load_b128 v[2:5], v[8:9], off
	global_load_b128 v[6:9], v[8:9], off offset:48
	global_load_b128 v[10:13], v[10:11], off
	global_load_b128 v[41:44], v[14:15], off
	s_waitcnt vmcnt(2)
	v_mul_f64 v[31:32], v[8:9], -v[24:25]
	v_mul_f64 v[14:15], v[4:5], -v[24:25]
	v_mul_f64 v[4:5], v[22:23], v[4:5]
	v_mul_f64 v[8:9], v[22:23], v[8:9]
	s_waitcnt vmcnt(1)
	v_mul_f64 v[35:36], v[12:13], -v[24:25]
	v_mul_f64 v[12:13], v[22:23], v[12:13]
	s_waitcnt vmcnt(0)
	v_mul_f64 v[39:40], v[43:44], -v[24:25]
	v_mul_f64 v[43:44], v[22:23], v[43:44]
	v_fma_f64 v[31:32], v[22:23], v[6:7], v[31:32]
	v_fma_f64 v[27:28], v[22:23], v[2:3], v[14:15]
	;; [unrolled: 1-line block ×8, first 2 shown]
	v_subrev_nc_u32_e32 v43, s25, v0
	s_branch .LBB66_18
.LBB66_17:                              ;   in Loop: Header=BB66_18 Depth=2
	s_or_b32 exec_lo, exec_lo, s17
	v_add_nc_u32_e32 v43, 1, v43
	s_delay_alu instid0(VALU_DEP_1) | instskip(SKIP_1) | instid1(SALU_CYCLE_1)
	v_cmp_ge_i32_e32 vcc_lo, v43, v58
	s_or_b32 s16, vcc_lo, s16
	s_and_not1_b32 exec_lo, exec_lo, s16
	s_cbranch_execz .LBB66_14
.LBB66_18:                              ;   Parent Loop BB66_15 Depth=1
                                        ; =>  This Loop Header: Depth=2
                                        ;       Child Loop BB66_20 Depth 3
                                        ;         Child Loop BB66_26 Depth 4
                                        ;         Child Loop BB66_28 Depth 4
                                        ;         Child Loop BB66_34 Depth 4
                                        ;         Child Loop BB66_36 Depth 4
                                        ;       Child Loop BB66_40 Depth 3
                                        ;         Child Loop BB66_46 Depth 4
                                        ;         Child Loop BB66_48 Depth 4
                                        ;         Child Loop BB66_54 Depth 4
                                        ;         Child Loop BB66_56 Depth 4
	;; [unrolled: 5-line block ×4, first 2 shown]
	s_delay_alu instid0(VALU_DEP_1) | instskip(SKIP_2) | instid1(VALU_DEP_2)
	v_lshlrev_b32_e32 v0, 2, v43
	v_ashrrev_i32_e32 v44, 31, v43
	s_mov_b32 s17, 0
	v_or_b32_e32 v1, s14, v0
	s_delay_alu instid0(VALU_DEP_1) | instskip(NEXT) | instid1(VALU_DEP_1)
	v_ashrrev_i32_e32 v2, 31, v1
	v_lshlrev_b64 v[1:2], 4, v[1:2]
	s_delay_alu instid0(VALU_DEP_1) | instskip(NEXT) | instid1(VALU_DEP_2)
	v_add_co_u32 v1, vcc_lo, s38, v1
	v_add_co_ci_u32_e32 v2, vcc_lo, s39, v2, vcc_lo
	global_load_b128 v[12:15], v[1:2], off
	v_ashrrev_i32_e32 v1, 31, v0
	s_delay_alu instid0(VALU_DEP_1) | instskip(NEXT) | instid1(VALU_DEP_1)
	v_lshlrev_b64 v[1:2], 4, v[0:1]
	v_add_co_u32 v4, vcc_lo, s38, v1
	s_delay_alu instid0(VALU_DEP_2)
	v_add_co_ci_u32_e32 v5, vcc_lo, s39, v2, vcc_lo
	v_lshlrev_b64 v[1:2], 2, v[43:44]
	global_load_b128 v[8:11], v[4:5], off
	v_add_co_u32 v1, vcc_lo, s36, v1
	v_add_co_ci_u32_e32 v2, vcc_lo, s37, v2, vcc_lo
	global_load_b32 v48, v[1:2], off
	s_waitcnt vmcnt(2)
	v_mul_f64 v[44:45], v[14:15], -v[37:38]
	v_mul_f64 v[46:47], v[35:36], v[14:15]
	s_waitcnt vmcnt(0)
	v_subrev_nc_u32_e32 v59, s25, v48
	s_delay_alu instid0(VALU_DEP_1) | instskip(NEXT) | instid1(VALU_DEP_4)
	v_lshl_add_u32 v48, v59, 3, v59
	v_fma_f64 v[44:45], v[35:36], v[12:13], v[44:45]
	s_delay_alu instid0(VALU_DEP_2) | instskip(SKIP_1) | instid1(VALU_DEP_2)
	v_and_b32_e32 v60, 15, v48
	v_fma_f64 v[46:47], v[37:38], v[12:13], v[46:47]
	v_mov_b32_e32 v61, v60
	v_or_b32_e32 v0, s13, v0
	s_delay_alu instid0(VALU_DEP_1) | instskip(NEXT) | instid1(VALU_DEP_1)
	v_ashrrev_i32_e32 v1, 31, v0
	v_lshlrev_b64 v[0:1], 4, v[0:1]
	s_delay_alu instid0(VALU_DEP_1) | instskip(NEXT) | instid1(VALU_DEP_2)
	v_add_co_u32 v0, vcc_lo, s38, v0
	v_add_co_ci_u32_e32 v1, vcc_lo, s39, v1, vcc_lo
	s_clause 0x1
	global_load_b128 v[0:3], v[0:1], off
	global_load_b128 v[4:7], v[4:5], off offset:48
	v_fma_f64 v[44:45], v[27:28], v[8:9], v[44:45]
	v_fma_f64 v[46:47], v[29:30], v[8:9], v[46:47]
	s_delay_alu instid0(VALU_DEP_2) | instskip(NEXT) | instid1(VALU_DEP_2)
	v_fma_f64 v[44:45], -v[29:30], v[10:11], v[44:45]
	v_fma_f64 v[46:47], v[27:28], v[10:11], v[46:47]
	s_branch .LBB66_20
.LBB66_19:                              ;   in Loop: Header=BB66_20 Depth=3
	s_or_b32 exec_lo, exec_lo, s33
	s_xor_b32 s33, s34, -1
	s_delay_alu instid0(SALU_CYCLE_1) | instskip(NEXT) | instid1(SALU_CYCLE_1)
	s_and_b32 s33, exec_lo, s33
	s_or_b32 s17, s33, s17
	s_delay_alu instid0(SALU_CYCLE_1)
	s_and_not1_b32 exec_lo, exec_lo, s17
	s_cbranch_execz .LBB66_38
.LBB66_20:                              ;   Parent Loop BB66_15 Depth=1
                                        ;     Parent Loop BB66_18 Depth=2
                                        ; =>    This Loop Header: Depth=3
                                        ;         Child Loop BB66_26 Depth 4
                                        ;         Child Loop BB66_28 Depth 4
	;; [unrolled: 1-line block ×4, first 2 shown]
	v_lshl_add_u32 v48, v61, 2, v52
	s_mov_b32 s33, exec_lo
                                        ; implicit-def: $sgpr34
	ds_load_b32 v49, v48
	s_waitcnt lgkmcnt(0)
	v_cmpx_ne_u32_e64 v49, v59
	s_xor_b32 s33, exec_lo, s33
	s_cbranch_execz .LBB66_32
; %bb.21:                               ;   in Loop: Header=BB66_20 Depth=3
	s_mov_b32 s35, exec_lo
                                        ; implicit-def: $sgpr34
	v_cmpx_ne_u32_e64 s2, v49
	s_xor_b32 s35, exec_lo, s35
; %bb.22:                               ;   in Loop: Header=BB66_20 Depth=3
	v_add_nc_u32_e32 v48, 1, v61
	s_mov_b32 s34, -1
	s_delay_alu instid0(VALU_DEP_1)
	v_and_b32_e32 v61, 15, v48
                                        ; implicit-def: $vgpr48
; %bb.23:                               ;   in Loop: Header=BB66_20 Depth=3
	s_and_not1_saveexec_b32 s35, s35
	s_cbranch_execz .LBB66_31
; %bb.24:                               ;   in Loop: Header=BB66_20 Depth=3
	v_mov_b32_e32 v49, s2
	s_mov_b32 s41, -1
	s_mov_b32 s40, exec_lo
	ds_cmpstore_rtn_b32 v48, v48, v59, v49
	s_waitcnt lgkmcnt(0)
	v_cmpx_eq_u32_e64 s2, v48
	s_cbranch_execz .LBB66_30
; %bb.25:                               ;   in Loop: Header=BB66_20 Depth=3
	v_lshlrev_b32_e32 v48, 6, v61
	s_mov_b32 s41, 0
	s_delay_alu instid0(VALU_DEP_1)
	v_add_nc_u32_e32 v62, v51, v48
	ds_load_b64 v[48:49], v62
.LBB66_26:                              ;   Parent Loop BB66_15 Depth=1
                                        ;     Parent Loop BB66_18 Depth=2
                                        ;       Parent Loop BB66_20 Depth=3
                                        ; =>      This Inner Loop Header: Depth=4
	s_waitcnt lgkmcnt(0)
	v_add_f64 v[63:64], v[48:49], v[44:45]
	ds_cmpstore_rtn_b64 v[63:64], v62, v[63:64], v[48:49]
	s_waitcnt lgkmcnt(0)
	v_cmp_eq_u64_e32 vcc_lo, v[63:64], v[48:49]
	v_dual_mov_b32 v48, v63 :: v_dual_mov_b32 v49, v64
	s_or_b32 s41, vcc_lo, s41
	s_delay_alu instid0(SALU_CYCLE_1)
	s_and_not1_b32 exec_lo, exec_lo, s41
	s_cbranch_execnz .LBB66_26
; %bb.27:                               ;   in Loop: Header=BB66_20 Depth=3
	s_or_b32 exec_lo, exec_lo, s41
	ds_load_b64 v[48:49], v62 offset:8
	s_mov_b32 s41, 0
.LBB66_28:                              ;   Parent Loop BB66_15 Depth=1
                                        ;     Parent Loop BB66_18 Depth=2
                                        ;       Parent Loop BB66_20 Depth=3
                                        ; =>      This Inner Loop Header: Depth=4
	s_waitcnt lgkmcnt(0)
	v_add_f64 v[63:64], v[48:49], v[46:47]
	ds_cmpstore_rtn_b64 v[63:64], v62, v[63:64], v[48:49] offset:8
	s_waitcnt lgkmcnt(0)
	v_cmp_eq_u64_e32 vcc_lo, v[63:64], v[48:49]
	v_dual_mov_b32 v48, v63 :: v_dual_mov_b32 v49, v64
	s_or_b32 s41, vcc_lo, s41
	s_delay_alu instid0(SALU_CYCLE_1)
	s_and_not1_b32 exec_lo, exec_lo, s41
	s_cbranch_execnz .LBB66_28
; %bb.29:                               ;   in Loop: Header=BB66_20 Depth=3
	s_or_b32 exec_lo, exec_lo, s41
	s_delay_alu instid0(SALU_CYCLE_1)
	s_xor_b32 s41, exec_lo, -1
.LBB66_30:                              ;   in Loop: Header=BB66_20 Depth=3
	s_or_b32 exec_lo, exec_lo, s40
	s_delay_alu instid0(SALU_CYCLE_1) | instskip(SKIP_1) | instid1(SALU_CYCLE_1)
	s_and_not1_b32 s34, s34, exec_lo
	s_and_b32 s40, s41, exec_lo
	s_or_b32 s34, s34, s40
.LBB66_31:                              ;   in Loop: Header=BB66_20 Depth=3
	s_or_b32 exec_lo, exec_lo, s35
	s_delay_alu instid0(SALU_CYCLE_1)
	s_and_b32 s34, s34, exec_lo
.LBB66_32:                              ;   in Loop: Header=BB66_20 Depth=3
	s_and_not1_saveexec_b32 s33, s33
	s_cbranch_execz .LBB66_19
; %bb.33:                               ;   in Loop: Header=BB66_20 Depth=3
	v_lshlrev_b32_e32 v48, 6, v61
	s_mov_b32 s35, 0
	s_delay_alu instid0(VALU_DEP_1)
	v_add_nc_u32_e32 v62, v51, v48
	ds_load_b64 v[48:49], v62
.LBB66_34:                              ;   Parent Loop BB66_15 Depth=1
                                        ;     Parent Loop BB66_18 Depth=2
                                        ;       Parent Loop BB66_20 Depth=3
                                        ; =>      This Inner Loop Header: Depth=4
	s_waitcnt lgkmcnt(0)
	v_add_f64 v[63:64], v[48:49], v[44:45]
	ds_cmpstore_rtn_b64 v[63:64], v62, v[63:64], v[48:49]
	s_waitcnt lgkmcnt(0)
	v_cmp_eq_u64_e32 vcc_lo, v[63:64], v[48:49]
	v_dual_mov_b32 v48, v63 :: v_dual_mov_b32 v49, v64
	s_or_b32 s35, vcc_lo, s35
	s_delay_alu instid0(SALU_CYCLE_1)
	s_and_not1_b32 exec_lo, exec_lo, s35
	s_cbranch_execnz .LBB66_34
; %bb.35:                               ;   in Loop: Header=BB66_20 Depth=3
	s_or_b32 exec_lo, exec_lo, s35
	ds_load_b64 v[48:49], v62 offset:8
	s_mov_b32 s35, 0
.LBB66_36:                              ;   Parent Loop BB66_15 Depth=1
                                        ;     Parent Loop BB66_18 Depth=2
                                        ;       Parent Loop BB66_20 Depth=3
                                        ; =>      This Inner Loop Header: Depth=4
	s_waitcnt lgkmcnt(0)
	v_add_f64 v[63:64], v[48:49], v[46:47]
	ds_cmpstore_rtn_b64 v[63:64], v62, v[63:64], v[48:49] offset:8
	s_waitcnt lgkmcnt(0)
	v_cmp_eq_u64_e32 vcc_lo, v[63:64], v[48:49]
	v_dual_mov_b32 v48, v63 :: v_dual_mov_b32 v49, v64
	s_or_b32 s35, vcc_lo, s35
	s_delay_alu instid0(SALU_CYCLE_1)
	s_and_not1_b32 exec_lo, exec_lo, s35
	s_cbranch_execnz .LBB66_36
; %bb.37:                               ;   in Loop: Header=BB66_20 Depth=3
	s_or_b32 exec_lo, exec_lo, s35
	s_delay_alu instid0(SALU_CYCLE_1)
	s_and_not1_b32 s34, s34, exec_lo
	s_branch .LBB66_19
.LBB66_38:                              ;   in Loop: Header=BB66_18 Depth=2
	s_or_b32 exec_lo, exec_lo, s17
	s_waitcnt vmcnt(0)
	v_mul_f64 v[44:45], v[6:7], -v[37:38]
	v_mul_f64 v[46:47], v[35:36], v[6:7]
	v_mov_b32_e32 v61, v60
	s_mov_b32 s17, 0
	s_delay_alu instid0(VALU_DEP_3) | instskip(NEXT) | instid1(VALU_DEP_3)
	v_fma_f64 v[44:45], v[35:36], v[4:5], v[44:45]
	v_fma_f64 v[46:47], v[37:38], v[4:5], v[46:47]
	s_delay_alu instid0(VALU_DEP_2) | instskip(NEXT) | instid1(VALU_DEP_2)
	v_fma_f64 v[44:45], v[27:28], v[0:1], v[44:45]
	v_fma_f64 v[46:47], v[29:30], v[0:1], v[46:47]
	s_delay_alu instid0(VALU_DEP_2) | instskip(NEXT) | instid1(VALU_DEP_2)
	v_fma_f64 v[44:45], -v[29:30], v[2:3], v[44:45]
	v_fma_f64 v[46:47], v[27:28], v[2:3], v[46:47]
	s_branch .LBB66_40
.LBB66_39:                              ;   in Loop: Header=BB66_40 Depth=3
	s_or_b32 exec_lo, exec_lo, s33
	s_xor_b32 s33, s34, -1
	s_delay_alu instid0(SALU_CYCLE_1) | instskip(NEXT) | instid1(SALU_CYCLE_1)
	s_and_b32 s33, exec_lo, s33
	s_or_b32 s17, s33, s17
	s_delay_alu instid0(SALU_CYCLE_1)
	s_and_not1_b32 exec_lo, exec_lo, s17
	s_cbranch_execz .LBB66_58
.LBB66_40:                              ;   Parent Loop BB66_15 Depth=1
                                        ;     Parent Loop BB66_18 Depth=2
                                        ; =>    This Loop Header: Depth=3
                                        ;         Child Loop BB66_46 Depth 4
                                        ;         Child Loop BB66_48 Depth 4
                                        ;         Child Loop BB66_54 Depth 4
                                        ;         Child Loop BB66_56 Depth 4
	v_lshl_add_u32 v48, v61, 2, v52
	s_mov_b32 s33, exec_lo
                                        ; implicit-def: $sgpr34
	ds_load_b32 v49, v48
	s_waitcnt lgkmcnt(0)
	v_cmpx_ne_u32_e64 v49, v59
	s_xor_b32 s33, exec_lo, s33
	s_cbranch_execz .LBB66_52
; %bb.41:                               ;   in Loop: Header=BB66_40 Depth=3
	s_mov_b32 s35, exec_lo
                                        ; implicit-def: $sgpr34
	v_cmpx_ne_u32_e64 s2, v49
	s_xor_b32 s35, exec_lo, s35
; %bb.42:                               ;   in Loop: Header=BB66_40 Depth=3
	v_add_nc_u32_e32 v48, 1, v61
	s_mov_b32 s34, -1
	s_delay_alu instid0(VALU_DEP_1)
	v_and_b32_e32 v61, 15, v48
                                        ; implicit-def: $vgpr48
; %bb.43:                               ;   in Loop: Header=BB66_40 Depth=3
	s_and_not1_saveexec_b32 s35, s35
	s_cbranch_execz .LBB66_51
; %bb.44:                               ;   in Loop: Header=BB66_40 Depth=3
	v_mov_b32_e32 v49, s2
	s_mov_b32 s41, -1
	s_mov_b32 s40, exec_lo
	ds_cmpstore_rtn_b32 v48, v48, v59, v49
	s_waitcnt lgkmcnt(0)
	v_cmpx_eq_u32_e64 s2, v48
	s_cbranch_execz .LBB66_50
; %bb.45:                               ;   in Loop: Header=BB66_40 Depth=3
	v_lshl_add_u32 v62, v61, 6, v55
	s_mov_b32 s41, 0
	ds_load_b64 v[48:49], v62
.LBB66_46:                              ;   Parent Loop BB66_15 Depth=1
                                        ;     Parent Loop BB66_18 Depth=2
                                        ;       Parent Loop BB66_40 Depth=3
                                        ; =>      This Inner Loop Header: Depth=4
	s_waitcnt lgkmcnt(0)
	v_add_f64 v[63:64], v[48:49], v[44:45]
	ds_cmpstore_rtn_b64 v[63:64], v62, v[63:64], v[48:49]
	s_waitcnt lgkmcnt(0)
	v_cmp_eq_u64_e32 vcc_lo, v[63:64], v[48:49]
	v_dual_mov_b32 v48, v63 :: v_dual_mov_b32 v49, v64
	s_or_b32 s41, vcc_lo, s41
	s_delay_alu instid0(SALU_CYCLE_1)
	s_and_not1_b32 exec_lo, exec_lo, s41
	s_cbranch_execnz .LBB66_46
; %bb.47:                               ;   in Loop: Header=BB66_40 Depth=3
	s_or_b32 exec_lo, exec_lo, s41
	ds_load_b64 v[48:49], v62 offset:8
	s_mov_b32 s41, 0
.LBB66_48:                              ;   Parent Loop BB66_15 Depth=1
                                        ;     Parent Loop BB66_18 Depth=2
                                        ;       Parent Loop BB66_40 Depth=3
                                        ; =>      This Inner Loop Header: Depth=4
	s_waitcnt lgkmcnt(0)
	v_add_f64 v[63:64], v[48:49], v[46:47]
	ds_cmpstore_rtn_b64 v[63:64], v62, v[63:64], v[48:49] offset:8
	s_waitcnt lgkmcnt(0)
	v_cmp_eq_u64_e32 vcc_lo, v[63:64], v[48:49]
	v_dual_mov_b32 v48, v63 :: v_dual_mov_b32 v49, v64
	s_or_b32 s41, vcc_lo, s41
	s_delay_alu instid0(SALU_CYCLE_1)
	s_and_not1_b32 exec_lo, exec_lo, s41
	s_cbranch_execnz .LBB66_48
; %bb.49:                               ;   in Loop: Header=BB66_40 Depth=3
	s_or_b32 exec_lo, exec_lo, s41
	s_delay_alu instid0(SALU_CYCLE_1)
	s_xor_b32 s41, exec_lo, -1
.LBB66_50:                              ;   in Loop: Header=BB66_40 Depth=3
	s_or_b32 exec_lo, exec_lo, s40
	s_delay_alu instid0(SALU_CYCLE_1) | instskip(SKIP_1) | instid1(SALU_CYCLE_1)
	s_and_not1_b32 s34, s34, exec_lo
	s_and_b32 s40, s41, exec_lo
	s_or_b32 s34, s34, s40
.LBB66_51:                              ;   in Loop: Header=BB66_40 Depth=3
	s_or_b32 exec_lo, exec_lo, s35
	s_delay_alu instid0(SALU_CYCLE_1)
	s_and_b32 s34, s34, exec_lo
.LBB66_52:                              ;   in Loop: Header=BB66_40 Depth=3
	s_and_not1_saveexec_b32 s33, s33
	s_cbranch_execz .LBB66_39
; %bb.53:                               ;   in Loop: Header=BB66_40 Depth=3
	v_lshl_add_u32 v62, v61, 6, v55
	s_mov_b32 s35, 0
	ds_load_b64 v[48:49], v62
.LBB66_54:                              ;   Parent Loop BB66_15 Depth=1
                                        ;     Parent Loop BB66_18 Depth=2
                                        ;       Parent Loop BB66_40 Depth=3
                                        ; =>      This Inner Loop Header: Depth=4
	s_waitcnt lgkmcnt(0)
	v_add_f64 v[63:64], v[48:49], v[44:45]
	ds_cmpstore_rtn_b64 v[63:64], v62, v[63:64], v[48:49]
	s_waitcnt lgkmcnt(0)
	v_cmp_eq_u64_e32 vcc_lo, v[63:64], v[48:49]
	v_dual_mov_b32 v48, v63 :: v_dual_mov_b32 v49, v64
	s_or_b32 s35, vcc_lo, s35
	s_delay_alu instid0(SALU_CYCLE_1)
	s_and_not1_b32 exec_lo, exec_lo, s35
	s_cbranch_execnz .LBB66_54
; %bb.55:                               ;   in Loop: Header=BB66_40 Depth=3
	s_or_b32 exec_lo, exec_lo, s35
	ds_load_b64 v[48:49], v62 offset:8
	s_mov_b32 s35, 0
.LBB66_56:                              ;   Parent Loop BB66_15 Depth=1
                                        ;     Parent Loop BB66_18 Depth=2
                                        ;       Parent Loop BB66_40 Depth=3
                                        ; =>      This Inner Loop Header: Depth=4
	s_waitcnt lgkmcnt(0)
	v_add_f64 v[63:64], v[48:49], v[46:47]
	ds_cmpstore_rtn_b64 v[63:64], v62, v[63:64], v[48:49] offset:8
	s_waitcnt lgkmcnt(0)
	v_cmp_eq_u64_e32 vcc_lo, v[63:64], v[48:49]
	v_dual_mov_b32 v48, v63 :: v_dual_mov_b32 v49, v64
	s_or_b32 s35, vcc_lo, s35
	s_delay_alu instid0(SALU_CYCLE_1)
	s_and_not1_b32 exec_lo, exec_lo, s35
	s_cbranch_execnz .LBB66_56
; %bb.57:                               ;   in Loop: Header=BB66_40 Depth=3
	s_or_b32 exec_lo, exec_lo, s35
	s_delay_alu instid0(SALU_CYCLE_1)
	s_and_not1_b32 s34, s34, exec_lo
	s_branch .LBB66_39
.LBB66_58:                              ;   in Loop: Header=BB66_18 Depth=2
	s_or_b32 exec_lo, exec_lo, s17
	v_mul_f64 v[44:45], v[14:15], -v[33:34]
	v_mul_f64 v[14:15], v[31:32], v[14:15]
	s_mov_b32 s17, 0
	s_delay_alu instid0(VALU_DEP_2) | instskip(NEXT) | instid1(VALU_DEP_2)
	v_fma_f64 v[44:45], v[31:32], v[12:13], v[44:45]
	v_fma_f64 v[12:13], v[33:34], v[12:13], v[14:15]
	s_delay_alu instid0(VALU_DEP_2) | instskip(NEXT) | instid1(VALU_DEP_2)
	v_fma_f64 v[14:15], v[39:40], v[8:9], v[44:45]
	v_fma_f64 v[12:13], v[41:42], v[8:9], v[12:13]
	s_delay_alu instid0(VALU_DEP_2) | instskip(NEXT) | instid1(VALU_DEP_2)
	v_fma_f64 v[8:9], -v[41:42], v[10:11], v[14:15]
	v_fma_f64 v[10:11], v[39:40], v[10:11], v[12:13]
	v_mov_b32_e32 v14, v60
	s_branch .LBB66_60
.LBB66_59:                              ;   in Loop: Header=BB66_60 Depth=3
	s_or_b32 exec_lo, exec_lo, s33
	s_xor_b32 s33, s34, -1
	s_delay_alu instid0(SALU_CYCLE_1) | instskip(NEXT) | instid1(SALU_CYCLE_1)
	s_and_b32 s33, exec_lo, s33
	s_or_b32 s17, s33, s17
	s_delay_alu instid0(SALU_CYCLE_1)
	s_and_not1_b32 exec_lo, exec_lo, s17
	s_cbranch_execz .LBB66_78
.LBB66_60:                              ;   Parent Loop BB66_15 Depth=1
                                        ;     Parent Loop BB66_18 Depth=2
                                        ; =>    This Loop Header: Depth=3
                                        ;         Child Loop BB66_66 Depth 4
                                        ;         Child Loop BB66_68 Depth 4
	;; [unrolled: 1-line block ×4, first 2 shown]
	s_delay_alu instid0(VALU_DEP_1)
	v_lshl_add_u32 v12, v14, 2, v52
	s_mov_b32 s33, exec_lo
                                        ; implicit-def: $sgpr34
	ds_load_b32 v13, v12
	s_waitcnt lgkmcnt(0)
	v_cmpx_ne_u32_e64 v13, v59
	s_xor_b32 s33, exec_lo, s33
	s_cbranch_execz .LBB66_72
; %bb.61:                               ;   in Loop: Header=BB66_60 Depth=3
	s_mov_b32 s35, exec_lo
                                        ; implicit-def: $sgpr34
	v_cmpx_ne_u32_e64 s2, v13
	s_xor_b32 s35, exec_lo, s35
; %bb.62:                               ;   in Loop: Header=BB66_60 Depth=3
	v_add_nc_u32_e32 v12, 1, v14
	s_mov_b32 s34, -1
	s_delay_alu instid0(VALU_DEP_1)
	v_and_b32_e32 v14, 15, v12
                                        ; implicit-def: $vgpr12
; %bb.63:                               ;   in Loop: Header=BB66_60 Depth=3
	s_and_not1_saveexec_b32 s35, s35
	s_cbranch_execz .LBB66_71
; %bb.64:                               ;   in Loop: Header=BB66_60 Depth=3
	v_mov_b32_e32 v13, s2
	s_mov_b32 s41, -1
	s_mov_b32 s40, exec_lo
	ds_cmpstore_rtn_b32 v12, v12, v59, v13
	s_waitcnt lgkmcnt(0)
	v_cmpx_eq_u32_e64 s2, v12
	s_cbranch_execz .LBB66_70
; %bb.65:                               ;   in Loop: Header=BB66_60 Depth=3
	v_lshl_add_u32 v15, v14, 6, v56
	s_mov_b32 s41, 0
	ds_load_b64 v[12:13], v15
.LBB66_66:                              ;   Parent Loop BB66_15 Depth=1
                                        ;     Parent Loop BB66_18 Depth=2
                                        ;       Parent Loop BB66_60 Depth=3
                                        ; =>      This Inner Loop Header: Depth=4
	s_waitcnt lgkmcnt(0)
	v_add_f64 v[44:45], v[12:13], v[8:9]
	ds_cmpstore_rtn_b64 v[44:45], v15, v[44:45], v[12:13]
	s_waitcnt lgkmcnt(0)
	v_cmp_eq_u64_e32 vcc_lo, v[44:45], v[12:13]
	v_dual_mov_b32 v12, v44 :: v_dual_mov_b32 v13, v45
	s_or_b32 s41, vcc_lo, s41
	s_delay_alu instid0(SALU_CYCLE_1)
	s_and_not1_b32 exec_lo, exec_lo, s41
	s_cbranch_execnz .LBB66_66
; %bb.67:                               ;   in Loop: Header=BB66_60 Depth=3
	s_or_b32 exec_lo, exec_lo, s41
	ds_load_b64 v[12:13], v15 offset:8
	s_mov_b32 s41, 0
.LBB66_68:                              ;   Parent Loop BB66_15 Depth=1
                                        ;     Parent Loop BB66_18 Depth=2
                                        ;       Parent Loop BB66_60 Depth=3
                                        ; =>      This Inner Loop Header: Depth=4
	s_waitcnt lgkmcnt(0)
	v_add_f64 v[44:45], v[12:13], v[10:11]
	ds_cmpstore_rtn_b64 v[44:45], v15, v[44:45], v[12:13] offset:8
	s_waitcnt lgkmcnt(0)
	v_cmp_eq_u64_e32 vcc_lo, v[44:45], v[12:13]
	v_dual_mov_b32 v12, v44 :: v_dual_mov_b32 v13, v45
	s_or_b32 s41, vcc_lo, s41
	s_delay_alu instid0(SALU_CYCLE_1)
	s_and_not1_b32 exec_lo, exec_lo, s41
	s_cbranch_execnz .LBB66_68
; %bb.69:                               ;   in Loop: Header=BB66_60 Depth=3
	s_or_b32 exec_lo, exec_lo, s41
	s_delay_alu instid0(SALU_CYCLE_1)
	s_xor_b32 s41, exec_lo, -1
.LBB66_70:                              ;   in Loop: Header=BB66_60 Depth=3
	s_or_b32 exec_lo, exec_lo, s40
	s_delay_alu instid0(SALU_CYCLE_1) | instskip(SKIP_1) | instid1(SALU_CYCLE_1)
	s_and_not1_b32 s34, s34, exec_lo
	s_and_b32 s40, s41, exec_lo
	s_or_b32 s34, s34, s40
.LBB66_71:                              ;   in Loop: Header=BB66_60 Depth=3
	s_or_b32 exec_lo, exec_lo, s35
	s_delay_alu instid0(SALU_CYCLE_1)
	s_and_b32 s34, s34, exec_lo
.LBB66_72:                              ;   in Loop: Header=BB66_60 Depth=3
	s_and_not1_saveexec_b32 s33, s33
	s_cbranch_execz .LBB66_59
; %bb.73:                               ;   in Loop: Header=BB66_60 Depth=3
	v_lshl_add_u32 v15, v14, 6, v56
	s_mov_b32 s35, 0
	ds_load_b64 v[12:13], v15
.LBB66_74:                              ;   Parent Loop BB66_15 Depth=1
                                        ;     Parent Loop BB66_18 Depth=2
                                        ;       Parent Loop BB66_60 Depth=3
                                        ; =>      This Inner Loop Header: Depth=4
	s_waitcnt lgkmcnt(0)
	v_add_f64 v[44:45], v[12:13], v[8:9]
	ds_cmpstore_rtn_b64 v[44:45], v15, v[44:45], v[12:13]
	s_waitcnt lgkmcnt(0)
	v_cmp_eq_u64_e32 vcc_lo, v[44:45], v[12:13]
	v_dual_mov_b32 v12, v44 :: v_dual_mov_b32 v13, v45
	s_or_b32 s35, vcc_lo, s35
	s_delay_alu instid0(SALU_CYCLE_1)
	s_and_not1_b32 exec_lo, exec_lo, s35
	s_cbranch_execnz .LBB66_74
; %bb.75:                               ;   in Loop: Header=BB66_60 Depth=3
	s_or_b32 exec_lo, exec_lo, s35
	ds_load_b64 v[12:13], v15 offset:8
	s_mov_b32 s35, 0
.LBB66_76:                              ;   Parent Loop BB66_15 Depth=1
                                        ;     Parent Loop BB66_18 Depth=2
                                        ;       Parent Loop BB66_60 Depth=3
                                        ; =>      This Inner Loop Header: Depth=4
	s_waitcnt lgkmcnt(0)
	v_add_f64 v[44:45], v[12:13], v[10:11]
	ds_cmpstore_rtn_b64 v[44:45], v15, v[44:45], v[12:13] offset:8
	s_waitcnt lgkmcnt(0)
	v_cmp_eq_u64_e32 vcc_lo, v[44:45], v[12:13]
	v_dual_mov_b32 v12, v44 :: v_dual_mov_b32 v13, v45
	s_or_b32 s35, vcc_lo, s35
	s_delay_alu instid0(SALU_CYCLE_1)
	s_and_not1_b32 exec_lo, exec_lo, s35
	s_cbranch_execnz .LBB66_76
; %bb.77:                               ;   in Loop: Header=BB66_60 Depth=3
	s_or_b32 exec_lo, exec_lo, s35
	s_delay_alu instid0(SALU_CYCLE_1)
	s_and_not1_b32 s34, s34, exec_lo
	s_branch .LBB66_59
.LBB66_78:                              ;   in Loop: Header=BB66_18 Depth=2
	s_or_b32 exec_lo, exec_lo, s17
	v_mul_f64 v[8:9], v[6:7], -v[33:34]
	v_mul_f64 v[6:7], v[31:32], v[6:7]
	s_mov_b32 s17, 0
	s_delay_alu instid0(VALU_DEP_2) | instskip(NEXT) | instid1(VALU_DEP_2)
	v_fma_f64 v[8:9], v[31:32], v[4:5], v[8:9]
	v_fma_f64 v[4:5], v[33:34], v[4:5], v[6:7]
	s_delay_alu instid0(VALU_DEP_2) | instskip(NEXT) | instid1(VALU_DEP_2)
	v_fma_f64 v[6:7], v[39:40], v[0:1], v[8:9]
	v_fma_f64 v[4:5], v[41:42], v[0:1], v[4:5]
	s_delay_alu instid0(VALU_DEP_2) | instskip(NEXT) | instid1(VALU_DEP_2)
	v_fma_f64 v[0:1], -v[41:42], v[2:3], v[6:7]
	v_fma_f64 v[2:3], v[39:40], v[2:3], v[4:5]
	s_branch .LBB66_80
.LBB66_79:                              ;   in Loop: Header=BB66_80 Depth=3
	s_or_b32 exec_lo, exec_lo, s33
	s_xor_b32 s33, s34, -1
	s_delay_alu instid0(SALU_CYCLE_1) | instskip(NEXT) | instid1(SALU_CYCLE_1)
	s_and_b32 s33, exec_lo, s33
	s_or_b32 s17, s33, s17
	s_delay_alu instid0(SALU_CYCLE_1)
	s_and_not1_b32 exec_lo, exec_lo, s17
	s_cbranch_execz .LBB66_17
.LBB66_80:                              ;   Parent Loop BB66_15 Depth=1
                                        ;     Parent Loop BB66_18 Depth=2
                                        ; =>    This Loop Header: Depth=3
                                        ;         Child Loop BB66_86 Depth 4
                                        ;         Child Loop BB66_88 Depth 4
	;; [unrolled: 1-line block ×4, first 2 shown]
	v_lshl_add_u32 v4, v60, 2, v52
	s_mov_b32 s33, exec_lo
                                        ; implicit-def: $sgpr34
	ds_load_b32 v5, v4
	s_waitcnt lgkmcnt(0)
	v_cmpx_ne_u32_e64 v5, v59
	s_xor_b32 s33, exec_lo, s33
	s_cbranch_execz .LBB66_92
; %bb.81:                               ;   in Loop: Header=BB66_80 Depth=3
	s_mov_b32 s35, exec_lo
                                        ; implicit-def: $sgpr34
	v_cmpx_ne_u32_e64 s2, v5
	s_xor_b32 s35, exec_lo, s35
; %bb.82:                               ;   in Loop: Header=BB66_80 Depth=3
	v_add_nc_u32_e32 v4, 1, v60
	s_mov_b32 s34, -1
	s_delay_alu instid0(VALU_DEP_1)
	v_and_b32_e32 v60, 15, v4
                                        ; implicit-def: $vgpr4
; %bb.83:                               ;   in Loop: Header=BB66_80 Depth=3
	s_and_not1_saveexec_b32 s35, s35
	s_cbranch_execz .LBB66_91
; %bb.84:                               ;   in Loop: Header=BB66_80 Depth=3
	v_mov_b32_e32 v5, s2
	s_mov_b32 s41, -1
	s_mov_b32 s40, exec_lo
	ds_cmpstore_rtn_b32 v4, v4, v59, v5
	s_waitcnt lgkmcnt(0)
	v_cmpx_eq_u32_e64 s2, v4
	s_cbranch_execz .LBB66_90
; %bb.85:                               ;   in Loop: Header=BB66_80 Depth=3
	v_lshl_add_u32 v6, v60, 6, v57
	s_mov_b32 s41, 0
	ds_load_b64 v[4:5], v6
.LBB66_86:                              ;   Parent Loop BB66_15 Depth=1
                                        ;     Parent Loop BB66_18 Depth=2
                                        ;       Parent Loop BB66_80 Depth=3
                                        ; =>      This Inner Loop Header: Depth=4
	s_waitcnt lgkmcnt(0)
	v_add_f64 v[7:8], v[4:5], v[0:1]
	ds_cmpstore_rtn_b64 v[7:8], v6, v[7:8], v[4:5]
	s_waitcnt lgkmcnt(0)
	v_cmp_eq_u64_e32 vcc_lo, v[7:8], v[4:5]
	v_dual_mov_b32 v4, v7 :: v_dual_mov_b32 v5, v8
	s_or_b32 s41, vcc_lo, s41
	s_delay_alu instid0(SALU_CYCLE_1)
	s_and_not1_b32 exec_lo, exec_lo, s41
	s_cbranch_execnz .LBB66_86
; %bb.87:                               ;   in Loop: Header=BB66_80 Depth=3
	s_or_b32 exec_lo, exec_lo, s41
	ds_load_b64 v[4:5], v6 offset:8
	s_mov_b32 s41, 0
.LBB66_88:                              ;   Parent Loop BB66_15 Depth=1
                                        ;     Parent Loop BB66_18 Depth=2
                                        ;       Parent Loop BB66_80 Depth=3
                                        ; =>      This Inner Loop Header: Depth=4
	s_waitcnt lgkmcnt(0)
	v_add_f64 v[7:8], v[4:5], v[2:3]
	ds_cmpstore_rtn_b64 v[7:8], v6, v[7:8], v[4:5] offset:8
	s_waitcnt lgkmcnt(0)
	v_cmp_eq_u64_e32 vcc_lo, v[7:8], v[4:5]
	v_dual_mov_b32 v4, v7 :: v_dual_mov_b32 v5, v8
	s_or_b32 s41, vcc_lo, s41
	s_delay_alu instid0(SALU_CYCLE_1)
	s_and_not1_b32 exec_lo, exec_lo, s41
	s_cbranch_execnz .LBB66_88
; %bb.89:                               ;   in Loop: Header=BB66_80 Depth=3
	s_or_b32 exec_lo, exec_lo, s41
	s_delay_alu instid0(SALU_CYCLE_1)
	s_xor_b32 s41, exec_lo, -1
.LBB66_90:                              ;   in Loop: Header=BB66_80 Depth=3
	s_or_b32 exec_lo, exec_lo, s40
	s_delay_alu instid0(SALU_CYCLE_1) | instskip(SKIP_1) | instid1(SALU_CYCLE_1)
	s_and_not1_b32 s34, s34, exec_lo
	s_and_b32 s40, s41, exec_lo
	s_or_b32 s34, s34, s40
.LBB66_91:                              ;   in Loop: Header=BB66_80 Depth=3
	s_or_b32 exec_lo, exec_lo, s35
	s_delay_alu instid0(SALU_CYCLE_1)
	s_and_b32 s34, s34, exec_lo
.LBB66_92:                              ;   in Loop: Header=BB66_80 Depth=3
	s_and_not1_saveexec_b32 s33, s33
	s_cbranch_execz .LBB66_79
; %bb.93:                               ;   in Loop: Header=BB66_80 Depth=3
	v_lshl_add_u32 v6, v60, 6, v57
	s_mov_b32 s35, 0
	ds_load_b64 v[4:5], v6
.LBB66_94:                              ;   Parent Loop BB66_15 Depth=1
                                        ;     Parent Loop BB66_18 Depth=2
                                        ;       Parent Loop BB66_80 Depth=3
                                        ; =>      This Inner Loop Header: Depth=4
	s_waitcnt lgkmcnt(0)
	v_add_f64 v[7:8], v[4:5], v[0:1]
	ds_cmpstore_rtn_b64 v[7:8], v6, v[7:8], v[4:5]
	s_waitcnt lgkmcnt(0)
	v_cmp_eq_u64_e32 vcc_lo, v[7:8], v[4:5]
	v_dual_mov_b32 v4, v7 :: v_dual_mov_b32 v5, v8
	s_or_b32 s35, vcc_lo, s35
	s_delay_alu instid0(SALU_CYCLE_1)
	s_and_not1_b32 exec_lo, exec_lo, s35
	s_cbranch_execnz .LBB66_94
; %bb.95:                               ;   in Loop: Header=BB66_80 Depth=3
	s_or_b32 exec_lo, exec_lo, s35
	ds_load_b64 v[4:5], v6 offset:8
	s_mov_b32 s35, 0
.LBB66_96:                              ;   Parent Loop BB66_15 Depth=1
                                        ;     Parent Loop BB66_18 Depth=2
                                        ;       Parent Loop BB66_80 Depth=3
                                        ; =>      This Inner Loop Header: Depth=4
	s_waitcnt lgkmcnt(0)
	v_add_f64 v[7:8], v[4:5], v[2:3]
	ds_cmpstore_rtn_b64 v[7:8], v6, v[7:8], v[4:5] offset:8
	s_waitcnt lgkmcnt(0)
	v_cmp_eq_u64_e32 vcc_lo, v[7:8], v[4:5]
	v_dual_mov_b32 v4, v7 :: v_dual_mov_b32 v5, v8
	s_or_b32 s35, vcc_lo, s35
	s_delay_alu instid0(SALU_CYCLE_1)
	s_and_not1_b32 exec_lo, exec_lo, s35
	s_cbranch_execnz .LBB66_96
; %bb.97:                               ;   in Loop: Header=BB66_80 Depth=3
	s_or_b32 exec_lo, exec_lo, s35
	s_delay_alu instid0(SALU_CYCLE_1)
	s_and_not1_b32 s34, s34, exec_lo
	s_branch .LBB66_79
.LBB66_98:
	s_or_b32 exec_lo, exec_lo, s1
.LBB66_99:
	s_delay_alu instid0(SALU_CYCLE_1)
	s_and_not1_b32 vcc_lo, exec_lo, s12
	buffer_gl0_inv
	s_cbranch_vccnz .LBB66_184
; %bb.100:
	v_add_co_u32 v0, vcc_lo, s4, v20
	v_add_co_ci_u32_e32 v1, vcc_lo, s5, v21, vcc_lo
	v_subrev_nc_u32_e32 v2, s27, v50
	s_mov_b32 s1, exec_lo
	global_load_b64 v[0:1], v[0:1], off
	s_waitcnt vmcnt(0)
	v_subrev_nc_u32_e32 v15, s27, v1
	v_add_nc_u32_e32 v12, v0, v2
	s_delay_alu instid0(VALU_DEP_1)
	v_cmpx_lt_i32_e64 v12, v15
	s_cbranch_execz .LBB66_183
; %bb.101:
	v_add_nc_u32_e32 v26, 16, v51
	v_add_nc_u32_e32 v27, 32, v51
	;; [unrolled: 1-line block ×3, first 2 shown]
	s_cmp_eq_u32 s0, 0
	s_mov_b32 s3, 0
	s_cselect_b32 s4, 1, 2
	s_cselect_b32 s5, 2, 1
	s_branch .LBB66_103
.LBB66_102:                             ;   in Loop: Header=BB66_103 Depth=1
	s_or_b32 exec_lo, exec_lo, s12
	v_add_nc_u32_e32 v12, 16, v12
	s_delay_alu instid0(VALU_DEP_1) | instskip(SKIP_1) | instid1(SALU_CYCLE_1)
	v_cmp_ge_i32_e32 vcc_lo, v12, v15
	s_or_b32 s3, vcc_lo, s3
	s_and_not1_b32 exec_lo, exec_lo, s3
	s_cbranch_execz .LBB66_183
.LBB66_103:                             ; =>This Loop Header: Depth=1
                                        ;     Child Loop BB66_105 Depth 2
                                        ;       Child Loop BB66_111 Depth 3
                                        ;       Child Loop BB66_113 Depth 3
                                        ;       Child Loop BB66_119 Depth 3
                                        ;       Child Loop BB66_121 Depth 3
                                        ;     Child Loop BB66_125 Depth 2
                                        ;       Child Loop BB66_131 Depth 3
                                        ;       Child Loop BB66_133 Depth 3
                                        ;       Child Loop BB66_139 Depth 3
                                        ;       Child Loop BB66_141 Depth 3
	;; [unrolled: 5-line block ×4, first 2 shown]
	v_lshlrev_b32_e32 v0, 2, v12
	v_ashrrev_i32_e32 v13, 31, v12
	s_mov_b32 s12, 0
	s_delay_alu instid0(VALU_DEP_2) | instskip(NEXT) | instid1(VALU_DEP_2)
	v_ashrrev_i32_e32 v1, 31, v0
	v_lshlrev_b64 v[3:4], 2, v[12:13]
	s_delay_alu instid0(VALU_DEP_2) | instskip(NEXT) | instid1(VALU_DEP_1)
	v_lshlrev_b64 v[1:2], 4, v[0:1]
	v_add_co_u32 v1, vcc_lo, s8, v1
	s_delay_alu instid0(VALU_DEP_2) | instskip(NEXT) | instid1(VALU_DEP_4)
	v_add_co_ci_u32_e32 v2, vcc_lo, s9, v2, vcc_lo
	v_add_co_u32 v3, vcc_lo, s6, v3
	v_add_co_ci_u32_e32 v4, vcc_lo, s7, v4, vcc_lo
	global_load_b128 v[22:25], v[1:2], off
	global_load_b32 v29, v[3:4], off
	s_waitcnt vmcnt(1)
	v_mul_f64 v[13:14], v[24:25], -v[16:17]
	v_mul_f64 v[24:25], v[18:19], v[24:25]
	s_waitcnt vmcnt(0)
	v_subrev_nc_u32_e32 v29, s27, v29
	s_delay_alu instid0(VALU_DEP_3) | instskip(NEXT) | instid1(VALU_DEP_3)
	v_fma_f64 v[13:14], v[18:19], v[22:23], v[13:14]
	v_fma_f64 v[22:23], v[16:17], v[22:23], v[24:25]
	s_delay_alu instid0(VALU_DEP_3) | instskip(NEXT) | instid1(VALU_DEP_1)
	v_lshl_add_u32 v24, v29, 3, v29
	v_and_b32_e32 v30, 15, v24
	s_delay_alu instid0(VALU_DEP_1) | instskip(SKIP_2) | instid1(VALU_DEP_2)
	v_mov_b32_e32 v31, v30
	v_or_b32_e32 v5, s4, v0
	v_or_b32_e32 v7, s5, v0
	v_ashrrev_i32_e32 v6, 31, v5
	s_delay_alu instid0(VALU_DEP_2) | instskip(NEXT) | instid1(VALU_DEP_2)
	v_ashrrev_i32_e32 v8, 31, v7
	v_lshlrev_b64 v[3:4], 4, v[5:6]
	s_delay_alu instid0(VALU_DEP_2) | instskip(NEXT) | instid1(VALU_DEP_2)
	v_lshlrev_b64 v[5:6], 4, v[7:8]
	v_add_co_u32 v7, vcc_lo, s8, v3
	s_delay_alu instid0(VALU_DEP_3) | instskip(NEXT) | instid1(VALU_DEP_3)
	v_add_co_ci_u32_e32 v8, vcc_lo, s9, v4, vcc_lo
	v_add_co_u32 v4, vcc_lo, s8, v5
	s_delay_alu instid0(VALU_DEP_4)
	v_add_co_ci_u32_e32 v5, vcc_lo, s9, v6, vcc_lo
	s_clause 0x2
	global_load_b128 v[0:3], v[1:2], off offset:48
	global_load_b128 v[8:11], v[7:8], off
	global_load_b128 v[4:7], v[4:5], off
	s_branch .LBB66_105
.LBB66_104:                             ;   in Loop: Header=BB66_105 Depth=2
	s_or_b32 exec_lo, exec_lo, s13
	s_xor_b32 s13, s14, -1
	s_delay_alu instid0(SALU_CYCLE_1) | instskip(NEXT) | instid1(SALU_CYCLE_1)
	s_and_b32 s13, exec_lo, s13
	s_or_b32 s12, s13, s12
	s_delay_alu instid0(SALU_CYCLE_1)
	s_and_not1_b32 exec_lo, exec_lo, s12
	s_cbranch_execz .LBB66_123
.LBB66_105:                             ;   Parent Loop BB66_103 Depth=1
                                        ; =>  This Loop Header: Depth=2
                                        ;       Child Loop BB66_111 Depth 3
                                        ;       Child Loop BB66_113 Depth 3
	;; [unrolled: 1-line block ×4, first 2 shown]
	v_lshl_add_u32 v24, v31, 2, v52
	s_mov_b32 s13, exec_lo
                                        ; implicit-def: $sgpr14
	ds_load_b32 v25, v24
	s_waitcnt lgkmcnt(0)
	v_cmpx_ne_u32_e64 v25, v29
	s_xor_b32 s13, exec_lo, s13
	s_cbranch_execz .LBB66_117
; %bb.106:                              ;   in Loop: Header=BB66_105 Depth=2
	s_mov_b32 s15, exec_lo
                                        ; implicit-def: $sgpr14
	v_cmpx_ne_u32_e64 s2, v25
	s_xor_b32 s15, exec_lo, s15
; %bb.107:                              ;   in Loop: Header=BB66_105 Depth=2
	v_add_nc_u32_e32 v24, 1, v31
	s_mov_b32 s14, -1
	s_delay_alu instid0(VALU_DEP_1)
	v_and_b32_e32 v31, 15, v24
                                        ; implicit-def: $vgpr24
; %bb.108:                              ;   in Loop: Header=BB66_105 Depth=2
	s_and_not1_saveexec_b32 s15, s15
	s_cbranch_execz .LBB66_116
; %bb.109:                              ;   in Loop: Header=BB66_105 Depth=2
	v_mov_b32_e32 v25, s2
	s_mov_b32 s17, -1
	s_mov_b32 s16, exec_lo
	ds_cmpstore_rtn_b32 v24, v24, v29, v25
	s_waitcnt lgkmcnt(0)
	v_cmpx_eq_u32_e64 s2, v24
	s_cbranch_execz .LBB66_115
; %bb.110:                              ;   in Loop: Header=BB66_105 Depth=2
	v_lshlrev_b32_e32 v24, 6, v31
	s_mov_b32 s17, 0
	s_delay_alu instid0(VALU_DEP_1)
	v_add_nc_u32_e32 v32, v51, v24
	ds_load_b64 v[24:25], v32
.LBB66_111:                             ;   Parent Loop BB66_103 Depth=1
                                        ;     Parent Loop BB66_105 Depth=2
                                        ; =>    This Inner Loop Header: Depth=3
	s_waitcnt lgkmcnt(0)
	v_add_f64 v[33:34], v[24:25], v[13:14]
	ds_cmpstore_rtn_b64 v[33:34], v32, v[33:34], v[24:25]
	s_waitcnt lgkmcnt(0)
	v_cmp_eq_u64_e32 vcc_lo, v[33:34], v[24:25]
	v_dual_mov_b32 v24, v33 :: v_dual_mov_b32 v25, v34
	s_or_b32 s17, vcc_lo, s17
	s_delay_alu instid0(SALU_CYCLE_1)
	s_and_not1_b32 exec_lo, exec_lo, s17
	s_cbranch_execnz .LBB66_111
; %bb.112:                              ;   in Loop: Header=BB66_105 Depth=2
	s_or_b32 exec_lo, exec_lo, s17
	ds_load_b64 v[24:25], v32 offset:8
	s_mov_b32 s17, 0
.LBB66_113:                             ;   Parent Loop BB66_103 Depth=1
                                        ;     Parent Loop BB66_105 Depth=2
                                        ; =>    This Inner Loop Header: Depth=3
	s_waitcnt lgkmcnt(0)
	v_add_f64 v[33:34], v[24:25], v[22:23]
	ds_cmpstore_rtn_b64 v[33:34], v32, v[33:34], v[24:25] offset:8
	s_waitcnt lgkmcnt(0)
	v_cmp_eq_u64_e32 vcc_lo, v[33:34], v[24:25]
	v_dual_mov_b32 v24, v33 :: v_dual_mov_b32 v25, v34
	s_or_b32 s17, vcc_lo, s17
	s_delay_alu instid0(SALU_CYCLE_1)
	s_and_not1_b32 exec_lo, exec_lo, s17
	s_cbranch_execnz .LBB66_113
; %bb.114:                              ;   in Loop: Header=BB66_105 Depth=2
	s_or_b32 exec_lo, exec_lo, s17
	s_delay_alu instid0(SALU_CYCLE_1)
	s_xor_b32 s17, exec_lo, -1
.LBB66_115:                             ;   in Loop: Header=BB66_105 Depth=2
	s_or_b32 exec_lo, exec_lo, s16
	s_delay_alu instid0(SALU_CYCLE_1) | instskip(SKIP_1) | instid1(SALU_CYCLE_1)
	s_and_not1_b32 s14, s14, exec_lo
	s_and_b32 s16, s17, exec_lo
	s_or_b32 s14, s14, s16
.LBB66_116:                             ;   in Loop: Header=BB66_105 Depth=2
	s_or_b32 exec_lo, exec_lo, s15
	s_delay_alu instid0(SALU_CYCLE_1)
	s_and_b32 s14, s14, exec_lo
.LBB66_117:                             ;   in Loop: Header=BB66_105 Depth=2
	s_and_not1_saveexec_b32 s13, s13
	s_cbranch_execz .LBB66_104
; %bb.118:                              ;   in Loop: Header=BB66_105 Depth=2
	v_lshlrev_b32_e32 v24, 6, v31
	s_mov_b32 s15, 0
	s_delay_alu instid0(VALU_DEP_1)
	v_add_nc_u32_e32 v32, v51, v24
	ds_load_b64 v[24:25], v32
.LBB66_119:                             ;   Parent Loop BB66_103 Depth=1
                                        ;     Parent Loop BB66_105 Depth=2
                                        ; =>    This Inner Loop Header: Depth=3
	s_waitcnt lgkmcnt(0)
	v_add_f64 v[33:34], v[24:25], v[13:14]
	ds_cmpstore_rtn_b64 v[33:34], v32, v[33:34], v[24:25]
	s_waitcnt lgkmcnt(0)
	v_cmp_eq_u64_e32 vcc_lo, v[33:34], v[24:25]
	v_dual_mov_b32 v24, v33 :: v_dual_mov_b32 v25, v34
	s_or_b32 s15, vcc_lo, s15
	s_delay_alu instid0(SALU_CYCLE_1)
	s_and_not1_b32 exec_lo, exec_lo, s15
	s_cbranch_execnz .LBB66_119
; %bb.120:                              ;   in Loop: Header=BB66_105 Depth=2
	s_or_b32 exec_lo, exec_lo, s15
	ds_load_b64 v[24:25], v32 offset:8
	s_mov_b32 s15, 0
.LBB66_121:                             ;   Parent Loop BB66_103 Depth=1
                                        ;     Parent Loop BB66_105 Depth=2
                                        ; =>    This Inner Loop Header: Depth=3
	s_waitcnt lgkmcnt(0)
	v_add_f64 v[33:34], v[24:25], v[22:23]
	ds_cmpstore_rtn_b64 v[33:34], v32, v[33:34], v[24:25] offset:8
	s_waitcnt lgkmcnt(0)
	v_cmp_eq_u64_e32 vcc_lo, v[33:34], v[24:25]
	v_dual_mov_b32 v24, v33 :: v_dual_mov_b32 v25, v34
	s_or_b32 s15, vcc_lo, s15
	s_delay_alu instid0(SALU_CYCLE_1)
	s_and_not1_b32 exec_lo, exec_lo, s15
	s_cbranch_execnz .LBB66_121
; %bb.122:                              ;   in Loop: Header=BB66_105 Depth=2
	s_or_b32 exec_lo, exec_lo, s15
	s_delay_alu instid0(SALU_CYCLE_1)
	s_and_not1_b32 s14, s14, exec_lo
	s_branch .LBB66_104
.LBB66_123:                             ;   in Loop: Header=BB66_103 Depth=1
	s_or_b32 exec_lo, exec_lo, s12
	s_waitcnt vmcnt(1)
	v_mul_f64 v[13:14], v[10:11], -v[16:17]
	v_mul_f64 v[22:23], v[18:19], v[10:11]
	s_mov_b32 s12, 0
	s_delay_alu instid0(VALU_DEP_2) | instskip(NEXT) | instid1(VALU_DEP_2)
	v_fma_f64 v[10:11], v[18:19], v[8:9], v[13:14]
	v_fma_f64 v[8:9], v[16:17], v[8:9], v[22:23]
	v_mov_b32_e32 v22, v30
	s_branch .LBB66_125
.LBB66_124:                             ;   in Loop: Header=BB66_125 Depth=2
	s_or_b32 exec_lo, exec_lo, s13
	s_xor_b32 s13, s14, -1
	s_delay_alu instid0(SALU_CYCLE_1) | instskip(NEXT) | instid1(SALU_CYCLE_1)
	s_and_b32 s13, exec_lo, s13
	s_or_b32 s12, s13, s12
	s_delay_alu instid0(SALU_CYCLE_1)
	s_and_not1_b32 exec_lo, exec_lo, s12
	s_cbranch_execz .LBB66_143
.LBB66_125:                             ;   Parent Loop BB66_103 Depth=1
                                        ; =>  This Loop Header: Depth=2
                                        ;       Child Loop BB66_131 Depth 3
                                        ;       Child Loop BB66_133 Depth 3
	;; [unrolled: 1-line block ×4, first 2 shown]
	s_delay_alu instid0(VALU_DEP_1)
	v_lshl_add_u32 v13, v22, 2, v52
	s_mov_b32 s13, exec_lo
                                        ; implicit-def: $sgpr14
	ds_load_b32 v14, v13
	s_waitcnt lgkmcnt(0)
	v_cmpx_ne_u32_e64 v14, v29
	s_xor_b32 s13, exec_lo, s13
	s_cbranch_execz .LBB66_137
; %bb.126:                              ;   in Loop: Header=BB66_125 Depth=2
	s_mov_b32 s15, exec_lo
                                        ; implicit-def: $sgpr14
	v_cmpx_ne_u32_e64 s2, v14
	s_xor_b32 s15, exec_lo, s15
; %bb.127:                              ;   in Loop: Header=BB66_125 Depth=2
	v_add_nc_u32_e32 v13, 1, v22
	s_mov_b32 s14, -1
	s_delay_alu instid0(VALU_DEP_1)
	v_and_b32_e32 v22, 15, v13
                                        ; implicit-def: $vgpr13
; %bb.128:                              ;   in Loop: Header=BB66_125 Depth=2
	s_and_not1_saveexec_b32 s15, s15
	s_cbranch_execz .LBB66_136
; %bb.129:                              ;   in Loop: Header=BB66_125 Depth=2
	v_mov_b32_e32 v14, s2
	s_mov_b32 s17, -1
	s_mov_b32 s16, exec_lo
	ds_cmpstore_rtn_b32 v13, v13, v29, v14
	s_waitcnt lgkmcnt(0)
	v_cmpx_eq_u32_e64 s2, v13
	s_cbranch_execz .LBB66_135
; %bb.130:                              ;   in Loop: Header=BB66_125 Depth=2
	v_lshl_add_u32 v23, v22, 6, v26
	s_mov_b32 s17, 0
	ds_load_b64 v[13:14], v23
.LBB66_131:                             ;   Parent Loop BB66_103 Depth=1
                                        ;     Parent Loop BB66_125 Depth=2
                                        ; =>    This Inner Loop Header: Depth=3
	s_waitcnt lgkmcnt(0)
	v_add_f64 v[24:25], v[13:14], v[10:11]
	ds_cmpstore_rtn_b64 v[24:25], v23, v[24:25], v[13:14]
	s_waitcnt lgkmcnt(0)
	v_cmp_eq_u64_e32 vcc_lo, v[24:25], v[13:14]
	v_dual_mov_b32 v13, v24 :: v_dual_mov_b32 v14, v25
	s_or_b32 s17, vcc_lo, s17
	s_delay_alu instid0(SALU_CYCLE_1)
	s_and_not1_b32 exec_lo, exec_lo, s17
	s_cbranch_execnz .LBB66_131
; %bb.132:                              ;   in Loop: Header=BB66_125 Depth=2
	s_or_b32 exec_lo, exec_lo, s17
	ds_load_b64 v[13:14], v23 offset:8
	s_mov_b32 s17, 0
.LBB66_133:                             ;   Parent Loop BB66_103 Depth=1
                                        ;     Parent Loop BB66_125 Depth=2
                                        ; =>    This Inner Loop Header: Depth=3
	s_waitcnt lgkmcnt(0)
	v_add_f64 v[24:25], v[13:14], v[8:9]
	ds_cmpstore_rtn_b64 v[24:25], v23, v[24:25], v[13:14] offset:8
	s_waitcnt lgkmcnt(0)
	v_cmp_eq_u64_e32 vcc_lo, v[24:25], v[13:14]
	v_dual_mov_b32 v13, v24 :: v_dual_mov_b32 v14, v25
	s_or_b32 s17, vcc_lo, s17
	s_delay_alu instid0(SALU_CYCLE_1)
	s_and_not1_b32 exec_lo, exec_lo, s17
	s_cbranch_execnz .LBB66_133
; %bb.134:                              ;   in Loop: Header=BB66_125 Depth=2
	s_or_b32 exec_lo, exec_lo, s17
	s_delay_alu instid0(SALU_CYCLE_1)
	s_xor_b32 s17, exec_lo, -1
.LBB66_135:                             ;   in Loop: Header=BB66_125 Depth=2
	s_or_b32 exec_lo, exec_lo, s16
	s_delay_alu instid0(SALU_CYCLE_1) | instskip(SKIP_1) | instid1(SALU_CYCLE_1)
	s_and_not1_b32 s14, s14, exec_lo
	s_and_b32 s16, s17, exec_lo
	s_or_b32 s14, s14, s16
.LBB66_136:                             ;   in Loop: Header=BB66_125 Depth=2
	s_or_b32 exec_lo, exec_lo, s15
	s_delay_alu instid0(SALU_CYCLE_1)
	s_and_b32 s14, s14, exec_lo
.LBB66_137:                             ;   in Loop: Header=BB66_125 Depth=2
	s_and_not1_saveexec_b32 s13, s13
	s_cbranch_execz .LBB66_124
; %bb.138:                              ;   in Loop: Header=BB66_125 Depth=2
	v_lshl_add_u32 v23, v22, 6, v26
	s_mov_b32 s15, 0
	ds_load_b64 v[13:14], v23
.LBB66_139:                             ;   Parent Loop BB66_103 Depth=1
                                        ;     Parent Loop BB66_125 Depth=2
                                        ; =>    This Inner Loop Header: Depth=3
	s_waitcnt lgkmcnt(0)
	v_add_f64 v[24:25], v[13:14], v[10:11]
	ds_cmpstore_rtn_b64 v[24:25], v23, v[24:25], v[13:14]
	s_waitcnt lgkmcnt(0)
	v_cmp_eq_u64_e32 vcc_lo, v[24:25], v[13:14]
	v_dual_mov_b32 v13, v24 :: v_dual_mov_b32 v14, v25
	s_or_b32 s15, vcc_lo, s15
	s_delay_alu instid0(SALU_CYCLE_1)
	s_and_not1_b32 exec_lo, exec_lo, s15
	s_cbranch_execnz .LBB66_139
; %bb.140:                              ;   in Loop: Header=BB66_125 Depth=2
	s_or_b32 exec_lo, exec_lo, s15
	ds_load_b64 v[13:14], v23 offset:8
	s_mov_b32 s15, 0
.LBB66_141:                             ;   Parent Loop BB66_103 Depth=1
                                        ;     Parent Loop BB66_125 Depth=2
                                        ; =>    This Inner Loop Header: Depth=3
	s_waitcnt lgkmcnt(0)
	v_add_f64 v[24:25], v[13:14], v[8:9]
	ds_cmpstore_rtn_b64 v[24:25], v23, v[24:25], v[13:14] offset:8
	s_waitcnt lgkmcnt(0)
	v_cmp_eq_u64_e32 vcc_lo, v[24:25], v[13:14]
	v_dual_mov_b32 v13, v24 :: v_dual_mov_b32 v14, v25
	s_or_b32 s15, vcc_lo, s15
	s_delay_alu instid0(SALU_CYCLE_1)
	s_and_not1_b32 exec_lo, exec_lo, s15
	s_cbranch_execnz .LBB66_141
; %bb.142:                              ;   in Loop: Header=BB66_125 Depth=2
	s_or_b32 exec_lo, exec_lo, s15
	s_delay_alu instid0(SALU_CYCLE_1)
	s_and_not1_b32 s14, s14, exec_lo
	s_branch .LBB66_124
.LBB66_143:                             ;   in Loop: Header=BB66_103 Depth=1
	s_or_b32 exec_lo, exec_lo, s12
	s_waitcnt vmcnt(0)
	v_mul_f64 v[8:9], v[6:7], -v[16:17]
	v_mul_f64 v[10:11], v[18:19], v[6:7]
	s_mov_b32 s12, 0
	s_delay_alu instid0(VALU_DEP_2) | instskip(NEXT) | instid1(VALU_DEP_2)
	v_fma_f64 v[6:7], v[18:19], v[4:5], v[8:9]
	v_fma_f64 v[4:5], v[16:17], v[4:5], v[10:11]
	v_mov_b32_e32 v10, v30
	s_branch .LBB66_145
.LBB66_144:                             ;   in Loop: Header=BB66_145 Depth=2
	s_or_b32 exec_lo, exec_lo, s13
	s_xor_b32 s13, s14, -1
	s_delay_alu instid0(SALU_CYCLE_1) | instskip(NEXT) | instid1(SALU_CYCLE_1)
	s_and_b32 s13, exec_lo, s13
	s_or_b32 s12, s13, s12
	s_delay_alu instid0(SALU_CYCLE_1)
	s_and_not1_b32 exec_lo, exec_lo, s12
	s_cbranch_execz .LBB66_163
.LBB66_145:                             ;   Parent Loop BB66_103 Depth=1
                                        ; =>  This Loop Header: Depth=2
                                        ;       Child Loop BB66_151 Depth 3
                                        ;       Child Loop BB66_153 Depth 3
	;; [unrolled: 1-line block ×4, first 2 shown]
	s_delay_alu instid0(VALU_DEP_1)
	v_lshl_add_u32 v8, v10, 2, v52
	s_mov_b32 s13, exec_lo
                                        ; implicit-def: $sgpr14
	ds_load_b32 v9, v8
	s_waitcnt lgkmcnt(0)
	v_cmpx_ne_u32_e64 v9, v29
	s_xor_b32 s13, exec_lo, s13
	s_cbranch_execz .LBB66_157
; %bb.146:                              ;   in Loop: Header=BB66_145 Depth=2
	s_mov_b32 s15, exec_lo
                                        ; implicit-def: $sgpr14
	v_cmpx_ne_u32_e64 s2, v9
	s_xor_b32 s15, exec_lo, s15
; %bb.147:                              ;   in Loop: Header=BB66_145 Depth=2
	v_add_nc_u32_e32 v8, 1, v10
	s_mov_b32 s14, -1
	s_delay_alu instid0(VALU_DEP_1)
	v_and_b32_e32 v10, 15, v8
                                        ; implicit-def: $vgpr8
; %bb.148:                              ;   in Loop: Header=BB66_145 Depth=2
	s_and_not1_saveexec_b32 s15, s15
	s_cbranch_execz .LBB66_156
; %bb.149:                              ;   in Loop: Header=BB66_145 Depth=2
	v_mov_b32_e32 v9, s2
	s_mov_b32 s17, -1
	s_mov_b32 s16, exec_lo
	ds_cmpstore_rtn_b32 v8, v8, v29, v9
	s_waitcnt lgkmcnt(0)
	v_cmpx_eq_u32_e64 s2, v8
	s_cbranch_execz .LBB66_155
; %bb.150:                              ;   in Loop: Header=BB66_145 Depth=2
	v_lshl_add_u32 v11, v10, 6, v27
	s_mov_b32 s17, 0
	ds_load_b64 v[8:9], v11
.LBB66_151:                             ;   Parent Loop BB66_103 Depth=1
                                        ;     Parent Loop BB66_145 Depth=2
                                        ; =>    This Inner Loop Header: Depth=3
	s_waitcnt lgkmcnt(0)
	v_add_f64 v[13:14], v[8:9], v[6:7]
	ds_cmpstore_rtn_b64 v[13:14], v11, v[13:14], v[8:9]
	s_waitcnt lgkmcnt(0)
	v_cmp_eq_u64_e32 vcc_lo, v[13:14], v[8:9]
	v_dual_mov_b32 v8, v13 :: v_dual_mov_b32 v9, v14
	s_or_b32 s17, vcc_lo, s17
	s_delay_alu instid0(SALU_CYCLE_1)
	s_and_not1_b32 exec_lo, exec_lo, s17
	s_cbranch_execnz .LBB66_151
; %bb.152:                              ;   in Loop: Header=BB66_145 Depth=2
	s_or_b32 exec_lo, exec_lo, s17
	ds_load_b64 v[8:9], v11 offset:8
	s_mov_b32 s17, 0
.LBB66_153:                             ;   Parent Loop BB66_103 Depth=1
                                        ;     Parent Loop BB66_145 Depth=2
                                        ; =>    This Inner Loop Header: Depth=3
	s_waitcnt lgkmcnt(0)
	v_add_f64 v[13:14], v[8:9], v[4:5]
	ds_cmpstore_rtn_b64 v[13:14], v11, v[13:14], v[8:9] offset:8
	s_waitcnt lgkmcnt(0)
	v_cmp_eq_u64_e32 vcc_lo, v[13:14], v[8:9]
	v_dual_mov_b32 v8, v13 :: v_dual_mov_b32 v9, v14
	s_or_b32 s17, vcc_lo, s17
	s_delay_alu instid0(SALU_CYCLE_1)
	s_and_not1_b32 exec_lo, exec_lo, s17
	s_cbranch_execnz .LBB66_153
; %bb.154:                              ;   in Loop: Header=BB66_145 Depth=2
	s_or_b32 exec_lo, exec_lo, s17
	s_delay_alu instid0(SALU_CYCLE_1)
	s_xor_b32 s17, exec_lo, -1
.LBB66_155:                             ;   in Loop: Header=BB66_145 Depth=2
	s_or_b32 exec_lo, exec_lo, s16
	s_delay_alu instid0(SALU_CYCLE_1) | instskip(SKIP_1) | instid1(SALU_CYCLE_1)
	s_and_not1_b32 s14, s14, exec_lo
	s_and_b32 s16, s17, exec_lo
	s_or_b32 s14, s14, s16
.LBB66_156:                             ;   in Loop: Header=BB66_145 Depth=2
	s_or_b32 exec_lo, exec_lo, s15
	s_delay_alu instid0(SALU_CYCLE_1)
	s_and_b32 s14, s14, exec_lo
.LBB66_157:                             ;   in Loop: Header=BB66_145 Depth=2
	s_and_not1_saveexec_b32 s13, s13
	s_cbranch_execz .LBB66_144
; %bb.158:                              ;   in Loop: Header=BB66_145 Depth=2
	v_lshl_add_u32 v11, v10, 6, v27
	s_mov_b32 s15, 0
	ds_load_b64 v[8:9], v11
.LBB66_159:                             ;   Parent Loop BB66_103 Depth=1
                                        ;     Parent Loop BB66_145 Depth=2
                                        ; =>    This Inner Loop Header: Depth=3
	s_waitcnt lgkmcnt(0)
	v_add_f64 v[13:14], v[8:9], v[6:7]
	ds_cmpstore_rtn_b64 v[13:14], v11, v[13:14], v[8:9]
	s_waitcnt lgkmcnt(0)
	v_cmp_eq_u64_e32 vcc_lo, v[13:14], v[8:9]
	v_dual_mov_b32 v8, v13 :: v_dual_mov_b32 v9, v14
	s_or_b32 s15, vcc_lo, s15
	s_delay_alu instid0(SALU_CYCLE_1)
	s_and_not1_b32 exec_lo, exec_lo, s15
	s_cbranch_execnz .LBB66_159
; %bb.160:                              ;   in Loop: Header=BB66_145 Depth=2
	s_or_b32 exec_lo, exec_lo, s15
	ds_load_b64 v[8:9], v11 offset:8
	s_mov_b32 s15, 0
.LBB66_161:                             ;   Parent Loop BB66_103 Depth=1
                                        ;     Parent Loop BB66_145 Depth=2
                                        ; =>    This Inner Loop Header: Depth=3
	s_waitcnt lgkmcnt(0)
	v_add_f64 v[13:14], v[8:9], v[4:5]
	ds_cmpstore_rtn_b64 v[13:14], v11, v[13:14], v[8:9] offset:8
	s_waitcnt lgkmcnt(0)
	v_cmp_eq_u64_e32 vcc_lo, v[13:14], v[8:9]
	v_dual_mov_b32 v8, v13 :: v_dual_mov_b32 v9, v14
	s_or_b32 s15, vcc_lo, s15
	s_delay_alu instid0(SALU_CYCLE_1)
	s_and_not1_b32 exec_lo, exec_lo, s15
	s_cbranch_execnz .LBB66_161
; %bb.162:                              ;   in Loop: Header=BB66_145 Depth=2
	s_or_b32 exec_lo, exec_lo, s15
	s_delay_alu instid0(SALU_CYCLE_1)
	s_and_not1_b32 s14, s14, exec_lo
	s_branch .LBB66_144
.LBB66_163:                             ;   in Loop: Header=BB66_103 Depth=1
	s_or_b32 exec_lo, exec_lo, s12
	v_mul_f64 v[4:5], v[2:3], -v[16:17]
	v_mul_f64 v[6:7], v[18:19], v[2:3]
	s_mov_b32 s12, 0
	s_delay_alu instid0(VALU_DEP_2) | instskip(NEXT) | instid1(VALU_DEP_2)
	v_fma_f64 v[2:3], v[18:19], v[0:1], v[4:5]
	v_fma_f64 v[0:1], v[16:17], v[0:1], v[6:7]
	s_branch .LBB66_165
.LBB66_164:                             ;   in Loop: Header=BB66_165 Depth=2
	s_or_b32 exec_lo, exec_lo, s13
	s_xor_b32 s13, s14, -1
	s_delay_alu instid0(SALU_CYCLE_1) | instskip(NEXT) | instid1(SALU_CYCLE_1)
	s_and_b32 s13, exec_lo, s13
	s_or_b32 s12, s13, s12
	s_delay_alu instid0(SALU_CYCLE_1)
	s_and_not1_b32 exec_lo, exec_lo, s12
	s_cbranch_execz .LBB66_102
.LBB66_165:                             ;   Parent Loop BB66_103 Depth=1
                                        ; =>  This Loop Header: Depth=2
                                        ;       Child Loop BB66_171 Depth 3
                                        ;       Child Loop BB66_173 Depth 3
	;; [unrolled: 1-line block ×4, first 2 shown]
	v_lshl_add_u32 v4, v30, 2, v52
	s_mov_b32 s13, exec_lo
                                        ; implicit-def: $sgpr14
	ds_load_b32 v5, v4
	s_waitcnt lgkmcnt(0)
	v_cmpx_ne_u32_e64 v5, v29
	s_xor_b32 s13, exec_lo, s13
	s_cbranch_execz .LBB66_177
; %bb.166:                              ;   in Loop: Header=BB66_165 Depth=2
	s_mov_b32 s15, exec_lo
                                        ; implicit-def: $sgpr14
	v_cmpx_ne_u32_e64 s2, v5
	s_xor_b32 s15, exec_lo, s15
; %bb.167:                              ;   in Loop: Header=BB66_165 Depth=2
	v_add_nc_u32_e32 v4, 1, v30
	s_mov_b32 s14, -1
	s_delay_alu instid0(VALU_DEP_1)
	v_and_b32_e32 v30, 15, v4
                                        ; implicit-def: $vgpr4
; %bb.168:                              ;   in Loop: Header=BB66_165 Depth=2
	s_and_not1_saveexec_b32 s15, s15
	s_cbranch_execz .LBB66_176
; %bb.169:                              ;   in Loop: Header=BB66_165 Depth=2
	v_mov_b32_e32 v5, s2
	s_mov_b32 s17, -1
	s_mov_b32 s16, exec_lo
	ds_cmpstore_rtn_b32 v4, v4, v29, v5
	s_waitcnt lgkmcnt(0)
	v_cmpx_eq_u32_e64 s2, v4
	s_cbranch_execz .LBB66_175
; %bb.170:                              ;   in Loop: Header=BB66_165 Depth=2
	v_lshl_add_u32 v6, v30, 6, v28
	s_mov_b32 s17, 0
	ds_load_b64 v[4:5], v6
.LBB66_171:                             ;   Parent Loop BB66_103 Depth=1
                                        ;     Parent Loop BB66_165 Depth=2
                                        ; =>    This Inner Loop Header: Depth=3
	s_waitcnt lgkmcnt(0)
	v_add_f64 v[7:8], v[4:5], v[2:3]
	ds_cmpstore_rtn_b64 v[7:8], v6, v[7:8], v[4:5]
	s_waitcnt lgkmcnt(0)
	v_cmp_eq_u64_e32 vcc_lo, v[7:8], v[4:5]
	v_dual_mov_b32 v4, v7 :: v_dual_mov_b32 v5, v8
	s_or_b32 s17, vcc_lo, s17
	s_delay_alu instid0(SALU_CYCLE_1)
	s_and_not1_b32 exec_lo, exec_lo, s17
	s_cbranch_execnz .LBB66_171
; %bb.172:                              ;   in Loop: Header=BB66_165 Depth=2
	s_or_b32 exec_lo, exec_lo, s17
	ds_load_b64 v[4:5], v6 offset:8
	s_mov_b32 s17, 0
.LBB66_173:                             ;   Parent Loop BB66_103 Depth=1
                                        ;     Parent Loop BB66_165 Depth=2
                                        ; =>    This Inner Loop Header: Depth=3
	s_waitcnt lgkmcnt(0)
	v_add_f64 v[7:8], v[4:5], v[0:1]
	ds_cmpstore_rtn_b64 v[7:8], v6, v[7:8], v[4:5] offset:8
	s_waitcnt lgkmcnt(0)
	v_cmp_eq_u64_e32 vcc_lo, v[7:8], v[4:5]
	v_dual_mov_b32 v4, v7 :: v_dual_mov_b32 v5, v8
	s_or_b32 s17, vcc_lo, s17
	s_delay_alu instid0(SALU_CYCLE_1)
	s_and_not1_b32 exec_lo, exec_lo, s17
	s_cbranch_execnz .LBB66_173
; %bb.174:                              ;   in Loop: Header=BB66_165 Depth=2
	s_or_b32 exec_lo, exec_lo, s17
	s_delay_alu instid0(SALU_CYCLE_1)
	s_xor_b32 s17, exec_lo, -1
.LBB66_175:                             ;   in Loop: Header=BB66_165 Depth=2
	s_or_b32 exec_lo, exec_lo, s16
	s_delay_alu instid0(SALU_CYCLE_1) | instskip(SKIP_1) | instid1(SALU_CYCLE_1)
	s_and_not1_b32 s14, s14, exec_lo
	s_and_b32 s16, s17, exec_lo
	s_or_b32 s14, s14, s16
.LBB66_176:                             ;   in Loop: Header=BB66_165 Depth=2
	s_or_b32 exec_lo, exec_lo, s15
	s_delay_alu instid0(SALU_CYCLE_1)
	s_and_b32 s14, s14, exec_lo
.LBB66_177:                             ;   in Loop: Header=BB66_165 Depth=2
	s_and_not1_saveexec_b32 s13, s13
	s_cbranch_execz .LBB66_164
; %bb.178:                              ;   in Loop: Header=BB66_165 Depth=2
	v_lshl_add_u32 v6, v30, 6, v28
	s_mov_b32 s15, 0
	ds_load_b64 v[4:5], v6
.LBB66_179:                             ;   Parent Loop BB66_103 Depth=1
                                        ;     Parent Loop BB66_165 Depth=2
                                        ; =>    This Inner Loop Header: Depth=3
	s_waitcnt lgkmcnt(0)
	v_add_f64 v[7:8], v[4:5], v[2:3]
	ds_cmpstore_rtn_b64 v[7:8], v6, v[7:8], v[4:5]
	s_waitcnt lgkmcnt(0)
	v_cmp_eq_u64_e32 vcc_lo, v[7:8], v[4:5]
	v_dual_mov_b32 v4, v7 :: v_dual_mov_b32 v5, v8
	s_or_b32 s15, vcc_lo, s15
	s_delay_alu instid0(SALU_CYCLE_1)
	s_and_not1_b32 exec_lo, exec_lo, s15
	s_cbranch_execnz .LBB66_179
; %bb.180:                              ;   in Loop: Header=BB66_165 Depth=2
	s_or_b32 exec_lo, exec_lo, s15
	ds_load_b64 v[4:5], v6 offset:8
	s_mov_b32 s15, 0
.LBB66_181:                             ;   Parent Loop BB66_103 Depth=1
                                        ;     Parent Loop BB66_165 Depth=2
                                        ; =>    This Inner Loop Header: Depth=3
	s_waitcnt lgkmcnt(0)
	v_add_f64 v[7:8], v[4:5], v[0:1]
	ds_cmpstore_rtn_b64 v[7:8], v6, v[7:8], v[4:5] offset:8
	s_waitcnt lgkmcnt(0)
	v_cmp_eq_u64_e32 vcc_lo, v[7:8], v[4:5]
	v_dual_mov_b32 v4, v7 :: v_dual_mov_b32 v5, v8
	s_or_b32 s15, vcc_lo, s15
	s_delay_alu instid0(SALU_CYCLE_1)
	s_and_not1_b32 exec_lo, exec_lo, s15
	s_cbranch_execnz .LBB66_181
; %bb.182:                              ;   in Loop: Header=BB66_165 Depth=2
	s_or_b32 exec_lo, exec_lo, s15
	s_delay_alu instid0(SALU_CYCLE_1)
	s_and_not1_b32 s14, s14, exec_lo
	s_branch .LBB66_164
.LBB66_183:
	s_or_b32 exec_lo, exec_lo, s1
.LBB66_184:
	buffer_gl0_inv
	ds_load_b32 v0, v53
	s_waitcnt lgkmcnt(0)
	v_cmp_gt_i32_e32 vcc_lo, s2, v0
	s_and_b32 exec_lo, exec_lo, vcc_lo
	s_cbranch_execz .LBB66_186
; %bb.185:
	v_add_co_u32 v1, vcc_lo, s10, v20
	v_add_co_ci_u32_e32 v2, vcc_lo, s11, v21, vcc_lo
	v_lshlrev_b32_e32 v18, 2, v50
	s_cmp_eq_u32 s0, 0
	s_cselect_b32 s0, 1, 2
	global_load_b32 v17, v[1:2], off
	ds_load_b128 v[1:4], v52
	ds_load_b128 v[5:8], v52 offset:16
	ds_load_b128 v[9:12], v52 offset:32
	;; [unrolled: 1-line block ×3, first 2 shown]
	s_cselect_b32 s1, 2, 1
	s_waitcnt lgkmcnt(3)
	v_cmp_gt_i32_e32 vcc_lo, v0, v1
	v_cndmask_b32_e64 v1, 0, 1, vcc_lo
	v_cmp_gt_i32_e32 vcc_lo, v0, v3
	v_cndmask_b32_e64 v3, 0, 1, vcc_lo
	v_cmp_gt_i32_e32 vcc_lo, v0, v2
	s_waitcnt vmcnt(0)
	v_subrev_nc_u32_e32 v17, s26, v17
	s_delay_alu instid0(VALU_DEP_1)
	v_add_co_ci_u32_e32 v1, vcc_lo, v17, v1, vcc_lo
	s_waitcnt lgkmcnt(2)
	v_cmp_gt_i32_e32 vcc_lo, v0, v5
	v_lshl_add_u32 v5, v50, 6, v51
	v_cndmask_b32_e64 v2, 0, 1, vcc_lo
	v_cmp_gt_i32_e32 vcc_lo, v0, v4
	v_or_b32_e32 v4, s1, v18
	v_add_co_ci_u32_e32 v1, vcc_lo, v1, v3, vcc_lo
	v_cmp_gt_i32_e32 vcc_lo, v0, v7
	v_cndmask_b32_e64 v3, 0, 1, vcc_lo
	v_cmp_gt_i32_e32 vcc_lo, v0, v6
	s_delay_alu instid0(VALU_DEP_4)
	v_add_co_ci_u32_e32 v1, vcc_lo, v1, v2, vcc_lo
	s_waitcnt lgkmcnt(1)
	v_cmp_gt_i32_e32 vcc_lo, v0, v9
	v_cndmask_b32_e64 v2, 0, 1, vcc_lo
	v_cmp_gt_i32_e32 vcc_lo, v0, v8
	v_add_co_ci_u32_e32 v1, vcc_lo, v1, v3, vcc_lo
	v_cmp_gt_i32_e32 vcc_lo, v0, v11
	v_cndmask_b32_e64 v3, 0, 1, vcc_lo
	v_cmp_gt_i32_e32 vcc_lo, v0, v10
	s_delay_alu instid0(VALU_DEP_4)
	v_add_co_ci_u32_e32 v1, vcc_lo, v1, v2, vcc_lo
	s_waitcnt lgkmcnt(0)
	v_cmp_gt_i32_e32 vcc_lo, v0, v13
	v_lshl_add_u32 v13, v4, 4, v51
	v_cndmask_b32_e64 v2, 0, 1, vcc_lo
	v_cmp_gt_i32_e32 vcc_lo, v0, v12
	v_add_co_ci_u32_e32 v1, vcc_lo, v1, v3, vcc_lo
	v_cmp_gt_i32_e32 vcc_lo, v0, v15
	v_cndmask_b32_e64 v3, 0, 1, vcc_lo
	v_cmp_gt_i32_e32 vcc_lo, v0, v14
	s_delay_alu instid0(VALU_DEP_4) | instskip(SKIP_3) | instid1(VALU_DEP_4)
	v_add_co_ci_u32_e32 v1, vcc_lo, v1, v2, vcc_lo
	v_cmp_gt_i32_e32 vcc_lo, v0, v16
	v_or_b32_e32 v2, s0, v18
	v_add_nc_u32_e32 v0, s26, v0
	v_add_co_ci_u32_e32 v17, vcc_lo, v1, v3, vcc_lo
	s_delay_alu instid0(VALU_DEP_3)
	v_lshl_add_u32 v9, v2, 4, v51
	ds_load_2addr_b64 v[1:4], v5 offset1:1
	ds_load_2addr_b64 v[5:8], v5 offset0:6 offset1:7
	ds_load_2addr_b64 v[9:12], v9 offset1:1
	ds_load_2addr_b64 v[13:16], v13 offset1:1
	v_lshlrev_b32_e32 v19, 2, v17
	v_ashrrev_i32_e32 v18, 31, v17
	s_delay_alu instid0(VALU_DEP_2) | instskip(NEXT) | instid1(VALU_DEP_2)
	v_ashrrev_i32_e32 v20, 31, v19
	v_lshlrev_b64 v[17:18], 2, v[17:18]
	s_delay_alu instid0(VALU_DEP_2) | instskip(NEXT) | instid1(VALU_DEP_2)
	v_lshlrev_b64 v[19:20], 4, v[19:20]
	v_add_co_u32 v17, vcc_lo, s28, v17
	s_delay_alu instid0(VALU_DEP_3) | instskip(NEXT) | instid1(VALU_DEP_3)
	v_add_co_ci_u32_e32 v18, vcc_lo, s29, v18, vcc_lo
	v_add_co_u32 v19, vcc_lo, s30, v19
	s_delay_alu instid0(VALU_DEP_4)
	v_add_co_ci_u32_e32 v20, vcc_lo, s31, v20, vcc_lo
	global_store_b32 v[17:18], v0, off
	s_waitcnt lgkmcnt(3)
	global_store_b128 v[19:20], v[1:4], off
	s_waitcnt lgkmcnt(1)
	global_store_b128 v[19:20], v[9:12], off offset:16
	s_waitcnt lgkmcnt(0)
	s_clause 0x1
	global_store_b128 v[19:20], v[13:16], off offset:32
	global_store_b128 v[19:20], v[5:8], off offset:48
.LBB66_186:
	s_nop 0
	s_sendmsg sendmsg(MSG_DEALLOC_VGPRS)
	s_endpgm
	.section	.rodata,"a",@progbits
	.p2align	6, 0x0
	.amdhsa_kernel _ZN9rocsparseL27bsrgemm_fill_wf_per_row_2x2ILj256ELj16ELj16ELj137Eii21rocsparse_complex_numIdEEEv20rocsparse_direction_T4_S4_PKS4_S6_NS_24const_host_device_scalarIT5_EEPKT3_S6_PKS8_SC_S6_SE_S9_SC_S6_SE_SC_PS4_PS8_21rocsparse_index_base_SH_SH_SH_bbb
		.amdhsa_group_segment_fixed_size 17408
		.amdhsa_private_segment_fixed_size 24
		.amdhsa_kernarg_size 180
		.amdhsa_user_sgpr_count 15
		.amdhsa_user_sgpr_dispatch_ptr 0
		.amdhsa_user_sgpr_queue_ptr 0
		.amdhsa_user_sgpr_kernarg_segment_ptr 1
		.amdhsa_user_sgpr_dispatch_id 0
		.amdhsa_user_sgpr_private_segment_size 0
		.amdhsa_wavefront_size32 1
		.amdhsa_uses_dynamic_stack 0
		.amdhsa_enable_private_segment 1
		.amdhsa_system_sgpr_workgroup_id_x 1
		.amdhsa_system_sgpr_workgroup_id_y 0
		.amdhsa_system_sgpr_workgroup_id_z 0
		.amdhsa_system_sgpr_workgroup_info 0
		.amdhsa_system_vgpr_workitem_id 0
		.amdhsa_next_free_vgpr 65
		.amdhsa_next_free_sgpr 48
		.amdhsa_reserve_vcc 1
		.amdhsa_float_round_mode_32 0
		.amdhsa_float_round_mode_16_64 0
		.amdhsa_float_denorm_mode_32 3
		.amdhsa_float_denorm_mode_16_64 3
		.amdhsa_dx10_clamp 1
		.amdhsa_ieee_mode 1
		.amdhsa_fp16_overflow 0
		.amdhsa_workgroup_processor_mode 1
		.amdhsa_memory_ordered 1
		.amdhsa_forward_progress 0
		.amdhsa_shared_vgpr_count 0
		.amdhsa_exception_fp_ieee_invalid_op 0
		.amdhsa_exception_fp_denorm_src 0
		.amdhsa_exception_fp_ieee_div_zero 0
		.amdhsa_exception_fp_ieee_overflow 0
		.amdhsa_exception_fp_ieee_underflow 0
		.amdhsa_exception_fp_ieee_inexact 0
		.amdhsa_exception_int_div_zero 0
	.end_amdhsa_kernel
	.section	.text._ZN9rocsparseL27bsrgemm_fill_wf_per_row_2x2ILj256ELj16ELj16ELj137Eii21rocsparse_complex_numIdEEEv20rocsparse_direction_T4_S4_PKS4_S6_NS_24const_host_device_scalarIT5_EEPKT3_S6_PKS8_SC_S6_SE_S9_SC_S6_SE_SC_PS4_PS8_21rocsparse_index_base_SH_SH_SH_bbb,"axG",@progbits,_ZN9rocsparseL27bsrgemm_fill_wf_per_row_2x2ILj256ELj16ELj16ELj137Eii21rocsparse_complex_numIdEEEv20rocsparse_direction_T4_S4_PKS4_S6_NS_24const_host_device_scalarIT5_EEPKT3_S6_PKS8_SC_S6_SE_S9_SC_S6_SE_SC_PS4_PS8_21rocsparse_index_base_SH_SH_SH_bbb,comdat
.Lfunc_end66:
	.size	_ZN9rocsparseL27bsrgemm_fill_wf_per_row_2x2ILj256ELj16ELj16ELj137Eii21rocsparse_complex_numIdEEEv20rocsparse_direction_T4_S4_PKS4_S6_NS_24const_host_device_scalarIT5_EEPKT3_S6_PKS8_SC_S6_SE_S9_SC_S6_SE_SC_PS4_PS8_21rocsparse_index_base_SH_SH_SH_bbb, .Lfunc_end66-_ZN9rocsparseL27bsrgemm_fill_wf_per_row_2x2ILj256ELj16ELj16ELj137Eii21rocsparse_complex_numIdEEEv20rocsparse_direction_T4_S4_PKS4_S6_NS_24const_host_device_scalarIT5_EEPKT3_S6_PKS8_SC_S6_SE_S9_SC_S6_SE_SC_PS4_PS8_21rocsparse_index_base_SH_SH_SH_bbb
                                        ; -- End function
	.section	.AMDGPU.csdata,"",@progbits
; Kernel info:
; codeLenInByte = 6832
; NumSgprs: 50
; NumVgprs: 65
; ScratchSize: 24
; MemoryBound: 0
; FloatMode: 240
; IeeeMode: 1
; LDSByteSize: 17408 bytes/workgroup (compile time only)
; SGPRBlocks: 6
; VGPRBlocks: 8
; NumSGPRsForWavesPerEU: 50
; NumVGPRsForWavesPerEU: 65
; Occupancy: 14
; WaveLimiterHint : 1
; COMPUTE_PGM_RSRC2:SCRATCH_EN: 1
; COMPUTE_PGM_RSRC2:USER_SGPR: 15
; COMPUTE_PGM_RSRC2:TRAP_HANDLER: 0
; COMPUTE_PGM_RSRC2:TGID_X_EN: 1
; COMPUTE_PGM_RSRC2:TGID_Y_EN: 0
; COMPUTE_PGM_RSRC2:TGID_Z_EN: 0
; COMPUTE_PGM_RSRC2:TIDIG_COMP_CNT: 0
	.section	.text._ZN9rocsparseL27bsrgemm_fill_wf_per_row_2x2ILj256ELj16ELj32ELj137Eii21rocsparse_complex_numIdEEEv20rocsparse_direction_T4_S4_PKS4_S6_NS_24const_host_device_scalarIT5_EEPKT3_S6_PKS8_SC_S6_SE_S9_SC_S6_SE_SC_PS4_PS8_21rocsparse_index_base_SH_SH_SH_bbb,"axG",@progbits,_ZN9rocsparseL27bsrgemm_fill_wf_per_row_2x2ILj256ELj16ELj32ELj137Eii21rocsparse_complex_numIdEEEv20rocsparse_direction_T4_S4_PKS4_S6_NS_24const_host_device_scalarIT5_EEPKT3_S6_PKS8_SC_S6_SE_S9_SC_S6_SE_SC_PS4_PS8_21rocsparse_index_base_SH_SH_SH_bbb,comdat
	.globl	_ZN9rocsparseL27bsrgemm_fill_wf_per_row_2x2ILj256ELj16ELj32ELj137Eii21rocsparse_complex_numIdEEEv20rocsparse_direction_T4_S4_PKS4_S6_NS_24const_host_device_scalarIT5_EEPKT3_S6_PKS8_SC_S6_SE_S9_SC_S6_SE_SC_PS4_PS8_21rocsparse_index_base_SH_SH_SH_bbb ; -- Begin function _ZN9rocsparseL27bsrgemm_fill_wf_per_row_2x2ILj256ELj16ELj32ELj137Eii21rocsparse_complex_numIdEEEv20rocsparse_direction_T4_S4_PKS4_S6_NS_24const_host_device_scalarIT5_EEPKT3_S6_PKS8_SC_S6_SE_S9_SC_S6_SE_SC_PS4_PS8_21rocsparse_index_base_SH_SH_SH_bbb
	.p2align	8
	.type	_ZN9rocsparseL27bsrgemm_fill_wf_per_row_2x2ILj256ELj16ELj32ELj137Eii21rocsparse_complex_numIdEEEv20rocsparse_direction_T4_S4_PKS4_S6_NS_24const_host_device_scalarIT5_EEPKT3_S6_PKS8_SC_S6_SE_S9_SC_S6_SE_SC_PS4_PS8_21rocsparse_index_base_SH_SH_SH_bbb,@function
_ZN9rocsparseL27bsrgemm_fill_wf_per_row_2x2ILj256ELj16ELj32ELj137Eii21rocsparse_complex_numIdEEEv20rocsparse_direction_T4_S4_PKS4_S6_NS_24const_host_device_scalarIT5_EEPKT3_S6_PKS8_SC_S6_SE_S9_SC_S6_SE_SC_PS4_PS8_21rocsparse_index_base_SH_SH_SH_bbb: ; @_ZN9rocsparseL27bsrgemm_fill_wf_per_row_2x2ILj256ELj16ELj32ELj137Eii21rocsparse_complex_numIdEEEv20rocsparse_direction_T4_S4_PKS4_S6_NS_24const_host_device_scalarIT5_EEPKT3_S6_PKS8_SC_S6_SE_S9_SC_S6_SE_SC_PS4_PS8_21rocsparse_index_base_SH_SH_SH_bbb
; %bb.0:
	s_load_b32 s14, s[2:3], 0xb0
	s_load_b64 s[8:9], s[0:1], 0x4
	s_clause 0x1
	s_load_b128 s[4:7], s[2:3], 0x20
	s_load_b128 s[44:47], s[2:3], 0x60
	v_dual_mov_b32 v16, 0 :: v_dual_and_b32 v1, 0x3ff, v0
	s_load_b128 s[24:27], s[2:3], 0xa0
	v_bfe_u32 v3, v0, 10, 10
	v_mov_b32_e32 v17, 0
	v_bfe_u32 v0, v0, 20, 10
	s_waitcnt lgkmcnt(0)
	s_bitcmp1_b32 s14, 0
	s_cselect_b32 s13, -1, 0
	s_bitcmp1_b32 s14, 16
	v_mov_b32_e32 v4, s44
	s_cselect_b32 s0, -1, 0
	s_lshr_b32 s1, s8, 16
	s_delay_alu instid0(SALU_CYCLE_1) | instskip(NEXT) | instid1(SALU_CYCLE_1)
	s_mul_i32 s1, s1, s9
	v_mul_lo_u32 v2, s1, v1
	s_xor_b32 s1, s0, -1
	s_bitcmp0_b32 s14, 0
	v_cndmask_b32_e64 v6, 0, 1, s1
	s_delay_alu instid0(VALU_DEP_2)
	v_mad_u32_u24 v7, v3, s9, v2
	v_dual_mov_b32 v2, s4 :: v_dual_mov_b32 v3, s5
	v_mov_b32_e32 v23, v17
	v_dual_mov_b32 v25, v17 :: v_dual_mov_b32 v24, v16
	v_dual_mov_b32 v5, s45 :: v_dual_mov_b32 v22, v16
	v_cmp_ne_u32_e32 vcc_lo, 1, v6
	v_add_lshl_u32 v0, v7, v0, 3
	ds_store_2addr_stride64_b64 v0, v[4:5], v[2:3] offset0:68 offset1:72
	s_cbranch_scc1 .LBB67_3
; %bb.1:
	s_mov_b64 s[8:9], src_shared_base
	s_and_b32 s8, s0, exec_lo
	s_cselect_b32 s8, s9, s5
	s_delay_alu instid0(SALU_CYCLE_1) | instskip(SKIP_2) | instid1(VALU_DEP_2)
	v_dual_mov_b32 v3, s8 :: v_dual_add_nc_u32 v2, 0x9000, v0
	v_dual_mov_b32 v25, s7 :: v_dual_mov_b32 v24, s6
	s_and_b32 vcc_lo, exec_lo, vcc_lo
	v_cndmask_b32_e64 v2, s4, v2, s0
	flat_load_b64 v[22:23], v[2:3]
	s_cbranch_vccnz .LBB67_3
; %bb.2:
	v_dual_mov_b32 v2, s4 :: v_dual_mov_b32 v3, s5
	flat_load_b64 v[24:25], v[2:3] offset:8
.LBB67_3:
	s_clause 0x4
	s_load_b128 s[28:31], s[2:3], 0x90
	s_load_b256 s[4:11], s[2:3], 0x70
	s_load_b128 s[36:39], s[2:3], 0x50
	s_load_b128 s[40:43], s[2:3], 0x10
	s_load_b256 s[16:23], s[2:3], 0x30
	s_bitcmp1_b32 s14, 8
	v_dual_mov_b32 v19, v17 :: v_dual_mov_b32 v18, v16
	s_cselect_b32 s12, -1, 0
	s_bfe_u32 s14, s14, 0x10008
	s_delay_alu instid0(SALU_CYCLE_1)
	s_cmp_eq_u32 s14, 0
	s_cbranch_scc1 .LBB67_6
; %bb.4:
	s_mov_b64 s[34:35], src_shared_base
	s_and_b32 s14, s0, exec_lo
	s_cselect_b32 s14, s35, s45
	s_delay_alu instid0(SALU_CYCLE_1) | instskip(SKIP_2) | instid1(VALU_DEP_2)
	v_dual_mov_b32 v3, s14 :: v_dual_add_nc_u32 v0, 0x8800, v0
	v_dual_mov_b32 v16, s46 :: v_dual_mov_b32 v17, s47
	s_and_not1_b32 vcc_lo, exec_lo, s1
	v_cndmask_b32_e64 v2, s44, v0, s0
	flat_load_b64 v[18:19], v[2:3]
	s_cbranch_vccnz .LBB67_6
; %bb.5:
	v_dual_mov_b32 v2, s44 :: v_dual_mov_b32 v3, s45
	flat_load_b64 v[16:17], v[2:3] offset:8
.LBB67_6:
	s_load_b128 s[0:3], s[2:3], 0x0
	v_lshrrev_b32_e32 v4, 4, v1
	v_and_b32_e32 v53, 15, v1
	s_waitcnt lgkmcnt(0)
	s_mov_b32 s3, 0
	s_delay_alu instid0(VALU_DEP_2) | instskip(NEXT) | instid1(VALU_DEP_2)
	v_lshlrev_b32_e32 v5, 7, v4
	v_dual_mov_b32 v1, s2 :: v_dual_lshlrev_b32 v0, 2, v53
	s_delay_alu instid0(VALU_DEP_1) | instskip(NEXT) | instid1(VALU_DEP_1)
	v_or3_b32 v50, v5, v0, 0x8000
	v_mov_b32_e32 v0, v50
	v_or_b32_e32 v51, -16, v53
	s_delay_alu instid0(VALU_DEP_1)
	v_mov_b32_e32 v2, v51
.LBB67_7:                               ; =>This Inner Loop Header: Depth=1
	s_delay_alu instid0(VALU_DEP_1) | instskip(NEXT) | instid1(VALU_DEP_1)
	v_add_co_u32 v2, s14, v2, 16
	s_xor_b32 s14, s14, -1
	ds_store_b32 v0, v1
	v_add_nc_u32_e32 v0, 64, v0
	s_and_b32 s14, exec_lo, s14
	s_delay_alu instid0(SALU_CYCLE_1) | instskip(NEXT) | instid1(SALU_CYCLE_1)
	s_or_b32 s3, s14, s3
	s_and_not1_b32 exec_lo, exec_lo, s3
	s_cbranch_execnz .LBB67_7
; %bb.8:
	s_or_b32 exec_lo, exec_lo, s3
	v_dual_mov_b32 v0, 0 :: v_dual_mov_b32 v7, v51
	v_lshlrev_b32_e32 v54, 11, v4
	s_mov_b32 s3, 0
	s_delay_alu instid0(VALU_DEP_2) | instskip(SKIP_1) | instid1(VALU_DEP_3)
	v_mov_b32_e32 v1, v0
	v_mov_b32_e32 v2, v0
	v_lshl_or_b32 v6, v53, 4, v54
	v_mov_b32_e32 v3, v0
.LBB67_9:                               ; =>This Inner Loop Header: Depth=1
	v_add_nc_u32_e32 v7, 16, v7
	ds_store_b128 v6, v[0:3]
	v_add_nc_u32_e32 v6, 0x100, v6
	v_cmp_lt_u32_e32 vcc_lo, 0x6f, v7
	s_or_b32 s3, vcc_lo, s3
	s_delay_alu instid0(SALU_CYCLE_1)
	s_and_not1_b32 exec_lo, exec_lo, s3
	s_cbranch_execnz .LBB67_9
; %bb.10:
	s_or_b32 exec_lo, exec_lo, s3
	v_lshl_or_b32 v0, s15, 4, v4
	s_waitcnt vmcnt(0) lgkmcnt(0)
	s_barrier
	buffer_gl0_inv
	v_cmp_gt_i32_e32 vcc_lo, s1, v0
	s_and_saveexec_b32 s1, vcc_lo
	s_cbranch_execz .LBB67_190
; %bb.11:
	s_cmp_eq_u64 s[42:43], 0
	s_cbranch_scc1 .LBB67_13
; %bb.12:
	s_load_b32 s1, s[40:41], 0x0
	s_waitcnt lgkmcnt(0)
	v_add_nc_u32_e32 v0, s1, v0
	s_delay_alu instid0(VALU_DEP_1) | instskip(NEXT) | instid1(VALU_DEP_1)
	v_ashrrev_i32_e32 v1, 31, v0
	v_lshlrev_b64 v[0:1], 2, v[0:1]
	s_delay_alu instid0(VALU_DEP_1) | instskip(NEXT) | instid1(VALU_DEP_2)
	v_add_co_u32 v0, vcc_lo, s42, v0
	v_add_co_ci_u32_e32 v1, vcc_lo, s43, v1, vcc_lo
	global_load_b32 v0, v[0:1], off
.LBB67_13:
	s_waitcnt vmcnt(0)
	v_ashrrev_i32_e32 v1, 31, v0
	v_lshlrev_b32_e32 v55, 4, v5
	v_lshl_or_b32 v52, v4, 7, 0x8000
	s_and_not1_b32 vcc_lo, exec_lo, s13
	s_delay_alu instid0(VALU_DEP_3)
	v_lshlrev_b64 v[20:21], 2, v[0:1]
	s_cbranch_vccnz .LBB67_101
; %bb.14:
	s_delay_alu instid0(VALU_DEP_1) | instskip(NEXT) | instid1(VALU_DEP_2)
	v_add_co_u32 v0, vcc_lo, s16, v20
	v_add_co_ci_u32_e32 v1, vcc_lo, s17, v21, vcc_lo
	v_subrev_nc_u32_e32 v2, s24, v53
	s_mov_b32 s1, exec_lo
	global_load_b64 v[0:1], v[0:1], off
	s_waitcnt vmcnt(0)
	v_subrev_nc_u32_e32 v56, s24, v1
	v_add_nc_u32_e32 v26, v0, v2
	s_delay_alu instid0(VALU_DEP_1)
	v_cmpx_lt_i32_e64 v26, v56
	s_cbranch_execz .LBB67_100
; %bb.15:
	v_add_nc_u32_e32 v57, 16, v55
	v_add_nc_u32_e32 v58, 32, v55
	;; [unrolled: 1-line block ×3, first 2 shown]
	s_cmp_eq_u32 s0, 0
	s_mov_b32 s3, 0
	s_cselect_b32 s13, 1, 2
	s_cselect_b32 s14, 2, 1
	s_branch .LBB67_17
.LBB67_16:                              ;   in Loop: Header=BB67_17 Depth=1
	s_or_b32 exec_lo, exec_lo, s15
	v_add_nc_u32_e32 v26, 16, v26
	s_delay_alu instid0(VALU_DEP_1) | instskip(SKIP_1) | instid1(SALU_CYCLE_1)
	v_cmp_ge_i32_e32 vcc_lo, v26, v56
	s_or_b32 s3, vcc_lo, s3
	s_and_not1_b32 exec_lo, exec_lo, s3
	s_cbranch_execz .LBB67_100
.LBB67_17:                              ; =>This Loop Header: Depth=1
                                        ;     Child Loop BB67_20 Depth 2
                                        ;       Child Loop BB67_22 Depth 3
                                        ;         Child Loop BB67_28 Depth 4
                                        ;         Child Loop BB67_30 Depth 4
                                        ;         Child Loop BB67_36 Depth 4
                                        ;         Child Loop BB67_38 Depth 4
                                        ;       Child Loop BB67_42 Depth 3
                                        ;         Child Loop BB67_48 Depth 4
                                        ;         Child Loop BB67_50 Depth 4
                                        ;         Child Loop BB67_56 Depth 4
                                        ;         Child Loop BB67_58 Depth 4
	;; [unrolled: 5-line block ×4, first 2 shown]
	v_ashrrev_i32_e32 v27, 31, v26
	s_mov_b32 s15, exec_lo
	s_delay_alu instid0(VALU_DEP_1) | instskip(NEXT) | instid1(VALU_DEP_1)
	v_lshlrev_b64 v[0:1], 2, v[26:27]
	v_add_co_u32 v0, vcc_lo, s18, v0
	s_delay_alu instid0(VALU_DEP_2) | instskip(SKIP_3) | instid1(VALU_DEP_1)
	v_add_co_ci_u32_e32 v1, vcc_lo, s19, v1, vcc_lo
	global_load_b32 v0, v[0:1], off
	s_waitcnt vmcnt(0)
	v_subrev_nc_u32_e32 v0, s24, v0
	v_ashrrev_i32_e32 v1, 31, v0
	s_delay_alu instid0(VALU_DEP_1) | instskip(NEXT) | instid1(VALU_DEP_1)
	v_lshlrev_b64 v[0:1], 2, v[0:1]
	v_add_co_u32 v0, vcc_lo, s22, v0
	s_delay_alu instid0(VALU_DEP_2)
	v_add_co_ci_u32_e32 v1, vcc_lo, s23, v1, vcc_lo
	global_load_b64 v[0:1], v[0:1], off
	s_waitcnt vmcnt(0)
	v_cmpx_lt_i32_e64 v0, v1
	s_cbranch_execz .LBB67_16
; %bb.18:                               ;   in Loop: Header=BB67_17 Depth=1
	v_lshlrev_b32_e32 v2, 2, v26
	v_subrev_nc_u32_e32 v60, s25, v1
	s_mov_b32 s16, 0
	s_delay_alu instid0(VALU_DEP_2) | instskip(SKIP_2) | instid1(VALU_DEP_3)
	v_or_b32_e32 v4, s13, v2
	v_ashrrev_i32_e32 v3, 31, v2
	v_or_b32_e32 v6, s14, v2
	v_ashrrev_i32_e32 v5, 31, v4
	s_delay_alu instid0(VALU_DEP_3) | instskip(NEXT) | instid1(VALU_DEP_3)
	v_lshlrev_b64 v[2:3], 4, v[2:3]
	v_ashrrev_i32_e32 v7, 31, v6
	s_delay_alu instid0(VALU_DEP_3) | instskip(NEXT) | instid1(VALU_DEP_3)
	v_lshlrev_b64 v[10:11], 4, v[4:5]
	v_add_co_u32 v8, vcc_lo, s20, v2
	s_delay_alu instid0(VALU_DEP_3) | instskip(SKIP_1) | instid1(VALU_DEP_4)
	v_lshlrev_b64 v[6:7], 4, v[6:7]
	v_add_co_ci_u32_e32 v9, vcc_lo, s21, v3, vcc_lo
	v_add_co_u32 v10, vcc_lo, s20, v10
	v_add_co_ci_u32_e32 v11, vcc_lo, s21, v11, vcc_lo
	s_delay_alu instid0(VALU_DEP_4)
	v_add_co_u32 v14, vcc_lo, s20, v6
	v_add_co_ci_u32_e32 v15, vcc_lo, s21, v7, vcc_lo
	s_clause 0x3
	global_load_b128 v[2:5], v[8:9], off
	global_load_b128 v[6:9], v[8:9], off offset:48
	global_load_b128 v[10:13], v[10:11], off
	global_load_b128 v[41:44], v[14:15], off
	s_waitcnt vmcnt(2)
	v_mul_f64 v[31:32], v[8:9], -v[24:25]
	v_mul_f64 v[14:15], v[4:5], -v[24:25]
	v_mul_f64 v[4:5], v[22:23], v[4:5]
	v_mul_f64 v[8:9], v[22:23], v[8:9]
	s_waitcnt vmcnt(1)
	v_mul_f64 v[35:36], v[12:13], -v[24:25]
	v_mul_f64 v[12:13], v[22:23], v[12:13]
	s_waitcnt vmcnt(0)
	v_mul_f64 v[39:40], v[43:44], -v[24:25]
	v_mul_f64 v[43:44], v[22:23], v[43:44]
	v_fma_f64 v[31:32], v[22:23], v[6:7], v[31:32]
	v_fma_f64 v[27:28], v[22:23], v[2:3], v[14:15]
	;; [unrolled: 1-line block ×8, first 2 shown]
	v_subrev_nc_u32_e32 v43, s25, v0
	s_branch .LBB67_20
.LBB67_19:                              ;   in Loop: Header=BB67_20 Depth=2
	s_or_b32 exec_lo, exec_lo, s17
	v_add_nc_u32_e32 v43, 1, v43
	s_delay_alu instid0(VALU_DEP_1) | instskip(SKIP_1) | instid1(SALU_CYCLE_1)
	v_cmp_ge_i32_e32 vcc_lo, v43, v60
	s_or_b32 s16, vcc_lo, s16
	s_and_not1_b32 exec_lo, exec_lo, s16
	s_cbranch_execz .LBB67_16
.LBB67_20:                              ;   Parent Loop BB67_17 Depth=1
                                        ; =>  This Loop Header: Depth=2
                                        ;       Child Loop BB67_22 Depth 3
                                        ;         Child Loop BB67_28 Depth 4
                                        ;         Child Loop BB67_30 Depth 4
                                        ;         Child Loop BB67_36 Depth 4
                                        ;         Child Loop BB67_38 Depth 4
                                        ;       Child Loop BB67_42 Depth 3
                                        ;         Child Loop BB67_48 Depth 4
                                        ;         Child Loop BB67_50 Depth 4
                                        ;         Child Loop BB67_56 Depth 4
                                        ;         Child Loop BB67_58 Depth 4
	;; [unrolled: 5-line block ×4, first 2 shown]
	s_delay_alu instid0(VALU_DEP_1) | instskip(SKIP_2) | instid1(VALU_DEP_2)
	v_lshlrev_b32_e32 v0, 2, v43
	v_ashrrev_i32_e32 v44, 31, v43
	s_mov_b32 s17, 0
	v_or_b32_e32 v1, s14, v0
	s_delay_alu instid0(VALU_DEP_1) | instskip(NEXT) | instid1(VALU_DEP_1)
	v_ashrrev_i32_e32 v2, 31, v1
	v_lshlrev_b64 v[1:2], 4, v[1:2]
	s_delay_alu instid0(VALU_DEP_1) | instskip(NEXT) | instid1(VALU_DEP_2)
	v_add_co_u32 v1, vcc_lo, s38, v1
	v_add_co_ci_u32_e32 v2, vcc_lo, s39, v2, vcc_lo
	global_load_b128 v[12:15], v[1:2], off
	v_ashrrev_i32_e32 v1, 31, v0
	s_delay_alu instid0(VALU_DEP_1) | instskip(NEXT) | instid1(VALU_DEP_1)
	v_lshlrev_b64 v[1:2], 4, v[0:1]
	v_add_co_u32 v4, vcc_lo, s38, v1
	s_delay_alu instid0(VALU_DEP_2)
	v_add_co_ci_u32_e32 v5, vcc_lo, s39, v2, vcc_lo
	v_lshlrev_b64 v[1:2], 2, v[43:44]
	global_load_b128 v[8:11], v[4:5], off
	v_add_co_u32 v1, vcc_lo, s36, v1
	v_add_co_ci_u32_e32 v2, vcc_lo, s37, v2, vcc_lo
	global_load_b32 v48, v[1:2], off
	s_waitcnt vmcnt(2)
	v_mul_f64 v[44:45], v[14:15], -v[37:38]
	v_mul_f64 v[46:47], v[35:36], v[14:15]
	s_waitcnt vmcnt(0)
	v_subrev_nc_u32_e32 v61, s25, v48
	s_delay_alu instid0(VALU_DEP_1) | instskip(NEXT) | instid1(VALU_DEP_4)
	v_lshl_add_u32 v48, v61, 3, v61
	v_fma_f64 v[44:45], v[35:36], v[12:13], v[44:45]
	s_delay_alu instid0(VALU_DEP_2) | instskip(SKIP_1) | instid1(VALU_DEP_2)
	v_and_b32_e32 v62, 31, v48
	v_fma_f64 v[46:47], v[37:38], v[12:13], v[46:47]
	v_mov_b32_e32 v63, v62
	v_or_b32_e32 v0, s13, v0
	s_delay_alu instid0(VALU_DEP_1) | instskip(NEXT) | instid1(VALU_DEP_1)
	v_ashrrev_i32_e32 v1, 31, v0
	v_lshlrev_b64 v[0:1], 4, v[0:1]
	s_delay_alu instid0(VALU_DEP_1) | instskip(NEXT) | instid1(VALU_DEP_2)
	v_add_co_u32 v0, vcc_lo, s38, v0
	v_add_co_ci_u32_e32 v1, vcc_lo, s39, v1, vcc_lo
	s_clause 0x1
	global_load_b128 v[0:3], v[0:1], off
	global_load_b128 v[4:7], v[4:5], off offset:48
	v_fma_f64 v[44:45], v[27:28], v[8:9], v[44:45]
	v_fma_f64 v[46:47], v[29:30], v[8:9], v[46:47]
	s_delay_alu instid0(VALU_DEP_2) | instskip(NEXT) | instid1(VALU_DEP_2)
	v_fma_f64 v[44:45], -v[29:30], v[10:11], v[44:45]
	v_fma_f64 v[46:47], v[27:28], v[10:11], v[46:47]
	s_branch .LBB67_22
.LBB67_21:                              ;   in Loop: Header=BB67_22 Depth=3
	s_or_b32 exec_lo, exec_lo, s33
	s_xor_b32 s33, s34, -1
	s_delay_alu instid0(SALU_CYCLE_1) | instskip(NEXT) | instid1(SALU_CYCLE_1)
	s_and_b32 s33, exec_lo, s33
	s_or_b32 s17, s33, s17
	s_delay_alu instid0(SALU_CYCLE_1)
	s_and_not1_b32 exec_lo, exec_lo, s17
	s_cbranch_execz .LBB67_40
.LBB67_22:                              ;   Parent Loop BB67_17 Depth=1
                                        ;     Parent Loop BB67_20 Depth=2
                                        ; =>    This Loop Header: Depth=3
                                        ;         Child Loop BB67_28 Depth 4
                                        ;         Child Loop BB67_30 Depth 4
                                        ;         Child Loop BB67_36 Depth 4
                                        ;         Child Loop BB67_38 Depth 4
	v_lshl_add_u32 v48, v63, 2, v52
	s_mov_b32 s33, exec_lo
                                        ; implicit-def: $sgpr34
	ds_load_b32 v49, v48
	s_waitcnt lgkmcnt(0)
	v_cmpx_ne_u32_e64 v49, v61
	s_xor_b32 s33, exec_lo, s33
	s_cbranch_execz .LBB67_34
; %bb.23:                               ;   in Loop: Header=BB67_22 Depth=3
	s_mov_b32 s35, exec_lo
                                        ; implicit-def: $sgpr34
	v_cmpx_ne_u32_e64 s2, v49
	s_xor_b32 s35, exec_lo, s35
; %bb.24:                               ;   in Loop: Header=BB67_22 Depth=3
	v_add_nc_u32_e32 v48, 1, v63
	s_mov_b32 s34, -1
	s_delay_alu instid0(VALU_DEP_1)
	v_and_b32_e32 v63, 31, v48
                                        ; implicit-def: $vgpr48
; %bb.25:                               ;   in Loop: Header=BB67_22 Depth=3
	s_and_not1_saveexec_b32 s35, s35
	s_cbranch_execz .LBB67_33
; %bb.26:                               ;   in Loop: Header=BB67_22 Depth=3
	v_mov_b32_e32 v49, s2
	s_mov_b32 s41, -1
	s_mov_b32 s40, exec_lo
	ds_cmpstore_rtn_b32 v48, v48, v61, v49
	s_waitcnt lgkmcnt(0)
	v_cmpx_eq_u32_e64 s2, v48
	s_cbranch_execz .LBB67_32
; %bb.27:                               ;   in Loop: Header=BB67_22 Depth=3
	v_lshlrev_b32_e32 v48, 6, v63
	s_mov_b32 s41, 0
	s_delay_alu instid0(VALU_DEP_1)
	v_add_nc_u32_e32 v64, v55, v48
	ds_load_b64 v[48:49], v64
.LBB67_28:                              ;   Parent Loop BB67_17 Depth=1
                                        ;     Parent Loop BB67_20 Depth=2
                                        ;       Parent Loop BB67_22 Depth=3
                                        ; =>      This Inner Loop Header: Depth=4
	s_waitcnt lgkmcnt(0)
	v_add_f64 v[65:66], v[48:49], v[44:45]
	ds_cmpstore_rtn_b64 v[65:66], v64, v[65:66], v[48:49]
	s_waitcnt lgkmcnt(0)
	v_cmp_eq_u64_e32 vcc_lo, v[65:66], v[48:49]
	v_dual_mov_b32 v48, v65 :: v_dual_mov_b32 v49, v66
	s_or_b32 s41, vcc_lo, s41
	s_delay_alu instid0(SALU_CYCLE_1)
	s_and_not1_b32 exec_lo, exec_lo, s41
	s_cbranch_execnz .LBB67_28
; %bb.29:                               ;   in Loop: Header=BB67_22 Depth=3
	s_or_b32 exec_lo, exec_lo, s41
	ds_load_b64 v[48:49], v64 offset:8
	s_mov_b32 s41, 0
.LBB67_30:                              ;   Parent Loop BB67_17 Depth=1
                                        ;     Parent Loop BB67_20 Depth=2
                                        ;       Parent Loop BB67_22 Depth=3
                                        ; =>      This Inner Loop Header: Depth=4
	s_waitcnt lgkmcnt(0)
	v_add_f64 v[65:66], v[48:49], v[46:47]
	ds_cmpstore_rtn_b64 v[65:66], v64, v[65:66], v[48:49] offset:8
	s_waitcnt lgkmcnt(0)
	v_cmp_eq_u64_e32 vcc_lo, v[65:66], v[48:49]
	v_dual_mov_b32 v48, v65 :: v_dual_mov_b32 v49, v66
	s_or_b32 s41, vcc_lo, s41
	s_delay_alu instid0(SALU_CYCLE_1)
	s_and_not1_b32 exec_lo, exec_lo, s41
	s_cbranch_execnz .LBB67_30
; %bb.31:                               ;   in Loop: Header=BB67_22 Depth=3
	s_or_b32 exec_lo, exec_lo, s41
	s_delay_alu instid0(SALU_CYCLE_1)
	s_xor_b32 s41, exec_lo, -1
.LBB67_32:                              ;   in Loop: Header=BB67_22 Depth=3
	s_or_b32 exec_lo, exec_lo, s40
	s_delay_alu instid0(SALU_CYCLE_1) | instskip(SKIP_1) | instid1(SALU_CYCLE_1)
	s_and_not1_b32 s34, s34, exec_lo
	s_and_b32 s40, s41, exec_lo
	s_or_b32 s34, s34, s40
.LBB67_33:                              ;   in Loop: Header=BB67_22 Depth=3
	s_or_b32 exec_lo, exec_lo, s35
	s_delay_alu instid0(SALU_CYCLE_1)
	s_and_b32 s34, s34, exec_lo
.LBB67_34:                              ;   in Loop: Header=BB67_22 Depth=3
	s_and_not1_saveexec_b32 s33, s33
	s_cbranch_execz .LBB67_21
; %bb.35:                               ;   in Loop: Header=BB67_22 Depth=3
	v_lshlrev_b32_e32 v48, 6, v63
	s_mov_b32 s35, 0
	s_delay_alu instid0(VALU_DEP_1)
	v_add_nc_u32_e32 v64, v55, v48
	ds_load_b64 v[48:49], v64
.LBB67_36:                              ;   Parent Loop BB67_17 Depth=1
                                        ;     Parent Loop BB67_20 Depth=2
                                        ;       Parent Loop BB67_22 Depth=3
                                        ; =>      This Inner Loop Header: Depth=4
	s_waitcnt lgkmcnt(0)
	v_add_f64 v[65:66], v[48:49], v[44:45]
	ds_cmpstore_rtn_b64 v[65:66], v64, v[65:66], v[48:49]
	s_waitcnt lgkmcnt(0)
	v_cmp_eq_u64_e32 vcc_lo, v[65:66], v[48:49]
	v_dual_mov_b32 v48, v65 :: v_dual_mov_b32 v49, v66
	s_or_b32 s35, vcc_lo, s35
	s_delay_alu instid0(SALU_CYCLE_1)
	s_and_not1_b32 exec_lo, exec_lo, s35
	s_cbranch_execnz .LBB67_36
; %bb.37:                               ;   in Loop: Header=BB67_22 Depth=3
	s_or_b32 exec_lo, exec_lo, s35
	ds_load_b64 v[48:49], v64 offset:8
	s_mov_b32 s35, 0
.LBB67_38:                              ;   Parent Loop BB67_17 Depth=1
                                        ;     Parent Loop BB67_20 Depth=2
                                        ;       Parent Loop BB67_22 Depth=3
                                        ; =>      This Inner Loop Header: Depth=4
	s_waitcnt lgkmcnt(0)
	v_add_f64 v[65:66], v[48:49], v[46:47]
	ds_cmpstore_rtn_b64 v[65:66], v64, v[65:66], v[48:49] offset:8
	s_waitcnt lgkmcnt(0)
	v_cmp_eq_u64_e32 vcc_lo, v[65:66], v[48:49]
	v_dual_mov_b32 v48, v65 :: v_dual_mov_b32 v49, v66
	s_or_b32 s35, vcc_lo, s35
	s_delay_alu instid0(SALU_CYCLE_1)
	s_and_not1_b32 exec_lo, exec_lo, s35
	s_cbranch_execnz .LBB67_38
; %bb.39:                               ;   in Loop: Header=BB67_22 Depth=3
	s_or_b32 exec_lo, exec_lo, s35
	s_delay_alu instid0(SALU_CYCLE_1)
	s_and_not1_b32 s34, s34, exec_lo
	s_branch .LBB67_21
.LBB67_40:                              ;   in Loop: Header=BB67_20 Depth=2
	s_or_b32 exec_lo, exec_lo, s17
	s_waitcnt vmcnt(0)
	v_mul_f64 v[44:45], v[6:7], -v[37:38]
	v_mul_f64 v[46:47], v[35:36], v[6:7]
	v_mov_b32_e32 v63, v62
	s_mov_b32 s17, 0
	s_delay_alu instid0(VALU_DEP_3) | instskip(NEXT) | instid1(VALU_DEP_3)
	v_fma_f64 v[44:45], v[35:36], v[4:5], v[44:45]
	v_fma_f64 v[46:47], v[37:38], v[4:5], v[46:47]
	s_delay_alu instid0(VALU_DEP_2) | instskip(NEXT) | instid1(VALU_DEP_2)
	v_fma_f64 v[44:45], v[27:28], v[0:1], v[44:45]
	v_fma_f64 v[46:47], v[29:30], v[0:1], v[46:47]
	s_delay_alu instid0(VALU_DEP_2) | instskip(NEXT) | instid1(VALU_DEP_2)
	v_fma_f64 v[44:45], -v[29:30], v[2:3], v[44:45]
	v_fma_f64 v[46:47], v[27:28], v[2:3], v[46:47]
	s_branch .LBB67_42
.LBB67_41:                              ;   in Loop: Header=BB67_42 Depth=3
	s_or_b32 exec_lo, exec_lo, s33
	s_xor_b32 s33, s34, -1
	s_delay_alu instid0(SALU_CYCLE_1) | instskip(NEXT) | instid1(SALU_CYCLE_1)
	s_and_b32 s33, exec_lo, s33
	s_or_b32 s17, s33, s17
	s_delay_alu instid0(SALU_CYCLE_1)
	s_and_not1_b32 exec_lo, exec_lo, s17
	s_cbranch_execz .LBB67_60
.LBB67_42:                              ;   Parent Loop BB67_17 Depth=1
                                        ;     Parent Loop BB67_20 Depth=2
                                        ; =>    This Loop Header: Depth=3
                                        ;         Child Loop BB67_48 Depth 4
                                        ;         Child Loop BB67_50 Depth 4
                                        ;         Child Loop BB67_56 Depth 4
                                        ;         Child Loop BB67_58 Depth 4
	v_lshl_add_u32 v48, v63, 2, v52
	s_mov_b32 s33, exec_lo
                                        ; implicit-def: $sgpr34
	ds_load_b32 v49, v48
	s_waitcnt lgkmcnt(0)
	v_cmpx_ne_u32_e64 v49, v61
	s_xor_b32 s33, exec_lo, s33
	s_cbranch_execz .LBB67_54
; %bb.43:                               ;   in Loop: Header=BB67_42 Depth=3
	s_mov_b32 s35, exec_lo
                                        ; implicit-def: $sgpr34
	v_cmpx_ne_u32_e64 s2, v49
	s_xor_b32 s35, exec_lo, s35
; %bb.44:                               ;   in Loop: Header=BB67_42 Depth=3
	v_add_nc_u32_e32 v48, 1, v63
	s_mov_b32 s34, -1
	s_delay_alu instid0(VALU_DEP_1)
	v_and_b32_e32 v63, 31, v48
                                        ; implicit-def: $vgpr48
; %bb.45:                               ;   in Loop: Header=BB67_42 Depth=3
	s_and_not1_saveexec_b32 s35, s35
	s_cbranch_execz .LBB67_53
; %bb.46:                               ;   in Loop: Header=BB67_42 Depth=3
	v_mov_b32_e32 v49, s2
	s_mov_b32 s41, -1
	s_mov_b32 s40, exec_lo
	ds_cmpstore_rtn_b32 v48, v48, v61, v49
	s_waitcnt lgkmcnt(0)
	v_cmpx_eq_u32_e64 s2, v48
	s_cbranch_execz .LBB67_52
; %bb.47:                               ;   in Loop: Header=BB67_42 Depth=3
	v_lshl_add_u32 v64, v63, 6, v57
	s_mov_b32 s41, 0
	ds_load_b64 v[48:49], v64
.LBB67_48:                              ;   Parent Loop BB67_17 Depth=1
                                        ;     Parent Loop BB67_20 Depth=2
                                        ;       Parent Loop BB67_42 Depth=3
                                        ; =>      This Inner Loop Header: Depth=4
	s_waitcnt lgkmcnt(0)
	v_add_f64 v[65:66], v[48:49], v[44:45]
	ds_cmpstore_rtn_b64 v[65:66], v64, v[65:66], v[48:49]
	s_waitcnt lgkmcnt(0)
	v_cmp_eq_u64_e32 vcc_lo, v[65:66], v[48:49]
	v_dual_mov_b32 v48, v65 :: v_dual_mov_b32 v49, v66
	s_or_b32 s41, vcc_lo, s41
	s_delay_alu instid0(SALU_CYCLE_1)
	s_and_not1_b32 exec_lo, exec_lo, s41
	s_cbranch_execnz .LBB67_48
; %bb.49:                               ;   in Loop: Header=BB67_42 Depth=3
	s_or_b32 exec_lo, exec_lo, s41
	ds_load_b64 v[48:49], v64 offset:8
	s_mov_b32 s41, 0
.LBB67_50:                              ;   Parent Loop BB67_17 Depth=1
                                        ;     Parent Loop BB67_20 Depth=2
                                        ;       Parent Loop BB67_42 Depth=3
                                        ; =>      This Inner Loop Header: Depth=4
	s_waitcnt lgkmcnt(0)
	v_add_f64 v[65:66], v[48:49], v[46:47]
	ds_cmpstore_rtn_b64 v[65:66], v64, v[65:66], v[48:49] offset:8
	s_waitcnt lgkmcnt(0)
	v_cmp_eq_u64_e32 vcc_lo, v[65:66], v[48:49]
	v_dual_mov_b32 v48, v65 :: v_dual_mov_b32 v49, v66
	s_or_b32 s41, vcc_lo, s41
	s_delay_alu instid0(SALU_CYCLE_1)
	s_and_not1_b32 exec_lo, exec_lo, s41
	s_cbranch_execnz .LBB67_50
; %bb.51:                               ;   in Loop: Header=BB67_42 Depth=3
	s_or_b32 exec_lo, exec_lo, s41
	s_delay_alu instid0(SALU_CYCLE_1)
	s_xor_b32 s41, exec_lo, -1
.LBB67_52:                              ;   in Loop: Header=BB67_42 Depth=3
	s_or_b32 exec_lo, exec_lo, s40
	s_delay_alu instid0(SALU_CYCLE_1) | instskip(SKIP_1) | instid1(SALU_CYCLE_1)
	s_and_not1_b32 s34, s34, exec_lo
	s_and_b32 s40, s41, exec_lo
	s_or_b32 s34, s34, s40
.LBB67_53:                              ;   in Loop: Header=BB67_42 Depth=3
	s_or_b32 exec_lo, exec_lo, s35
	s_delay_alu instid0(SALU_CYCLE_1)
	s_and_b32 s34, s34, exec_lo
.LBB67_54:                              ;   in Loop: Header=BB67_42 Depth=3
	s_and_not1_saveexec_b32 s33, s33
	s_cbranch_execz .LBB67_41
; %bb.55:                               ;   in Loop: Header=BB67_42 Depth=3
	v_lshl_add_u32 v64, v63, 6, v57
	s_mov_b32 s35, 0
	ds_load_b64 v[48:49], v64
.LBB67_56:                              ;   Parent Loop BB67_17 Depth=1
                                        ;     Parent Loop BB67_20 Depth=2
                                        ;       Parent Loop BB67_42 Depth=3
                                        ; =>      This Inner Loop Header: Depth=4
	s_waitcnt lgkmcnt(0)
	v_add_f64 v[65:66], v[48:49], v[44:45]
	ds_cmpstore_rtn_b64 v[65:66], v64, v[65:66], v[48:49]
	s_waitcnt lgkmcnt(0)
	v_cmp_eq_u64_e32 vcc_lo, v[65:66], v[48:49]
	v_dual_mov_b32 v48, v65 :: v_dual_mov_b32 v49, v66
	s_or_b32 s35, vcc_lo, s35
	s_delay_alu instid0(SALU_CYCLE_1)
	s_and_not1_b32 exec_lo, exec_lo, s35
	s_cbranch_execnz .LBB67_56
; %bb.57:                               ;   in Loop: Header=BB67_42 Depth=3
	s_or_b32 exec_lo, exec_lo, s35
	ds_load_b64 v[48:49], v64 offset:8
	s_mov_b32 s35, 0
.LBB67_58:                              ;   Parent Loop BB67_17 Depth=1
                                        ;     Parent Loop BB67_20 Depth=2
                                        ;       Parent Loop BB67_42 Depth=3
                                        ; =>      This Inner Loop Header: Depth=4
	s_waitcnt lgkmcnt(0)
	v_add_f64 v[65:66], v[48:49], v[46:47]
	ds_cmpstore_rtn_b64 v[65:66], v64, v[65:66], v[48:49] offset:8
	s_waitcnt lgkmcnt(0)
	v_cmp_eq_u64_e32 vcc_lo, v[65:66], v[48:49]
	v_dual_mov_b32 v48, v65 :: v_dual_mov_b32 v49, v66
	s_or_b32 s35, vcc_lo, s35
	s_delay_alu instid0(SALU_CYCLE_1)
	s_and_not1_b32 exec_lo, exec_lo, s35
	s_cbranch_execnz .LBB67_58
; %bb.59:                               ;   in Loop: Header=BB67_42 Depth=3
	s_or_b32 exec_lo, exec_lo, s35
	s_delay_alu instid0(SALU_CYCLE_1)
	s_and_not1_b32 s34, s34, exec_lo
	s_branch .LBB67_41
.LBB67_60:                              ;   in Loop: Header=BB67_20 Depth=2
	s_or_b32 exec_lo, exec_lo, s17
	v_mul_f64 v[44:45], v[14:15], -v[33:34]
	v_mul_f64 v[14:15], v[31:32], v[14:15]
	s_mov_b32 s17, 0
	s_delay_alu instid0(VALU_DEP_2) | instskip(NEXT) | instid1(VALU_DEP_2)
	v_fma_f64 v[44:45], v[31:32], v[12:13], v[44:45]
	v_fma_f64 v[12:13], v[33:34], v[12:13], v[14:15]
	s_delay_alu instid0(VALU_DEP_2) | instskip(NEXT) | instid1(VALU_DEP_2)
	v_fma_f64 v[14:15], v[39:40], v[8:9], v[44:45]
	v_fma_f64 v[12:13], v[41:42], v[8:9], v[12:13]
	s_delay_alu instid0(VALU_DEP_2) | instskip(NEXT) | instid1(VALU_DEP_2)
	v_fma_f64 v[8:9], -v[41:42], v[10:11], v[14:15]
	v_fma_f64 v[10:11], v[39:40], v[10:11], v[12:13]
	v_mov_b32_e32 v14, v62
	s_branch .LBB67_62
.LBB67_61:                              ;   in Loop: Header=BB67_62 Depth=3
	s_or_b32 exec_lo, exec_lo, s33
	s_xor_b32 s33, s34, -1
	s_delay_alu instid0(SALU_CYCLE_1) | instskip(NEXT) | instid1(SALU_CYCLE_1)
	s_and_b32 s33, exec_lo, s33
	s_or_b32 s17, s33, s17
	s_delay_alu instid0(SALU_CYCLE_1)
	s_and_not1_b32 exec_lo, exec_lo, s17
	s_cbranch_execz .LBB67_80
.LBB67_62:                              ;   Parent Loop BB67_17 Depth=1
                                        ;     Parent Loop BB67_20 Depth=2
                                        ; =>    This Loop Header: Depth=3
                                        ;         Child Loop BB67_68 Depth 4
                                        ;         Child Loop BB67_70 Depth 4
	;; [unrolled: 1-line block ×4, first 2 shown]
	s_delay_alu instid0(VALU_DEP_1)
	v_lshl_add_u32 v12, v14, 2, v52
	s_mov_b32 s33, exec_lo
                                        ; implicit-def: $sgpr34
	ds_load_b32 v13, v12
	s_waitcnt lgkmcnt(0)
	v_cmpx_ne_u32_e64 v13, v61
	s_xor_b32 s33, exec_lo, s33
	s_cbranch_execz .LBB67_74
; %bb.63:                               ;   in Loop: Header=BB67_62 Depth=3
	s_mov_b32 s35, exec_lo
                                        ; implicit-def: $sgpr34
	v_cmpx_ne_u32_e64 s2, v13
	s_xor_b32 s35, exec_lo, s35
; %bb.64:                               ;   in Loop: Header=BB67_62 Depth=3
	v_add_nc_u32_e32 v12, 1, v14
	s_mov_b32 s34, -1
	s_delay_alu instid0(VALU_DEP_1)
	v_and_b32_e32 v14, 31, v12
                                        ; implicit-def: $vgpr12
; %bb.65:                               ;   in Loop: Header=BB67_62 Depth=3
	s_and_not1_saveexec_b32 s35, s35
	s_cbranch_execz .LBB67_73
; %bb.66:                               ;   in Loop: Header=BB67_62 Depth=3
	v_mov_b32_e32 v13, s2
	s_mov_b32 s41, -1
	s_mov_b32 s40, exec_lo
	ds_cmpstore_rtn_b32 v12, v12, v61, v13
	s_waitcnt lgkmcnt(0)
	v_cmpx_eq_u32_e64 s2, v12
	s_cbranch_execz .LBB67_72
; %bb.67:                               ;   in Loop: Header=BB67_62 Depth=3
	v_lshl_add_u32 v15, v14, 6, v58
	s_mov_b32 s41, 0
	ds_load_b64 v[12:13], v15
.LBB67_68:                              ;   Parent Loop BB67_17 Depth=1
                                        ;     Parent Loop BB67_20 Depth=2
                                        ;       Parent Loop BB67_62 Depth=3
                                        ; =>      This Inner Loop Header: Depth=4
	s_waitcnt lgkmcnt(0)
	v_add_f64 v[44:45], v[12:13], v[8:9]
	ds_cmpstore_rtn_b64 v[44:45], v15, v[44:45], v[12:13]
	s_waitcnt lgkmcnt(0)
	v_cmp_eq_u64_e32 vcc_lo, v[44:45], v[12:13]
	v_dual_mov_b32 v12, v44 :: v_dual_mov_b32 v13, v45
	s_or_b32 s41, vcc_lo, s41
	s_delay_alu instid0(SALU_CYCLE_1)
	s_and_not1_b32 exec_lo, exec_lo, s41
	s_cbranch_execnz .LBB67_68
; %bb.69:                               ;   in Loop: Header=BB67_62 Depth=3
	s_or_b32 exec_lo, exec_lo, s41
	ds_load_b64 v[12:13], v15 offset:8
	s_mov_b32 s41, 0
.LBB67_70:                              ;   Parent Loop BB67_17 Depth=1
                                        ;     Parent Loop BB67_20 Depth=2
                                        ;       Parent Loop BB67_62 Depth=3
                                        ; =>      This Inner Loop Header: Depth=4
	s_waitcnt lgkmcnt(0)
	v_add_f64 v[44:45], v[12:13], v[10:11]
	ds_cmpstore_rtn_b64 v[44:45], v15, v[44:45], v[12:13] offset:8
	s_waitcnt lgkmcnt(0)
	v_cmp_eq_u64_e32 vcc_lo, v[44:45], v[12:13]
	v_dual_mov_b32 v12, v44 :: v_dual_mov_b32 v13, v45
	s_or_b32 s41, vcc_lo, s41
	s_delay_alu instid0(SALU_CYCLE_1)
	s_and_not1_b32 exec_lo, exec_lo, s41
	s_cbranch_execnz .LBB67_70
; %bb.71:                               ;   in Loop: Header=BB67_62 Depth=3
	s_or_b32 exec_lo, exec_lo, s41
	s_delay_alu instid0(SALU_CYCLE_1)
	s_xor_b32 s41, exec_lo, -1
.LBB67_72:                              ;   in Loop: Header=BB67_62 Depth=3
	s_or_b32 exec_lo, exec_lo, s40
	s_delay_alu instid0(SALU_CYCLE_1) | instskip(SKIP_1) | instid1(SALU_CYCLE_1)
	s_and_not1_b32 s34, s34, exec_lo
	s_and_b32 s40, s41, exec_lo
	s_or_b32 s34, s34, s40
.LBB67_73:                              ;   in Loop: Header=BB67_62 Depth=3
	s_or_b32 exec_lo, exec_lo, s35
	s_delay_alu instid0(SALU_CYCLE_1)
	s_and_b32 s34, s34, exec_lo
.LBB67_74:                              ;   in Loop: Header=BB67_62 Depth=3
	s_and_not1_saveexec_b32 s33, s33
	s_cbranch_execz .LBB67_61
; %bb.75:                               ;   in Loop: Header=BB67_62 Depth=3
	v_lshl_add_u32 v15, v14, 6, v58
	s_mov_b32 s35, 0
	ds_load_b64 v[12:13], v15
.LBB67_76:                              ;   Parent Loop BB67_17 Depth=1
                                        ;     Parent Loop BB67_20 Depth=2
                                        ;       Parent Loop BB67_62 Depth=3
                                        ; =>      This Inner Loop Header: Depth=4
	s_waitcnt lgkmcnt(0)
	v_add_f64 v[44:45], v[12:13], v[8:9]
	ds_cmpstore_rtn_b64 v[44:45], v15, v[44:45], v[12:13]
	s_waitcnt lgkmcnt(0)
	v_cmp_eq_u64_e32 vcc_lo, v[44:45], v[12:13]
	v_dual_mov_b32 v12, v44 :: v_dual_mov_b32 v13, v45
	s_or_b32 s35, vcc_lo, s35
	s_delay_alu instid0(SALU_CYCLE_1)
	s_and_not1_b32 exec_lo, exec_lo, s35
	s_cbranch_execnz .LBB67_76
; %bb.77:                               ;   in Loop: Header=BB67_62 Depth=3
	s_or_b32 exec_lo, exec_lo, s35
	ds_load_b64 v[12:13], v15 offset:8
	s_mov_b32 s35, 0
.LBB67_78:                              ;   Parent Loop BB67_17 Depth=1
                                        ;     Parent Loop BB67_20 Depth=2
                                        ;       Parent Loop BB67_62 Depth=3
                                        ; =>      This Inner Loop Header: Depth=4
	s_waitcnt lgkmcnt(0)
	v_add_f64 v[44:45], v[12:13], v[10:11]
	ds_cmpstore_rtn_b64 v[44:45], v15, v[44:45], v[12:13] offset:8
	s_waitcnt lgkmcnt(0)
	v_cmp_eq_u64_e32 vcc_lo, v[44:45], v[12:13]
	v_dual_mov_b32 v12, v44 :: v_dual_mov_b32 v13, v45
	s_or_b32 s35, vcc_lo, s35
	s_delay_alu instid0(SALU_CYCLE_1)
	s_and_not1_b32 exec_lo, exec_lo, s35
	s_cbranch_execnz .LBB67_78
; %bb.79:                               ;   in Loop: Header=BB67_62 Depth=3
	s_or_b32 exec_lo, exec_lo, s35
	s_delay_alu instid0(SALU_CYCLE_1)
	s_and_not1_b32 s34, s34, exec_lo
	s_branch .LBB67_61
.LBB67_80:                              ;   in Loop: Header=BB67_20 Depth=2
	s_or_b32 exec_lo, exec_lo, s17
	v_mul_f64 v[8:9], v[6:7], -v[33:34]
	v_mul_f64 v[6:7], v[31:32], v[6:7]
	s_mov_b32 s17, 0
	s_delay_alu instid0(VALU_DEP_2) | instskip(NEXT) | instid1(VALU_DEP_2)
	v_fma_f64 v[8:9], v[31:32], v[4:5], v[8:9]
	v_fma_f64 v[4:5], v[33:34], v[4:5], v[6:7]
	s_delay_alu instid0(VALU_DEP_2) | instskip(NEXT) | instid1(VALU_DEP_2)
	v_fma_f64 v[6:7], v[39:40], v[0:1], v[8:9]
	v_fma_f64 v[4:5], v[41:42], v[0:1], v[4:5]
	s_delay_alu instid0(VALU_DEP_2) | instskip(NEXT) | instid1(VALU_DEP_2)
	v_fma_f64 v[0:1], -v[41:42], v[2:3], v[6:7]
	v_fma_f64 v[2:3], v[39:40], v[2:3], v[4:5]
	s_branch .LBB67_82
.LBB67_81:                              ;   in Loop: Header=BB67_82 Depth=3
	s_or_b32 exec_lo, exec_lo, s33
	s_xor_b32 s33, s34, -1
	s_delay_alu instid0(SALU_CYCLE_1) | instskip(NEXT) | instid1(SALU_CYCLE_1)
	s_and_b32 s33, exec_lo, s33
	s_or_b32 s17, s33, s17
	s_delay_alu instid0(SALU_CYCLE_1)
	s_and_not1_b32 exec_lo, exec_lo, s17
	s_cbranch_execz .LBB67_19
.LBB67_82:                              ;   Parent Loop BB67_17 Depth=1
                                        ;     Parent Loop BB67_20 Depth=2
                                        ; =>    This Loop Header: Depth=3
                                        ;         Child Loop BB67_88 Depth 4
                                        ;         Child Loop BB67_90 Depth 4
	;; [unrolled: 1-line block ×4, first 2 shown]
	v_lshl_add_u32 v4, v62, 2, v52
	s_mov_b32 s33, exec_lo
                                        ; implicit-def: $sgpr34
	ds_load_b32 v5, v4
	s_waitcnt lgkmcnt(0)
	v_cmpx_ne_u32_e64 v5, v61
	s_xor_b32 s33, exec_lo, s33
	s_cbranch_execz .LBB67_94
; %bb.83:                               ;   in Loop: Header=BB67_82 Depth=3
	s_mov_b32 s35, exec_lo
                                        ; implicit-def: $sgpr34
	v_cmpx_ne_u32_e64 s2, v5
	s_xor_b32 s35, exec_lo, s35
; %bb.84:                               ;   in Loop: Header=BB67_82 Depth=3
	v_add_nc_u32_e32 v4, 1, v62
	s_mov_b32 s34, -1
	s_delay_alu instid0(VALU_DEP_1)
	v_and_b32_e32 v62, 31, v4
                                        ; implicit-def: $vgpr4
; %bb.85:                               ;   in Loop: Header=BB67_82 Depth=3
	s_and_not1_saveexec_b32 s35, s35
	s_cbranch_execz .LBB67_93
; %bb.86:                               ;   in Loop: Header=BB67_82 Depth=3
	v_mov_b32_e32 v5, s2
	s_mov_b32 s41, -1
	s_mov_b32 s40, exec_lo
	ds_cmpstore_rtn_b32 v4, v4, v61, v5
	s_waitcnt lgkmcnt(0)
	v_cmpx_eq_u32_e64 s2, v4
	s_cbranch_execz .LBB67_92
; %bb.87:                               ;   in Loop: Header=BB67_82 Depth=3
	v_lshl_add_u32 v6, v62, 6, v59
	s_mov_b32 s41, 0
	ds_load_b64 v[4:5], v6
.LBB67_88:                              ;   Parent Loop BB67_17 Depth=1
                                        ;     Parent Loop BB67_20 Depth=2
                                        ;       Parent Loop BB67_82 Depth=3
                                        ; =>      This Inner Loop Header: Depth=4
	s_waitcnt lgkmcnt(0)
	v_add_f64 v[7:8], v[4:5], v[0:1]
	ds_cmpstore_rtn_b64 v[7:8], v6, v[7:8], v[4:5]
	s_waitcnt lgkmcnt(0)
	v_cmp_eq_u64_e32 vcc_lo, v[7:8], v[4:5]
	v_dual_mov_b32 v4, v7 :: v_dual_mov_b32 v5, v8
	s_or_b32 s41, vcc_lo, s41
	s_delay_alu instid0(SALU_CYCLE_1)
	s_and_not1_b32 exec_lo, exec_lo, s41
	s_cbranch_execnz .LBB67_88
; %bb.89:                               ;   in Loop: Header=BB67_82 Depth=3
	s_or_b32 exec_lo, exec_lo, s41
	ds_load_b64 v[4:5], v6 offset:8
	s_mov_b32 s41, 0
.LBB67_90:                              ;   Parent Loop BB67_17 Depth=1
                                        ;     Parent Loop BB67_20 Depth=2
                                        ;       Parent Loop BB67_82 Depth=3
                                        ; =>      This Inner Loop Header: Depth=4
	s_waitcnt lgkmcnt(0)
	v_add_f64 v[7:8], v[4:5], v[2:3]
	ds_cmpstore_rtn_b64 v[7:8], v6, v[7:8], v[4:5] offset:8
	s_waitcnt lgkmcnt(0)
	v_cmp_eq_u64_e32 vcc_lo, v[7:8], v[4:5]
	v_dual_mov_b32 v4, v7 :: v_dual_mov_b32 v5, v8
	s_or_b32 s41, vcc_lo, s41
	s_delay_alu instid0(SALU_CYCLE_1)
	s_and_not1_b32 exec_lo, exec_lo, s41
	s_cbranch_execnz .LBB67_90
; %bb.91:                               ;   in Loop: Header=BB67_82 Depth=3
	s_or_b32 exec_lo, exec_lo, s41
	s_delay_alu instid0(SALU_CYCLE_1)
	s_xor_b32 s41, exec_lo, -1
.LBB67_92:                              ;   in Loop: Header=BB67_82 Depth=3
	s_or_b32 exec_lo, exec_lo, s40
	s_delay_alu instid0(SALU_CYCLE_1) | instskip(SKIP_1) | instid1(SALU_CYCLE_1)
	s_and_not1_b32 s34, s34, exec_lo
	s_and_b32 s40, s41, exec_lo
	s_or_b32 s34, s34, s40
.LBB67_93:                              ;   in Loop: Header=BB67_82 Depth=3
	s_or_b32 exec_lo, exec_lo, s35
	s_delay_alu instid0(SALU_CYCLE_1)
	s_and_b32 s34, s34, exec_lo
.LBB67_94:                              ;   in Loop: Header=BB67_82 Depth=3
	s_and_not1_saveexec_b32 s33, s33
	s_cbranch_execz .LBB67_81
; %bb.95:                               ;   in Loop: Header=BB67_82 Depth=3
	v_lshl_add_u32 v6, v62, 6, v59
	s_mov_b32 s35, 0
	ds_load_b64 v[4:5], v6
.LBB67_96:                              ;   Parent Loop BB67_17 Depth=1
                                        ;     Parent Loop BB67_20 Depth=2
                                        ;       Parent Loop BB67_82 Depth=3
                                        ; =>      This Inner Loop Header: Depth=4
	s_waitcnt lgkmcnt(0)
	v_add_f64 v[7:8], v[4:5], v[0:1]
	ds_cmpstore_rtn_b64 v[7:8], v6, v[7:8], v[4:5]
	s_waitcnt lgkmcnt(0)
	v_cmp_eq_u64_e32 vcc_lo, v[7:8], v[4:5]
	v_dual_mov_b32 v4, v7 :: v_dual_mov_b32 v5, v8
	s_or_b32 s35, vcc_lo, s35
	s_delay_alu instid0(SALU_CYCLE_1)
	s_and_not1_b32 exec_lo, exec_lo, s35
	s_cbranch_execnz .LBB67_96
; %bb.97:                               ;   in Loop: Header=BB67_82 Depth=3
	s_or_b32 exec_lo, exec_lo, s35
	ds_load_b64 v[4:5], v6 offset:8
	s_mov_b32 s35, 0
.LBB67_98:                              ;   Parent Loop BB67_17 Depth=1
                                        ;     Parent Loop BB67_20 Depth=2
                                        ;       Parent Loop BB67_82 Depth=3
                                        ; =>      This Inner Loop Header: Depth=4
	s_waitcnt lgkmcnt(0)
	v_add_f64 v[7:8], v[4:5], v[2:3]
	ds_cmpstore_rtn_b64 v[7:8], v6, v[7:8], v[4:5] offset:8
	s_waitcnt lgkmcnt(0)
	v_cmp_eq_u64_e32 vcc_lo, v[7:8], v[4:5]
	v_dual_mov_b32 v4, v7 :: v_dual_mov_b32 v5, v8
	s_or_b32 s35, vcc_lo, s35
	s_delay_alu instid0(SALU_CYCLE_1)
	s_and_not1_b32 exec_lo, exec_lo, s35
	s_cbranch_execnz .LBB67_98
; %bb.99:                               ;   in Loop: Header=BB67_82 Depth=3
	s_or_b32 exec_lo, exec_lo, s35
	s_delay_alu instid0(SALU_CYCLE_1)
	s_and_not1_b32 s34, s34, exec_lo
	s_branch .LBB67_81
.LBB67_100:
	s_or_b32 exec_lo, exec_lo, s1
.LBB67_101:
	s_delay_alu instid0(SALU_CYCLE_1)
	s_and_not1_b32 vcc_lo, exec_lo, s12
	buffer_gl0_inv
	s_cbranch_vccnz .LBB67_186
; %bb.102:
	v_add_co_u32 v0, vcc_lo, s4, v20
	v_add_co_ci_u32_e32 v1, vcc_lo, s5, v21, vcc_lo
	v_subrev_nc_u32_e32 v2, s27, v53
	s_mov_b32 s1, exec_lo
	global_load_b64 v[0:1], v[0:1], off
	s_waitcnt vmcnt(0)
	v_subrev_nc_u32_e32 v15, s27, v1
	v_add_nc_u32_e32 v12, v0, v2
	s_delay_alu instid0(VALU_DEP_1)
	v_cmpx_lt_i32_e64 v12, v15
	s_cbranch_execz .LBB67_185
; %bb.103:
	v_add_nc_u32_e32 v26, 16, v55
	v_add_nc_u32_e32 v27, 32, v55
	;; [unrolled: 1-line block ×3, first 2 shown]
	s_cmp_eq_u32 s0, 0
	s_mov_b32 s3, 0
	s_cselect_b32 s4, 1, 2
	s_cselect_b32 s5, 2, 1
	s_branch .LBB67_105
.LBB67_104:                             ;   in Loop: Header=BB67_105 Depth=1
	s_or_b32 exec_lo, exec_lo, s12
	v_add_nc_u32_e32 v12, 16, v12
	s_delay_alu instid0(VALU_DEP_1) | instskip(SKIP_1) | instid1(SALU_CYCLE_1)
	v_cmp_ge_i32_e32 vcc_lo, v12, v15
	s_or_b32 s3, vcc_lo, s3
	s_and_not1_b32 exec_lo, exec_lo, s3
	s_cbranch_execz .LBB67_185
.LBB67_105:                             ; =>This Loop Header: Depth=1
                                        ;     Child Loop BB67_107 Depth 2
                                        ;       Child Loop BB67_113 Depth 3
                                        ;       Child Loop BB67_115 Depth 3
                                        ;       Child Loop BB67_121 Depth 3
                                        ;       Child Loop BB67_123 Depth 3
                                        ;     Child Loop BB67_127 Depth 2
                                        ;       Child Loop BB67_133 Depth 3
                                        ;       Child Loop BB67_135 Depth 3
                                        ;       Child Loop BB67_141 Depth 3
                                        ;       Child Loop BB67_143 Depth 3
	;; [unrolled: 5-line block ×4, first 2 shown]
	v_lshlrev_b32_e32 v0, 2, v12
	v_ashrrev_i32_e32 v13, 31, v12
	s_mov_b32 s12, 0
	s_delay_alu instid0(VALU_DEP_2) | instskip(NEXT) | instid1(VALU_DEP_2)
	v_ashrrev_i32_e32 v1, 31, v0
	v_lshlrev_b64 v[3:4], 2, v[12:13]
	s_delay_alu instid0(VALU_DEP_2) | instskip(NEXT) | instid1(VALU_DEP_1)
	v_lshlrev_b64 v[1:2], 4, v[0:1]
	v_add_co_u32 v1, vcc_lo, s8, v1
	s_delay_alu instid0(VALU_DEP_2) | instskip(NEXT) | instid1(VALU_DEP_4)
	v_add_co_ci_u32_e32 v2, vcc_lo, s9, v2, vcc_lo
	v_add_co_u32 v3, vcc_lo, s6, v3
	v_add_co_ci_u32_e32 v4, vcc_lo, s7, v4, vcc_lo
	global_load_b128 v[22:25], v[1:2], off
	global_load_b32 v29, v[3:4], off
	s_waitcnt vmcnt(1)
	v_mul_f64 v[13:14], v[24:25], -v[16:17]
	v_mul_f64 v[24:25], v[18:19], v[24:25]
	s_waitcnt vmcnt(0)
	v_subrev_nc_u32_e32 v29, s27, v29
	s_delay_alu instid0(VALU_DEP_3) | instskip(NEXT) | instid1(VALU_DEP_3)
	v_fma_f64 v[13:14], v[18:19], v[22:23], v[13:14]
	v_fma_f64 v[22:23], v[16:17], v[22:23], v[24:25]
	s_delay_alu instid0(VALU_DEP_3) | instskip(NEXT) | instid1(VALU_DEP_1)
	v_lshl_add_u32 v24, v29, 3, v29
	v_and_b32_e32 v30, 31, v24
	s_delay_alu instid0(VALU_DEP_1) | instskip(SKIP_2) | instid1(VALU_DEP_2)
	v_mov_b32_e32 v31, v30
	v_or_b32_e32 v5, s4, v0
	v_or_b32_e32 v7, s5, v0
	v_ashrrev_i32_e32 v6, 31, v5
	s_delay_alu instid0(VALU_DEP_2) | instskip(NEXT) | instid1(VALU_DEP_2)
	v_ashrrev_i32_e32 v8, 31, v7
	v_lshlrev_b64 v[3:4], 4, v[5:6]
	s_delay_alu instid0(VALU_DEP_2) | instskip(NEXT) | instid1(VALU_DEP_2)
	v_lshlrev_b64 v[5:6], 4, v[7:8]
	v_add_co_u32 v7, vcc_lo, s8, v3
	s_delay_alu instid0(VALU_DEP_3) | instskip(NEXT) | instid1(VALU_DEP_3)
	v_add_co_ci_u32_e32 v8, vcc_lo, s9, v4, vcc_lo
	v_add_co_u32 v4, vcc_lo, s8, v5
	s_delay_alu instid0(VALU_DEP_4)
	v_add_co_ci_u32_e32 v5, vcc_lo, s9, v6, vcc_lo
	s_clause 0x2
	global_load_b128 v[0:3], v[1:2], off offset:48
	global_load_b128 v[8:11], v[7:8], off
	global_load_b128 v[4:7], v[4:5], off
	s_branch .LBB67_107
.LBB67_106:                             ;   in Loop: Header=BB67_107 Depth=2
	s_or_b32 exec_lo, exec_lo, s13
	s_xor_b32 s13, s14, -1
	s_delay_alu instid0(SALU_CYCLE_1) | instskip(NEXT) | instid1(SALU_CYCLE_1)
	s_and_b32 s13, exec_lo, s13
	s_or_b32 s12, s13, s12
	s_delay_alu instid0(SALU_CYCLE_1)
	s_and_not1_b32 exec_lo, exec_lo, s12
	s_cbranch_execz .LBB67_125
.LBB67_107:                             ;   Parent Loop BB67_105 Depth=1
                                        ; =>  This Loop Header: Depth=2
                                        ;       Child Loop BB67_113 Depth 3
                                        ;       Child Loop BB67_115 Depth 3
	;; [unrolled: 1-line block ×4, first 2 shown]
	v_lshl_add_u32 v24, v31, 2, v52
	s_mov_b32 s13, exec_lo
                                        ; implicit-def: $sgpr14
	ds_load_b32 v25, v24
	s_waitcnt lgkmcnt(0)
	v_cmpx_ne_u32_e64 v25, v29
	s_xor_b32 s13, exec_lo, s13
	s_cbranch_execz .LBB67_119
; %bb.108:                              ;   in Loop: Header=BB67_107 Depth=2
	s_mov_b32 s15, exec_lo
                                        ; implicit-def: $sgpr14
	v_cmpx_ne_u32_e64 s2, v25
	s_xor_b32 s15, exec_lo, s15
; %bb.109:                              ;   in Loop: Header=BB67_107 Depth=2
	v_add_nc_u32_e32 v24, 1, v31
	s_mov_b32 s14, -1
	s_delay_alu instid0(VALU_DEP_1)
	v_and_b32_e32 v31, 31, v24
                                        ; implicit-def: $vgpr24
; %bb.110:                              ;   in Loop: Header=BB67_107 Depth=2
	s_and_not1_saveexec_b32 s15, s15
	s_cbranch_execz .LBB67_118
; %bb.111:                              ;   in Loop: Header=BB67_107 Depth=2
	v_mov_b32_e32 v25, s2
	s_mov_b32 s17, -1
	s_mov_b32 s16, exec_lo
	ds_cmpstore_rtn_b32 v24, v24, v29, v25
	s_waitcnt lgkmcnt(0)
	v_cmpx_eq_u32_e64 s2, v24
	s_cbranch_execz .LBB67_117
; %bb.112:                              ;   in Loop: Header=BB67_107 Depth=2
	v_lshlrev_b32_e32 v24, 6, v31
	s_mov_b32 s17, 0
	s_delay_alu instid0(VALU_DEP_1)
	v_add_nc_u32_e32 v32, v55, v24
	ds_load_b64 v[24:25], v32
.LBB67_113:                             ;   Parent Loop BB67_105 Depth=1
                                        ;     Parent Loop BB67_107 Depth=2
                                        ; =>    This Inner Loop Header: Depth=3
	s_waitcnt lgkmcnt(0)
	v_add_f64 v[33:34], v[24:25], v[13:14]
	ds_cmpstore_rtn_b64 v[33:34], v32, v[33:34], v[24:25]
	s_waitcnt lgkmcnt(0)
	v_cmp_eq_u64_e32 vcc_lo, v[33:34], v[24:25]
	v_dual_mov_b32 v24, v33 :: v_dual_mov_b32 v25, v34
	s_or_b32 s17, vcc_lo, s17
	s_delay_alu instid0(SALU_CYCLE_1)
	s_and_not1_b32 exec_lo, exec_lo, s17
	s_cbranch_execnz .LBB67_113
; %bb.114:                              ;   in Loop: Header=BB67_107 Depth=2
	s_or_b32 exec_lo, exec_lo, s17
	ds_load_b64 v[24:25], v32 offset:8
	s_mov_b32 s17, 0
.LBB67_115:                             ;   Parent Loop BB67_105 Depth=1
                                        ;     Parent Loop BB67_107 Depth=2
                                        ; =>    This Inner Loop Header: Depth=3
	s_waitcnt lgkmcnt(0)
	v_add_f64 v[33:34], v[24:25], v[22:23]
	ds_cmpstore_rtn_b64 v[33:34], v32, v[33:34], v[24:25] offset:8
	s_waitcnt lgkmcnt(0)
	v_cmp_eq_u64_e32 vcc_lo, v[33:34], v[24:25]
	v_dual_mov_b32 v24, v33 :: v_dual_mov_b32 v25, v34
	s_or_b32 s17, vcc_lo, s17
	s_delay_alu instid0(SALU_CYCLE_1)
	s_and_not1_b32 exec_lo, exec_lo, s17
	s_cbranch_execnz .LBB67_115
; %bb.116:                              ;   in Loop: Header=BB67_107 Depth=2
	s_or_b32 exec_lo, exec_lo, s17
	s_delay_alu instid0(SALU_CYCLE_1)
	s_xor_b32 s17, exec_lo, -1
.LBB67_117:                             ;   in Loop: Header=BB67_107 Depth=2
	s_or_b32 exec_lo, exec_lo, s16
	s_delay_alu instid0(SALU_CYCLE_1) | instskip(SKIP_1) | instid1(SALU_CYCLE_1)
	s_and_not1_b32 s14, s14, exec_lo
	s_and_b32 s16, s17, exec_lo
	s_or_b32 s14, s14, s16
.LBB67_118:                             ;   in Loop: Header=BB67_107 Depth=2
	s_or_b32 exec_lo, exec_lo, s15
	s_delay_alu instid0(SALU_CYCLE_1)
	s_and_b32 s14, s14, exec_lo
.LBB67_119:                             ;   in Loop: Header=BB67_107 Depth=2
	s_and_not1_saveexec_b32 s13, s13
	s_cbranch_execz .LBB67_106
; %bb.120:                              ;   in Loop: Header=BB67_107 Depth=2
	v_lshlrev_b32_e32 v24, 6, v31
	s_mov_b32 s15, 0
	s_delay_alu instid0(VALU_DEP_1)
	v_add_nc_u32_e32 v32, v55, v24
	ds_load_b64 v[24:25], v32
.LBB67_121:                             ;   Parent Loop BB67_105 Depth=1
                                        ;     Parent Loop BB67_107 Depth=2
                                        ; =>    This Inner Loop Header: Depth=3
	s_waitcnt lgkmcnt(0)
	v_add_f64 v[33:34], v[24:25], v[13:14]
	ds_cmpstore_rtn_b64 v[33:34], v32, v[33:34], v[24:25]
	s_waitcnt lgkmcnt(0)
	v_cmp_eq_u64_e32 vcc_lo, v[33:34], v[24:25]
	v_dual_mov_b32 v24, v33 :: v_dual_mov_b32 v25, v34
	s_or_b32 s15, vcc_lo, s15
	s_delay_alu instid0(SALU_CYCLE_1)
	s_and_not1_b32 exec_lo, exec_lo, s15
	s_cbranch_execnz .LBB67_121
; %bb.122:                              ;   in Loop: Header=BB67_107 Depth=2
	s_or_b32 exec_lo, exec_lo, s15
	ds_load_b64 v[24:25], v32 offset:8
	s_mov_b32 s15, 0
.LBB67_123:                             ;   Parent Loop BB67_105 Depth=1
                                        ;     Parent Loop BB67_107 Depth=2
                                        ; =>    This Inner Loop Header: Depth=3
	s_waitcnt lgkmcnt(0)
	v_add_f64 v[33:34], v[24:25], v[22:23]
	ds_cmpstore_rtn_b64 v[33:34], v32, v[33:34], v[24:25] offset:8
	s_waitcnt lgkmcnt(0)
	v_cmp_eq_u64_e32 vcc_lo, v[33:34], v[24:25]
	v_dual_mov_b32 v24, v33 :: v_dual_mov_b32 v25, v34
	s_or_b32 s15, vcc_lo, s15
	s_delay_alu instid0(SALU_CYCLE_1)
	s_and_not1_b32 exec_lo, exec_lo, s15
	s_cbranch_execnz .LBB67_123
; %bb.124:                              ;   in Loop: Header=BB67_107 Depth=2
	s_or_b32 exec_lo, exec_lo, s15
	s_delay_alu instid0(SALU_CYCLE_1)
	s_and_not1_b32 s14, s14, exec_lo
	s_branch .LBB67_106
.LBB67_125:                             ;   in Loop: Header=BB67_105 Depth=1
	s_or_b32 exec_lo, exec_lo, s12
	s_waitcnt vmcnt(1)
	v_mul_f64 v[13:14], v[10:11], -v[16:17]
	v_mul_f64 v[22:23], v[18:19], v[10:11]
	s_mov_b32 s12, 0
	s_delay_alu instid0(VALU_DEP_2) | instskip(NEXT) | instid1(VALU_DEP_2)
	v_fma_f64 v[10:11], v[18:19], v[8:9], v[13:14]
	v_fma_f64 v[8:9], v[16:17], v[8:9], v[22:23]
	v_mov_b32_e32 v22, v30
	s_branch .LBB67_127
.LBB67_126:                             ;   in Loop: Header=BB67_127 Depth=2
	s_or_b32 exec_lo, exec_lo, s13
	s_xor_b32 s13, s14, -1
	s_delay_alu instid0(SALU_CYCLE_1) | instskip(NEXT) | instid1(SALU_CYCLE_1)
	s_and_b32 s13, exec_lo, s13
	s_or_b32 s12, s13, s12
	s_delay_alu instid0(SALU_CYCLE_1)
	s_and_not1_b32 exec_lo, exec_lo, s12
	s_cbranch_execz .LBB67_145
.LBB67_127:                             ;   Parent Loop BB67_105 Depth=1
                                        ; =>  This Loop Header: Depth=2
                                        ;       Child Loop BB67_133 Depth 3
                                        ;       Child Loop BB67_135 Depth 3
	;; [unrolled: 1-line block ×4, first 2 shown]
	s_delay_alu instid0(VALU_DEP_1)
	v_lshl_add_u32 v13, v22, 2, v52
	s_mov_b32 s13, exec_lo
                                        ; implicit-def: $sgpr14
	ds_load_b32 v14, v13
	s_waitcnt lgkmcnt(0)
	v_cmpx_ne_u32_e64 v14, v29
	s_xor_b32 s13, exec_lo, s13
	s_cbranch_execz .LBB67_139
; %bb.128:                              ;   in Loop: Header=BB67_127 Depth=2
	s_mov_b32 s15, exec_lo
                                        ; implicit-def: $sgpr14
	v_cmpx_ne_u32_e64 s2, v14
	s_xor_b32 s15, exec_lo, s15
; %bb.129:                              ;   in Loop: Header=BB67_127 Depth=2
	v_add_nc_u32_e32 v13, 1, v22
	s_mov_b32 s14, -1
	s_delay_alu instid0(VALU_DEP_1)
	v_and_b32_e32 v22, 31, v13
                                        ; implicit-def: $vgpr13
; %bb.130:                              ;   in Loop: Header=BB67_127 Depth=2
	s_and_not1_saveexec_b32 s15, s15
	s_cbranch_execz .LBB67_138
; %bb.131:                              ;   in Loop: Header=BB67_127 Depth=2
	v_mov_b32_e32 v14, s2
	s_mov_b32 s17, -1
	s_mov_b32 s16, exec_lo
	ds_cmpstore_rtn_b32 v13, v13, v29, v14
	s_waitcnt lgkmcnt(0)
	v_cmpx_eq_u32_e64 s2, v13
	s_cbranch_execz .LBB67_137
; %bb.132:                              ;   in Loop: Header=BB67_127 Depth=2
	v_lshl_add_u32 v23, v22, 6, v26
	s_mov_b32 s17, 0
	ds_load_b64 v[13:14], v23
.LBB67_133:                             ;   Parent Loop BB67_105 Depth=1
                                        ;     Parent Loop BB67_127 Depth=2
                                        ; =>    This Inner Loop Header: Depth=3
	s_waitcnt lgkmcnt(0)
	v_add_f64 v[24:25], v[13:14], v[10:11]
	ds_cmpstore_rtn_b64 v[24:25], v23, v[24:25], v[13:14]
	s_waitcnt lgkmcnt(0)
	v_cmp_eq_u64_e32 vcc_lo, v[24:25], v[13:14]
	v_dual_mov_b32 v13, v24 :: v_dual_mov_b32 v14, v25
	s_or_b32 s17, vcc_lo, s17
	s_delay_alu instid0(SALU_CYCLE_1)
	s_and_not1_b32 exec_lo, exec_lo, s17
	s_cbranch_execnz .LBB67_133
; %bb.134:                              ;   in Loop: Header=BB67_127 Depth=2
	s_or_b32 exec_lo, exec_lo, s17
	ds_load_b64 v[13:14], v23 offset:8
	s_mov_b32 s17, 0
.LBB67_135:                             ;   Parent Loop BB67_105 Depth=1
                                        ;     Parent Loop BB67_127 Depth=2
                                        ; =>    This Inner Loop Header: Depth=3
	s_waitcnt lgkmcnt(0)
	v_add_f64 v[24:25], v[13:14], v[8:9]
	ds_cmpstore_rtn_b64 v[24:25], v23, v[24:25], v[13:14] offset:8
	s_waitcnt lgkmcnt(0)
	v_cmp_eq_u64_e32 vcc_lo, v[24:25], v[13:14]
	v_dual_mov_b32 v13, v24 :: v_dual_mov_b32 v14, v25
	s_or_b32 s17, vcc_lo, s17
	s_delay_alu instid0(SALU_CYCLE_1)
	s_and_not1_b32 exec_lo, exec_lo, s17
	s_cbranch_execnz .LBB67_135
; %bb.136:                              ;   in Loop: Header=BB67_127 Depth=2
	s_or_b32 exec_lo, exec_lo, s17
	s_delay_alu instid0(SALU_CYCLE_1)
	s_xor_b32 s17, exec_lo, -1
.LBB67_137:                             ;   in Loop: Header=BB67_127 Depth=2
	s_or_b32 exec_lo, exec_lo, s16
	s_delay_alu instid0(SALU_CYCLE_1) | instskip(SKIP_1) | instid1(SALU_CYCLE_1)
	s_and_not1_b32 s14, s14, exec_lo
	s_and_b32 s16, s17, exec_lo
	s_or_b32 s14, s14, s16
.LBB67_138:                             ;   in Loop: Header=BB67_127 Depth=2
	s_or_b32 exec_lo, exec_lo, s15
	s_delay_alu instid0(SALU_CYCLE_1)
	s_and_b32 s14, s14, exec_lo
.LBB67_139:                             ;   in Loop: Header=BB67_127 Depth=2
	s_and_not1_saveexec_b32 s13, s13
	s_cbranch_execz .LBB67_126
; %bb.140:                              ;   in Loop: Header=BB67_127 Depth=2
	v_lshl_add_u32 v23, v22, 6, v26
	s_mov_b32 s15, 0
	ds_load_b64 v[13:14], v23
.LBB67_141:                             ;   Parent Loop BB67_105 Depth=1
                                        ;     Parent Loop BB67_127 Depth=2
                                        ; =>    This Inner Loop Header: Depth=3
	s_waitcnt lgkmcnt(0)
	v_add_f64 v[24:25], v[13:14], v[10:11]
	ds_cmpstore_rtn_b64 v[24:25], v23, v[24:25], v[13:14]
	s_waitcnt lgkmcnt(0)
	v_cmp_eq_u64_e32 vcc_lo, v[24:25], v[13:14]
	v_dual_mov_b32 v13, v24 :: v_dual_mov_b32 v14, v25
	s_or_b32 s15, vcc_lo, s15
	s_delay_alu instid0(SALU_CYCLE_1)
	s_and_not1_b32 exec_lo, exec_lo, s15
	s_cbranch_execnz .LBB67_141
; %bb.142:                              ;   in Loop: Header=BB67_127 Depth=2
	s_or_b32 exec_lo, exec_lo, s15
	ds_load_b64 v[13:14], v23 offset:8
	s_mov_b32 s15, 0
.LBB67_143:                             ;   Parent Loop BB67_105 Depth=1
                                        ;     Parent Loop BB67_127 Depth=2
                                        ; =>    This Inner Loop Header: Depth=3
	s_waitcnt lgkmcnt(0)
	v_add_f64 v[24:25], v[13:14], v[8:9]
	ds_cmpstore_rtn_b64 v[24:25], v23, v[24:25], v[13:14] offset:8
	s_waitcnt lgkmcnt(0)
	v_cmp_eq_u64_e32 vcc_lo, v[24:25], v[13:14]
	v_dual_mov_b32 v13, v24 :: v_dual_mov_b32 v14, v25
	s_or_b32 s15, vcc_lo, s15
	s_delay_alu instid0(SALU_CYCLE_1)
	s_and_not1_b32 exec_lo, exec_lo, s15
	s_cbranch_execnz .LBB67_143
; %bb.144:                              ;   in Loop: Header=BB67_127 Depth=2
	s_or_b32 exec_lo, exec_lo, s15
	s_delay_alu instid0(SALU_CYCLE_1)
	s_and_not1_b32 s14, s14, exec_lo
	s_branch .LBB67_126
.LBB67_145:                             ;   in Loop: Header=BB67_105 Depth=1
	s_or_b32 exec_lo, exec_lo, s12
	s_waitcnt vmcnt(0)
	v_mul_f64 v[8:9], v[6:7], -v[16:17]
	v_mul_f64 v[10:11], v[18:19], v[6:7]
	s_mov_b32 s12, 0
	s_delay_alu instid0(VALU_DEP_2) | instskip(NEXT) | instid1(VALU_DEP_2)
	v_fma_f64 v[6:7], v[18:19], v[4:5], v[8:9]
	v_fma_f64 v[4:5], v[16:17], v[4:5], v[10:11]
	v_mov_b32_e32 v10, v30
	s_branch .LBB67_147
.LBB67_146:                             ;   in Loop: Header=BB67_147 Depth=2
	s_or_b32 exec_lo, exec_lo, s13
	s_xor_b32 s13, s14, -1
	s_delay_alu instid0(SALU_CYCLE_1) | instskip(NEXT) | instid1(SALU_CYCLE_1)
	s_and_b32 s13, exec_lo, s13
	s_or_b32 s12, s13, s12
	s_delay_alu instid0(SALU_CYCLE_1)
	s_and_not1_b32 exec_lo, exec_lo, s12
	s_cbranch_execz .LBB67_165
.LBB67_147:                             ;   Parent Loop BB67_105 Depth=1
                                        ; =>  This Loop Header: Depth=2
                                        ;       Child Loop BB67_153 Depth 3
                                        ;       Child Loop BB67_155 Depth 3
	;; [unrolled: 1-line block ×4, first 2 shown]
	s_delay_alu instid0(VALU_DEP_1)
	v_lshl_add_u32 v8, v10, 2, v52
	s_mov_b32 s13, exec_lo
                                        ; implicit-def: $sgpr14
	ds_load_b32 v9, v8
	s_waitcnt lgkmcnt(0)
	v_cmpx_ne_u32_e64 v9, v29
	s_xor_b32 s13, exec_lo, s13
	s_cbranch_execz .LBB67_159
; %bb.148:                              ;   in Loop: Header=BB67_147 Depth=2
	s_mov_b32 s15, exec_lo
                                        ; implicit-def: $sgpr14
	v_cmpx_ne_u32_e64 s2, v9
	s_xor_b32 s15, exec_lo, s15
; %bb.149:                              ;   in Loop: Header=BB67_147 Depth=2
	v_add_nc_u32_e32 v8, 1, v10
	s_mov_b32 s14, -1
	s_delay_alu instid0(VALU_DEP_1)
	v_and_b32_e32 v10, 31, v8
                                        ; implicit-def: $vgpr8
; %bb.150:                              ;   in Loop: Header=BB67_147 Depth=2
	s_and_not1_saveexec_b32 s15, s15
	s_cbranch_execz .LBB67_158
; %bb.151:                              ;   in Loop: Header=BB67_147 Depth=2
	v_mov_b32_e32 v9, s2
	s_mov_b32 s17, -1
	s_mov_b32 s16, exec_lo
	ds_cmpstore_rtn_b32 v8, v8, v29, v9
	s_waitcnt lgkmcnt(0)
	v_cmpx_eq_u32_e64 s2, v8
	s_cbranch_execz .LBB67_157
; %bb.152:                              ;   in Loop: Header=BB67_147 Depth=2
	v_lshl_add_u32 v11, v10, 6, v27
	s_mov_b32 s17, 0
	ds_load_b64 v[8:9], v11
.LBB67_153:                             ;   Parent Loop BB67_105 Depth=1
                                        ;     Parent Loop BB67_147 Depth=2
                                        ; =>    This Inner Loop Header: Depth=3
	s_waitcnt lgkmcnt(0)
	v_add_f64 v[13:14], v[8:9], v[6:7]
	ds_cmpstore_rtn_b64 v[13:14], v11, v[13:14], v[8:9]
	s_waitcnt lgkmcnt(0)
	v_cmp_eq_u64_e32 vcc_lo, v[13:14], v[8:9]
	v_dual_mov_b32 v8, v13 :: v_dual_mov_b32 v9, v14
	s_or_b32 s17, vcc_lo, s17
	s_delay_alu instid0(SALU_CYCLE_1)
	s_and_not1_b32 exec_lo, exec_lo, s17
	s_cbranch_execnz .LBB67_153
; %bb.154:                              ;   in Loop: Header=BB67_147 Depth=2
	s_or_b32 exec_lo, exec_lo, s17
	ds_load_b64 v[8:9], v11 offset:8
	s_mov_b32 s17, 0
.LBB67_155:                             ;   Parent Loop BB67_105 Depth=1
                                        ;     Parent Loop BB67_147 Depth=2
                                        ; =>    This Inner Loop Header: Depth=3
	s_waitcnt lgkmcnt(0)
	v_add_f64 v[13:14], v[8:9], v[4:5]
	ds_cmpstore_rtn_b64 v[13:14], v11, v[13:14], v[8:9] offset:8
	s_waitcnt lgkmcnt(0)
	v_cmp_eq_u64_e32 vcc_lo, v[13:14], v[8:9]
	v_dual_mov_b32 v8, v13 :: v_dual_mov_b32 v9, v14
	s_or_b32 s17, vcc_lo, s17
	s_delay_alu instid0(SALU_CYCLE_1)
	s_and_not1_b32 exec_lo, exec_lo, s17
	s_cbranch_execnz .LBB67_155
; %bb.156:                              ;   in Loop: Header=BB67_147 Depth=2
	s_or_b32 exec_lo, exec_lo, s17
	s_delay_alu instid0(SALU_CYCLE_1)
	s_xor_b32 s17, exec_lo, -1
.LBB67_157:                             ;   in Loop: Header=BB67_147 Depth=2
	s_or_b32 exec_lo, exec_lo, s16
	s_delay_alu instid0(SALU_CYCLE_1) | instskip(SKIP_1) | instid1(SALU_CYCLE_1)
	s_and_not1_b32 s14, s14, exec_lo
	s_and_b32 s16, s17, exec_lo
	s_or_b32 s14, s14, s16
.LBB67_158:                             ;   in Loop: Header=BB67_147 Depth=2
	s_or_b32 exec_lo, exec_lo, s15
	s_delay_alu instid0(SALU_CYCLE_1)
	s_and_b32 s14, s14, exec_lo
.LBB67_159:                             ;   in Loop: Header=BB67_147 Depth=2
	s_and_not1_saveexec_b32 s13, s13
	s_cbranch_execz .LBB67_146
; %bb.160:                              ;   in Loop: Header=BB67_147 Depth=2
	v_lshl_add_u32 v11, v10, 6, v27
	s_mov_b32 s15, 0
	ds_load_b64 v[8:9], v11
.LBB67_161:                             ;   Parent Loop BB67_105 Depth=1
                                        ;     Parent Loop BB67_147 Depth=2
                                        ; =>    This Inner Loop Header: Depth=3
	s_waitcnt lgkmcnt(0)
	v_add_f64 v[13:14], v[8:9], v[6:7]
	ds_cmpstore_rtn_b64 v[13:14], v11, v[13:14], v[8:9]
	s_waitcnt lgkmcnt(0)
	v_cmp_eq_u64_e32 vcc_lo, v[13:14], v[8:9]
	v_dual_mov_b32 v8, v13 :: v_dual_mov_b32 v9, v14
	s_or_b32 s15, vcc_lo, s15
	s_delay_alu instid0(SALU_CYCLE_1)
	s_and_not1_b32 exec_lo, exec_lo, s15
	s_cbranch_execnz .LBB67_161
; %bb.162:                              ;   in Loop: Header=BB67_147 Depth=2
	s_or_b32 exec_lo, exec_lo, s15
	ds_load_b64 v[8:9], v11 offset:8
	s_mov_b32 s15, 0
.LBB67_163:                             ;   Parent Loop BB67_105 Depth=1
                                        ;     Parent Loop BB67_147 Depth=2
                                        ; =>    This Inner Loop Header: Depth=3
	s_waitcnt lgkmcnt(0)
	v_add_f64 v[13:14], v[8:9], v[4:5]
	ds_cmpstore_rtn_b64 v[13:14], v11, v[13:14], v[8:9] offset:8
	s_waitcnt lgkmcnt(0)
	v_cmp_eq_u64_e32 vcc_lo, v[13:14], v[8:9]
	v_dual_mov_b32 v8, v13 :: v_dual_mov_b32 v9, v14
	s_or_b32 s15, vcc_lo, s15
	s_delay_alu instid0(SALU_CYCLE_1)
	s_and_not1_b32 exec_lo, exec_lo, s15
	s_cbranch_execnz .LBB67_163
; %bb.164:                              ;   in Loop: Header=BB67_147 Depth=2
	s_or_b32 exec_lo, exec_lo, s15
	s_delay_alu instid0(SALU_CYCLE_1)
	s_and_not1_b32 s14, s14, exec_lo
	s_branch .LBB67_146
.LBB67_165:                             ;   in Loop: Header=BB67_105 Depth=1
	s_or_b32 exec_lo, exec_lo, s12
	v_mul_f64 v[4:5], v[2:3], -v[16:17]
	v_mul_f64 v[6:7], v[18:19], v[2:3]
	s_mov_b32 s12, 0
	s_delay_alu instid0(VALU_DEP_2) | instskip(NEXT) | instid1(VALU_DEP_2)
	v_fma_f64 v[2:3], v[18:19], v[0:1], v[4:5]
	v_fma_f64 v[0:1], v[16:17], v[0:1], v[6:7]
	s_branch .LBB67_167
.LBB67_166:                             ;   in Loop: Header=BB67_167 Depth=2
	s_or_b32 exec_lo, exec_lo, s13
	s_xor_b32 s13, s14, -1
	s_delay_alu instid0(SALU_CYCLE_1) | instskip(NEXT) | instid1(SALU_CYCLE_1)
	s_and_b32 s13, exec_lo, s13
	s_or_b32 s12, s13, s12
	s_delay_alu instid0(SALU_CYCLE_1)
	s_and_not1_b32 exec_lo, exec_lo, s12
	s_cbranch_execz .LBB67_104
.LBB67_167:                             ;   Parent Loop BB67_105 Depth=1
                                        ; =>  This Loop Header: Depth=2
                                        ;       Child Loop BB67_173 Depth 3
                                        ;       Child Loop BB67_175 Depth 3
	;; [unrolled: 1-line block ×4, first 2 shown]
	v_lshl_add_u32 v4, v30, 2, v52
	s_mov_b32 s13, exec_lo
                                        ; implicit-def: $sgpr14
	ds_load_b32 v5, v4
	s_waitcnt lgkmcnt(0)
	v_cmpx_ne_u32_e64 v5, v29
	s_xor_b32 s13, exec_lo, s13
	s_cbranch_execz .LBB67_179
; %bb.168:                              ;   in Loop: Header=BB67_167 Depth=2
	s_mov_b32 s15, exec_lo
                                        ; implicit-def: $sgpr14
	v_cmpx_ne_u32_e64 s2, v5
	s_xor_b32 s15, exec_lo, s15
; %bb.169:                              ;   in Loop: Header=BB67_167 Depth=2
	v_add_nc_u32_e32 v4, 1, v30
	s_mov_b32 s14, -1
	s_delay_alu instid0(VALU_DEP_1)
	v_and_b32_e32 v30, 31, v4
                                        ; implicit-def: $vgpr4
; %bb.170:                              ;   in Loop: Header=BB67_167 Depth=2
	s_and_not1_saveexec_b32 s15, s15
	s_cbranch_execz .LBB67_178
; %bb.171:                              ;   in Loop: Header=BB67_167 Depth=2
	v_mov_b32_e32 v5, s2
	s_mov_b32 s17, -1
	s_mov_b32 s16, exec_lo
	ds_cmpstore_rtn_b32 v4, v4, v29, v5
	s_waitcnt lgkmcnt(0)
	v_cmpx_eq_u32_e64 s2, v4
	s_cbranch_execz .LBB67_177
; %bb.172:                              ;   in Loop: Header=BB67_167 Depth=2
	v_lshl_add_u32 v6, v30, 6, v28
	s_mov_b32 s17, 0
	ds_load_b64 v[4:5], v6
.LBB67_173:                             ;   Parent Loop BB67_105 Depth=1
                                        ;     Parent Loop BB67_167 Depth=2
                                        ; =>    This Inner Loop Header: Depth=3
	s_waitcnt lgkmcnt(0)
	v_add_f64 v[7:8], v[4:5], v[2:3]
	ds_cmpstore_rtn_b64 v[7:8], v6, v[7:8], v[4:5]
	s_waitcnt lgkmcnt(0)
	v_cmp_eq_u64_e32 vcc_lo, v[7:8], v[4:5]
	v_dual_mov_b32 v4, v7 :: v_dual_mov_b32 v5, v8
	s_or_b32 s17, vcc_lo, s17
	s_delay_alu instid0(SALU_CYCLE_1)
	s_and_not1_b32 exec_lo, exec_lo, s17
	s_cbranch_execnz .LBB67_173
; %bb.174:                              ;   in Loop: Header=BB67_167 Depth=2
	s_or_b32 exec_lo, exec_lo, s17
	ds_load_b64 v[4:5], v6 offset:8
	s_mov_b32 s17, 0
.LBB67_175:                             ;   Parent Loop BB67_105 Depth=1
                                        ;     Parent Loop BB67_167 Depth=2
                                        ; =>    This Inner Loop Header: Depth=3
	s_waitcnt lgkmcnt(0)
	v_add_f64 v[7:8], v[4:5], v[0:1]
	ds_cmpstore_rtn_b64 v[7:8], v6, v[7:8], v[4:5] offset:8
	s_waitcnt lgkmcnt(0)
	v_cmp_eq_u64_e32 vcc_lo, v[7:8], v[4:5]
	v_dual_mov_b32 v4, v7 :: v_dual_mov_b32 v5, v8
	s_or_b32 s17, vcc_lo, s17
	s_delay_alu instid0(SALU_CYCLE_1)
	s_and_not1_b32 exec_lo, exec_lo, s17
	s_cbranch_execnz .LBB67_175
; %bb.176:                              ;   in Loop: Header=BB67_167 Depth=2
	s_or_b32 exec_lo, exec_lo, s17
	s_delay_alu instid0(SALU_CYCLE_1)
	s_xor_b32 s17, exec_lo, -1
.LBB67_177:                             ;   in Loop: Header=BB67_167 Depth=2
	s_or_b32 exec_lo, exec_lo, s16
	s_delay_alu instid0(SALU_CYCLE_1) | instskip(SKIP_1) | instid1(SALU_CYCLE_1)
	s_and_not1_b32 s14, s14, exec_lo
	s_and_b32 s16, s17, exec_lo
	s_or_b32 s14, s14, s16
.LBB67_178:                             ;   in Loop: Header=BB67_167 Depth=2
	s_or_b32 exec_lo, exec_lo, s15
	s_delay_alu instid0(SALU_CYCLE_1)
	s_and_b32 s14, s14, exec_lo
.LBB67_179:                             ;   in Loop: Header=BB67_167 Depth=2
	s_and_not1_saveexec_b32 s13, s13
	s_cbranch_execz .LBB67_166
; %bb.180:                              ;   in Loop: Header=BB67_167 Depth=2
	v_lshl_add_u32 v6, v30, 6, v28
	s_mov_b32 s15, 0
	ds_load_b64 v[4:5], v6
.LBB67_181:                             ;   Parent Loop BB67_105 Depth=1
                                        ;     Parent Loop BB67_167 Depth=2
                                        ; =>    This Inner Loop Header: Depth=3
	s_waitcnt lgkmcnt(0)
	v_add_f64 v[7:8], v[4:5], v[2:3]
	ds_cmpstore_rtn_b64 v[7:8], v6, v[7:8], v[4:5]
	s_waitcnt lgkmcnt(0)
	v_cmp_eq_u64_e32 vcc_lo, v[7:8], v[4:5]
	v_dual_mov_b32 v4, v7 :: v_dual_mov_b32 v5, v8
	s_or_b32 s15, vcc_lo, s15
	s_delay_alu instid0(SALU_CYCLE_1)
	s_and_not1_b32 exec_lo, exec_lo, s15
	s_cbranch_execnz .LBB67_181
; %bb.182:                              ;   in Loop: Header=BB67_167 Depth=2
	s_or_b32 exec_lo, exec_lo, s15
	ds_load_b64 v[4:5], v6 offset:8
	s_mov_b32 s15, 0
.LBB67_183:                             ;   Parent Loop BB67_105 Depth=1
                                        ;     Parent Loop BB67_167 Depth=2
                                        ; =>    This Inner Loop Header: Depth=3
	s_waitcnt lgkmcnt(0)
	v_add_f64 v[7:8], v[4:5], v[0:1]
	ds_cmpstore_rtn_b64 v[7:8], v6, v[7:8], v[4:5] offset:8
	s_waitcnt lgkmcnt(0)
	v_cmp_eq_u64_e32 vcc_lo, v[7:8], v[4:5]
	v_dual_mov_b32 v4, v7 :: v_dual_mov_b32 v5, v8
	s_or_b32 s15, vcc_lo, s15
	s_delay_alu instid0(SALU_CYCLE_1)
	s_and_not1_b32 exec_lo, exec_lo, s15
	s_cbranch_execnz .LBB67_183
; %bb.184:                              ;   in Loop: Header=BB67_167 Depth=2
	s_or_b32 exec_lo, exec_lo, s15
	s_delay_alu instid0(SALU_CYCLE_1)
	s_and_not1_b32 s14, s14, exec_lo
	s_branch .LBB67_166
.LBB67_185:
	s_or_b32 exec_lo, exec_lo, s1
.LBB67_186:
	v_add_co_u32 v0, vcc_lo, s10, v20
	v_add_co_ci_u32_e32 v1, vcc_lo, s11, v21, vcc_lo
	buffer_gl0_inv
	s_cmp_eq_u32 s0, 0
	s_mov_b32 s0, 0
	global_load_b32 v0, v[0:1], off
	v_lshl_add_u32 v1, v53, 6, v54
	s_cselect_b32 s1, 16, 32
	s_cselect_b32 s3, 32, 16
	s_waitcnt vmcnt(0)
	v_subrev_nc_u32_e32 v0, s26, v0
	s_branch .LBB67_188
.LBB67_187:                             ;   in Loop: Header=BB67_188 Depth=1
	s_or_b32 exec_lo, exec_lo, s4
	v_add_co_u32 v51, s4, v51, 16
	s_delay_alu instid0(VALU_DEP_1) | instskip(SKIP_3) | instid1(SALU_CYCLE_1)
	s_xor_b32 s4, s4, -1
	v_add_nc_u32_e32 v1, 0x400, v1
	v_add_nc_u32_e32 v50, 64, v50
	s_and_b32 s4, exec_lo, s4
	s_or_b32 s0, s4, s0
	s_delay_alu instid0(SALU_CYCLE_1)
	s_and_not1_b32 exec_lo, exec_lo, s0
	s_cbranch_execz .LBB67_190
.LBB67_188:                             ; =>This Inner Loop Header: Depth=1
	ds_load_b32 v2, v50
	s_mov_b32 s4, exec_lo
	s_waitcnt lgkmcnt(0)
	v_cmpx_gt_i32_e64 s2, v2
	s_cbranch_execz .LBB67_187
; %bb.189:                              ;   in Loop: Header=BB67_188 Depth=1
	ds_load_b128 v[3:6], v52
	ds_load_b128 v[7:10], v52 offset:16
	ds_load_b128 v[11:14], v52 offset:32
	;; [unrolled: 1-line block ×7, first 2 shown]
	s_waitcnt lgkmcnt(7)
	v_cmp_gt_i32_e32 vcc_lo, v2, v3
	v_cndmask_b32_e64 v3, 0, 1, vcc_lo
	v_cmp_gt_i32_e32 vcc_lo, v2, v5
	v_cndmask_b32_e64 v5, 0, 1, vcc_lo
	v_cmp_gt_i32_e32 vcc_lo, v2, v4
	s_delay_alu instid0(VALU_DEP_4)
	v_add_co_ci_u32_e32 v3, vcc_lo, v0, v3, vcc_lo
	s_waitcnt lgkmcnt(6)
	v_cmp_gt_i32_e32 vcc_lo, v2, v7
	v_cndmask_b32_e64 v4, 0, 1, vcc_lo
	v_cmp_gt_i32_e32 vcc_lo, v2, v6
	v_add_co_ci_u32_e32 v3, vcc_lo, v3, v5, vcc_lo
	v_cmp_gt_i32_e32 vcc_lo, v2, v9
	v_cndmask_b32_e64 v5, 0, 1, vcc_lo
	v_cmp_gt_i32_e32 vcc_lo, v2, v8
	s_delay_alu instid0(VALU_DEP_4)
	v_add_co_ci_u32_e32 v3, vcc_lo, v3, v4, vcc_lo
	s_waitcnt lgkmcnt(5)
	v_cmp_gt_i32_e32 vcc_lo, v2, v11
	v_add_nc_u32_e32 v11, s1, v1
	v_cndmask_b32_e64 v4, 0, 1, vcc_lo
	v_cmp_gt_i32_e32 vcc_lo, v2, v10
	v_add_co_ci_u32_e32 v3, vcc_lo, v3, v5, vcc_lo
	v_cmp_gt_i32_e32 vcc_lo, v2, v13
	v_cndmask_b32_e64 v5, 0, 1, vcc_lo
	v_cmp_gt_i32_e32 vcc_lo, v2, v12
	s_delay_alu instid0(VALU_DEP_4)
	v_add_co_ci_u32_e32 v3, vcc_lo, v3, v4, vcc_lo
	s_waitcnt lgkmcnt(4)
	v_cmp_gt_i32_e32 vcc_lo, v2, v15
	v_add_nc_u32_e32 v15, s3, v1
	v_cndmask_b32_e64 v4, 0, 1, vcc_lo
	v_cmp_gt_i32_e32 vcc_lo, v2, v14
	v_add_co_ci_u32_e32 v3, vcc_lo, v3, v5, vcc_lo
	v_cmp_gt_i32_e32 vcc_lo, v2, v17
	v_cndmask_b32_e64 v5, 0, 1, vcc_lo
	v_cmp_gt_i32_e32 vcc_lo, v2, v16
	s_delay_alu instid0(VALU_DEP_4)
	v_add_co_ci_u32_e32 v3, vcc_lo, v3, v4, vcc_lo
	s_waitcnt lgkmcnt(3)
	v_cmp_gt_i32_e32 vcc_lo, v2, v19
	v_cndmask_b32_e64 v4, 0, 1, vcc_lo
	v_cmp_gt_i32_e32 vcc_lo, v2, v18
	v_add_co_ci_u32_e32 v3, vcc_lo, v3, v5, vcc_lo
	v_cmp_gt_i32_e32 vcc_lo, v2, v21
	v_cndmask_b32_e64 v5, 0, 1, vcc_lo
	v_cmp_gt_i32_e32 vcc_lo, v2, v20
	s_delay_alu instid0(VALU_DEP_4)
	v_add_co_ci_u32_e32 v3, vcc_lo, v3, v4, vcc_lo
	s_waitcnt lgkmcnt(2)
	v_cmp_gt_i32_e32 vcc_lo, v2, v23
	;; [unrolled: 10-line block ×4, first 2 shown]
	v_cndmask_b32_e64 v4, 0, 1, vcc_lo
	v_cmp_gt_i32_e32 vcc_lo, v2, v30
	v_add_co_ci_u32_e32 v3, vcc_lo, v3, v5, vcc_lo
	v_cmp_gt_i32_e32 vcc_lo, v2, v33
	v_cndmask_b32_e64 v5, 0, 1, vcc_lo
	v_cmp_gt_i32_e32 vcc_lo, v2, v32
	s_delay_alu instid0(VALU_DEP_4) | instskip(SKIP_2) | instid1(VALU_DEP_3)
	v_add_co_ci_u32_e32 v3, vcc_lo, v3, v4, vcc_lo
	v_cmp_gt_i32_e32 vcc_lo, v2, v34
	v_add_nc_u32_e32 v2, s26, v2
	v_add_co_ci_u32_e32 v19, vcc_lo, v3, v5, vcc_lo
	ds_load_2addr_b64 v[3:6], v1 offset1:1
	ds_load_2addr_b64 v[7:10], v1 offset0:6 offset1:7
	ds_load_2addr_b64 v[11:14], v11 offset1:1
	ds_load_2addr_b64 v[15:18], v15 offset1:1
	v_lshlrev_b32_e32 v21, 2, v19
	v_ashrrev_i32_e32 v20, 31, v19
	s_delay_alu instid0(VALU_DEP_2) | instskip(NEXT) | instid1(VALU_DEP_2)
	v_ashrrev_i32_e32 v22, 31, v21
	v_lshlrev_b64 v[19:20], 2, v[19:20]
	s_delay_alu instid0(VALU_DEP_2) | instskip(NEXT) | instid1(VALU_DEP_2)
	v_lshlrev_b64 v[21:22], 4, v[21:22]
	v_add_co_u32 v19, vcc_lo, s28, v19
	s_delay_alu instid0(VALU_DEP_3) | instskip(NEXT) | instid1(VALU_DEP_3)
	v_add_co_ci_u32_e32 v20, vcc_lo, s29, v20, vcc_lo
	v_add_co_u32 v21, vcc_lo, s30, v21
	s_delay_alu instid0(VALU_DEP_4)
	v_add_co_ci_u32_e32 v22, vcc_lo, s31, v22, vcc_lo
	global_store_b32 v[19:20], v2, off
	s_waitcnt lgkmcnt(3)
	global_store_b128 v[21:22], v[3:6], off
	s_waitcnt lgkmcnt(1)
	global_store_b128 v[21:22], v[11:14], off offset:16
	s_waitcnt lgkmcnt(0)
	s_clause 0x1
	global_store_b128 v[21:22], v[15:18], off offset:32
	global_store_b128 v[21:22], v[7:10], off offset:48
	s_branch .LBB67_187
.LBB67_190:
	s_nop 0
	s_sendmsg sendmsg(MSG_DEALLOC_VGPRS)
	s_endpgm
	.section	.rodata,"a",@progbits
	.p2align	6, 0x0
	.amdhsa_kernel _ZN9rocsparseL27bsrgemm_fill_wf_per_row_2x2ILj256ELj16ELj32ELj137Eii21rocsparse_complex_numIdEEEv20rocsparse_direction_T4_S4_PKS4_S6_NS_24const_host_device_scalarIT5_EEPKT3_S6_PKS8_SC_S6_SE_S9_SC_S6_SE_SC_PS4_PS8_21rocsparse_index_base_SH_SH_SH_bbb
		.amdhsa_group_segment_fixed_size 38912
		.amdhsa_private_segment_fixed_size 0
		.amdhsa_kernarg_size 180
		.amdhsa_user_sgpr_count 15
		.amdhsa_user_sgpr_dispatch_ptr 1
		.amdhsa_user_sgpr_queue_ptr 0
		.amdhsa_user_sgpr_kernarg_segment_ptr 1
		.amdhsa_user_sgpr_dispatch_id 0
		.amdhsa_user_sgpr_private_segment_size 0
		.amdhsa_wavefront_size32 1
		.amdhsa_uses_dynamic_stack 0
		.amdhsa_enable_private_segment 0
		.amdhsa_system_sgpr_workgroup_id_x 1
		.amdhsa_system_sgpr_workgroup_id_y 0
		.amdhsa_system_sgpr_workgroup_id_z 0
		.amdhsa_system_sgpr_workgroup_info 0
		.amdhsa_system_vgpr_workitem_id 2
		.amdhsa_next_free_vgpr 67
		.amdhsa_next_free_sgpr 48
		.amdhsa_reserve_vcc 1
		.amdhsa_float_round_mode_32 0
		.amdhsa_float_round_mode_16_64 0
		.amdhsa_float_denorm_mode_32 3
		.amdhsa_float_denorm_mode_16_64 3
		.amdhsa_dx10_clamp 1
		.amdhsa_ieee_mode 1
		.amdhsa_fp16_overflow 0
		.amdhsa_workgroup_processor_mode 1
		.amdhsa_memory_ordered 1
		.amdhsa_forward_progress 0
		.amdhsa_shared_vgpr_count 0
		.amdhsa_exception_fp_ieee_invalid_op 0
		.amdhsa_exception_fp_denorm_src 0
		.amdhsa_exception_fp_ieee_div_zero 0
		.amdhsa_exception_fp_ieee_overflow 0
		.amdhsa_exception_fp_ieee_underflow 0
		.amdhsa_exception_fp_ieee_inexact 0
		.amdhsa_exception_int_div_zero 0
	.end_amdhsa_kernel
	.section	.text._ZN9rocsparseL27bsrgemm_fill_wf_per_row_2x2ILj256ELj16ELj32ELj137Eii21rocsparse_complex_numIdEEEv20rocsparse_direction_T4_S4_PKS4_S6_NS_24const_host_device_scalarIT5_EEPKT3_S6_PKS8_SC_S6_SE_S9_SC_S6_SE_SC_PS4_PS8_21rocsparse_index_base_SH_SH_SH_bbb,"axG",@progbits,_ZN9rocsparseL27bsrgemm_fill_wf_per_row_2x2ILj256ELj16ELj32ELj137Eii21rocsparse_complex_numIdEEEv20rocsparse_direction_T4_S4_PKS4_S6_NS_24const_host_device_scalarIT5_EEPKT3_S6_PKS8_SC_S6_SE_S9_SC_S6_SE_SC_PS4_PS8_21rocsparse_index_base_SH_SH_SH_bbb,comdat
.Lfunc_end67:
	.size	_ZN9rocsparseL27bsrgemm_fill_wf_per_row_2x2ILj256ELj16ELj32ELj137Eii21rocsparse_complex_numIdEEEv20rocsparse_direction_T4_S4_PKS4_S6_NS_24const_host_device_scalarIT5_EEPKT3_S6_PKS8_SC_S6_SE_S9_SC_S6_SE_SC_PS4_PS8_21rocsparse_index_base_SH_SH_SH_bbb, .Lfunc_end67-_ZN9rocsparseL27bsrgemm_fill_wf_per_row_2x2ILj256ELj16ELj32ELj137Eii21rocsparse_complex_numIdEEEv20rocsparse_direction_T4_S4_PKS4_S6_NS_24const_host_device_scalarIT5_EEPKT3_S6_PKS8_SC_S6_SE_S9_SC_S6_SE_SC_PS4_PS8_21rocsparse_index_base_SH_SH_SH_bbb
                                        ; -- End function
	.section	.AMDGPU.csdata,"",@progbits
; Kernel info:
; codeLenInByte = 7244
; NumSgprs: 50
; NumVgprs: 67
; ScratchSize: 0
; MemoryBound: 0
; FloatMode: 240
; IeeeMode: 1
; LDSByteSize: 38912 bytes/workgroup (compile time only)
; SGPRBlocks: 6
; VGPRBlocks: 8
; NumSGPRsForWavesPerEU: 50
; NumVGPRsForWavesPerEU: 67
; Occupancy: 6
; WaveLimiterHint : 1
; COMPUTE_PGM_RSRC2:SCRATCH_EN: 0
; COMPUTE_PGM_RSRC2:USER_SGPR: 15
; COMPUTE_PGM_RSRC2:TRAP_HANDLER: 0
; COMPUTE_PGM_RSRC2:TGID_X_EN: 1
; COMPUTE_PGM_RSRC2:TGID_Y_EN: 0
; COMPUTE_PGM_RSRC2:TGID_Z_EN: 0
; COMPUTE_PGM_RSRC2:TIDIG_COMP_CNT: 2
	.section	.text._ZN9rocsparseL30bsrgemm_fill_block_per_row_2x2ILj256ELj16ELj64ELj137Eii21rocsparse_complex_numIdEEEv20rocsparse_direction_T4_S4_PKS4_S6_NS_24const_host_device_scalarIT5_EEPKT3_S6_PKS8_SC_S6_SE_S9_SC_S6_SE_SC_PS4_PS8_21rocsparse_index_base_SH_SH_SH_bbb,"axG",@progbits,_ZN9rocsparseL30bsrgemm_fill_block_per_row_2x2ILj256ELj16ELj64ELj137Eii21rocsparse_complex_numIdEEEv20rocsparse_direction_T4_S4_PKS4_S6_NS_24const_host_device_scalarIT5_EEPKT3_S6_PKS8_SC_S6_SE_S9_SC_S6_SE_SC_PS4_PS8_21rocsparse_index_base_SH_SH_SH_bbb,comdat
	.globl	_ZN9rocsparseL30bsrgemm_fill_block_per_row_2x2ILj256ELj16ELj64ELj137Eii21rocsparse_complex_numIdEEEv20rocsparse_direction_T4_S4_PKS4_S6_NS_24const_host_device_scalarIT5_EEPKT3_S6_PKS8_SC_S6_SE_S9_SC_S6_SE_SC_PS4_PS8_21rocsparse_index_base_SH_SH_SH_bbb ; -- Begin function _ZN9rocsparseL30bsrgemm_fill_block_per_row_2x2ILj256ELj16ELj64ELj137Eii21rocsparse_complex_numIdEEEv20rocsparse_direction_T4_S4_PKS4_S6_NS_24const_host_device_scalarIT5_EEPKT3_S6_PKS8_SC_S6_SE_S9_SC_S6_SE_SC_PS4_PS8_21rocsparse_index_base_SH_SH_SH_bbb
	.p2align	8
	.type	_ZN9rocsparseL30bsrgemm_fill_block_per_row_2x2ILj256ELj16ELj64ELj137Eii21rocsparse_complex_numIdEEEv20rocsparse_direction_T4_S4_PKS4_S6_NS_24const_host_device_scalarIT5_EEPKT3_S6_PKS8_SC_S6_SE_S9_SC_S6_SE_SC_PS4_PS8_21rocsparse_index_base_SH_SH_SH_bbb,@function
_ZN9rocsparseL30bsrgemm_fill_block_per_row_2x2ILj256ELj16ELj64ELj137Eii21rocsparse_complex_numIdEEEv20rocsparse_direction_T4_S4_PKS4_S6_NS_24const_host_device_scalarIT5_EEPKT3_S6_PKS8_SC_S6_SE_S9_SC_S6_SE_SC_PS4_PS8_21rocsparse_index_base_SH_SH_SH_bbb: ; @_ZN9rocsparseL30bsrgemm_fill_block_per_row_2x2ILj256ELj16ELj64ELj137Eii21rocsparse_complex_numIdEEEv20rocsparse_direction_T4_S4_PKS4_S6_NS_24const_host_device_scalarIT5_EEPKT3_S6_PKS8_SC_S6_SE_S9_SC_S6_SE_SC_PS4_PS8_21rocsparse_index_base_SH_SH_SH_bbb
; %bb.0:
	s_clause 0x2
	s_load_b32 s12, s[0:1], 0xb0
	s_load_b128 s[8:11], s[0:1], 0x20
	s_load_b128 s[4:7], s[0:1], 0x60
	v_mov_b32_e32 v17, 0
	v_mov_b32_e32 v18, 0
	s_mov_b32 s16, s15
	s_waitcnt lgkmcnt(0)
	s_bitcmp1_b32 s12, 0
	v_mov_b32_e32 v1, s8
	s_cselect_b32 s17, -1, 0
	s_bitcmp1_b32 s12, 16
	v_dual_mov_b32 v22, v18 :: v_dual_mov_b32 v21, v17
	s_cselect_b32 s2, -1, 0
	v_mov_b32_e32 v2, s9
	s_xor_b32 s3, s2, -1
	v_dual_mov_b32 v24, v18 :: v_dual_mov_b32 v23, v17
	v_cndmask_b32_e64 v5, 0, 1, s3
	v_dual_mov_b32 v3, s4 :: v_dual_mov_b32 v4, s5
	s_bitcmp0_b32 s12, 0
	s_clause 0x1
	scratch_store_b64 off, v[1:2], off
	scratch_store_b64 off, v[3:4], off offset:8
	v_cmp_ne_u32_e32 vcc_lo, 1, v5
	s_cbranch_scc1 .LBB68_3
; %bb.1:
	s_mov_b64 s[14:15], src_private_base
	s_and_b32 s13, s2, exec_lo
	s_cselect_b32 s13, s15, s9
	s_delay_alu instid0(SALU_CYCLE_1) | instskip(SKIP_2) | instid1(VALU_DEP_2)
	v_dual_mov_b32 v1, 0 :: v_dual_mov_b32 v2, s13
	v_dual_mov_b32 v24, s11 :: v_dual_mov_b32 v23, s10
	s_and_b32 vcc_lo, exec_lo, vcc_lo
	v_cndmask_b32_e64 v1, s8, v1, s2
	flat_load_b64 v[21:22], v[1:2]
	s_cbranch_vccnz .LBB68_3
; %bb.2:
	v_dual_mov_b32 v1, s8 :: v_dual_mov_b32 v2, s9
	flat_load_b64 v[23:24], v[1:2] offset:8
.LBB68_3:
	s_bitcmp1_b32 s12, 8
	v_dual_mov_b32 v20, v18 :: v_dual_mov_b32 v19, v17
	s_cselect_b32 s21, -1, 0
	s_bfe_u32 s8, s12, 0x10008
	s_delay_alu instid0(SALU_CYCLE_1)
	s_cmp_eq_u32 s8, 0
	s_cbranch_scc1 .LBB68_6
; %bb.4:
	s_mov_b64 s[8:9], src_private_base
	s_and_b32 s8, s2, exec_lo
	s_cselect_b32 s8, s9, s5
	s_delay_alu instid0(SALU_CYCLE_1) | instskip(SKIP_2) | instid1(VALU_DEP_2)
	v_dual_mov_b32 v1, 8 :: v_dual_mov_b32 v2, s8
	v_dual_mov_b32 v18, s7 :: v_dual_mov_b32 v17, s6
	s_and_not1_b32 vcc_lo, exec_lo, s3
	v_cndmask_b32_e64 v1, s4, v1, s2
	flat_load_b64 v[19:20], v[1:2]
	s_cbranch_vccnz .LBB68_6
; %bb.5:
	v_dual_mov_b32 v1, s4 :: v_dual_mov_b32 v2, s5
	flat_load_b64 v[17:18], v[1:2] offset:8
.LBB68_6:
	s_load_b32 s20, s[0:1], 0x8
	v_cmp_gt_u32_e64 s2, 64, v0
	v_lshl_add_u32 v50, v0, 2, 0
	s_delay_alu instid0(VALU_DEP_2)
	s_and_saveexec_b32 s3, s2
	s_cbranch_execz .LBB68_8
; %bb.7:
	s_waitcnt lgkmcnt(0)
	v_mov_b32_e32 v1, s20
	ds_store_b32 v50, v1
.LBB68_8:
	s_or_b32 exec_lo, exec_lo, s3
	s_clause 0x1
	s_load_b128 s[12:15], s[0:1], 0xa0
	s_load_b64 s[4:5], s[0:1], 0x18
	s_mov_b32 s3, exec_lo
	v_cmpx_gt_u32_e32 0x100, v0
	s_cbranch_execz .LBB68_10
; %bb.9:
	s_mov_b32 s6, 0
	v_lshl_add_u32 v5, v0, 4, 0
	s_mov_b32 s7, s6
	s_mov_b32 s8, s6
	;; [unrolled: 1-line block ×3, first 2 shown]
	v_dual_mov_b32 v1, s6 :: v_dual_mov_b32 v2, s7
	v_dual_mov_b32 v3, s8 :: v_dual_mov_b32 v4, s9
	ds_store_2addr_b64 v5, v[1:2], v[3:4] offset0:32 offset1:33
.LBB68_10:
	s_or_b32 exec_lo, exec_lo, s3
	s_waitcnt lgkmcnt(0)
	s_cmp_eq_u64 s[4:5], 0
	s_waitcnt vmcnt(0)
	s_waitcnt_vscnt null, 0x0
	s_barrier
	buffer_gl0_inv
	s_cbranch_scc1 .LBB68_12
; %bb.11:
	s_load_b64 s[6:7], s[0:1], 0x10
	s_waitcnt lgkmcnt(0)
	s_load_b32 s3, s[6:7], 0x0
	s_mov_b32 s7, 0
	s_waitcnt lgkmcnt(0)
	s_add_i32 s6, s3, s16
	s_delay_alu instid0(SALU_CYCLE_1) | instskip(NEXT) | instid1(SALU_CYCLE_1)
	s_lshl_b64 s[6:7], s[6:7], 2
	s_add_u32 s4, s4, s6
	s_addc_u32 s5, s5, s7
	s_load_b32 s16, s[4:5], 0x0
.LBB68_12:
	s_load_b32 s3, s[0:1], 0x0
	s_and_not1_b32 vcc_lo, exec_lo, s17
	s_waitcnt lgkmcnt(0)
	s_ashr_i32 s17, s16, 31
	s_cbranch_vccnz .LBB68_100
; %bb.13:
	s_load_b64 s[4:5], s[0:1], 0x30
	s_lshl_b64 s[6:7], s[16:17], 2
	v_lshrrev_b32_e32 v1, 4, v0
	s_mov_b32 s23, exec_lo
	s_delay_alu instid0(VALU_DEP_1)
	v_subrev_nc_u32_e32 v1, s12, v1
	s_waitcnt lgkmcnt(0)
	s_add_u32 s4, s4, s6
	s_addc_u32 s5, s5, s7
	s_load_b64 s[4:5], s[4:5], 0x0
	s_waitcnt lgkmcnt(0)
	v_add_nc_u32_e32 v25, s4, v1
	s_sub_i32 s22, s5, s12
	s_delay_alu instid0(VALU_DEP_1) | instid1(SALU_CYCLE_1)
	v_cmpx_gt_i32_e64 s22, v25
	s_cbranch_execz .LBB68_99
; %bb.14:
	s_clause 0x1
	s_load_b64 s[18:19], s[0:1], 0x58
	s_load_b256 s[4:11], s[0:1], 0x38
	v_and_b32_e32 v1, 15, v0
	s_cmp_eq_u32 s3, 0
	s_mov_b32 s24, 0
	s_cselect_b32 s25, 1, 2
	s_cselect_b32 s26, 2, 1
	v_subrev_nc_u32_e32 v51, s13, v1
	s_branch .LBB68_16
.LBB68_15:                              ;   in Loop: Header=BB68_16 Depth=1
	s_or_b32 exec_lo, exec_lo, s27
	v_add_nc_u32_e32 v25, 16, v25
	s_delay_alu instid0(VALU_DEP_1) | instskip(SKIP_1) | instid1(SALU_CYCLE_1)
	v_cmp_le_i32_e32 vcc_lo, s22, v25
	s_or_b32 s24, vcc_lo, s24
	s_and_not1_b32 exec_lo, exec_lo, s24
	s_cbranch_execz .LBB68_99
.LBB68_16:                              ; =>This Loop Header: Depth=1
                                        ;     Child Loop BB68_19 Depth 2
                                        ;       Child Loop BB68_21 Depth 3
                                        ;         Child Loop BB68_27 Depth 4
                                        ;         Child Loop BB68_29 Depth 4
                                        ;         Child Loop BB68_35 Depth 4
                                        ;         Child Loop BB68_37 Depth 4
                                        ;       Child Loop BB68_41 Depth 3
                                        ;         Child Loop BB68_47 Depth 4
                                        ;         Child Loop BB68_49 Depth 4
                                        ;         Child Loop BB68_55 Depth 4
                                        ;         Child Loop BB68_57 Depth 4
	;; [unrolled: 5-line block ×4, first 2 shown]
	v_ashrrev_i32_e32 v26, 31, v25
	s_mov_b32 s27, exec_lo
	s_delay_alu instid0(VALU_DEP_1) | instskip(SKIP_1) | instid1(VALU_DEP_1)
	v_lshlrev_b64 v[1:2], 2, v[25:26]
	s_waitcnt lgkmcnt(0)
	v_add_co_u32 v1, vcc_lo, s4, v1
	s_delay_alu instid0(VALU_DEP_2) | instskip(SKIP_3) | instid1(VALU_DEP_1)
	v_add_co_ci_u32_e32 v2, vcc_lo, s5, v2, vcc_lo
	global_load_b32 v1, v[1:2], off
	s_waitcnt vmcnt(0)
	v_subrev_nc_u32_e32 v1, s12, v1
	v_ashrrev_i32_e32 v2, 31, v1
	s_delay_alu instid0(VALU_DEP_1) | instskip(NEXT) | instid1(VALU_DEP_1)
	v_lshlrev_b64 v[1:2], 2, v[1:2]
	v_add_co_u32 v1, vcc_lo, s8, v1
	s_delay_alu instid0(VALU_DEP_2) | instskip(SKIP_4) | instid1(VALU_DEP_1)
	v_add_co_ci_u32_e32 v2, vcc_lo, s9, v2, vcc_lo
	global_load_b64 v[1:2], v[1:2], off
	s_waitcnt vmcnt(0)
	v_subrev_nc_u32_e32 v52, s13, v2
	v_add_nc_u32_e32 v26, v1, v51
	v_cmpx_lt_i32_e64 v26, v52
	s_cbranch_execz .LBB68_15
; %bb.17:                               ;   in Loop: Header=BB68_16 Depth=1
	v_lshlrev_b32_e32 v1, 2, v25
	s_mov_b32 s28, 0
	s_delay_alu instid0(VALU_DEP_1) | instskip(SKIP_2) | instid1(VALU_DEP_3)
	v_or_b32_e32 v3, s25, v1
	v_ashrrev_i32_e32 v2, 31, v1
	v_or_b32_e32 v5, s26, v1
	v_ashrrev_i32_e32 v4, 31, v3
	s_delay_alu instid0(VALU_DEP_3) | instskip(NEXT) | instid1(VALU_DEP_3)
	v_lshlrev_b64 v[1:2], 4, v[1:2]
	v_ashrrev_i32_e32 v6, 31, v5
	s_delay_alu instid0(VALU_DEP_3) | instskip(NEXT) | instid1(VALU_DEP_3)
	v_lshlrev_b64 v[9:10], 4, v[3:4]
	v_add_co_u32 v7, vcc_lo, s6, v1
	s_delay_alu instid0(VALU_DEP_3) | instskip(SKIP_1) | instid1(VALU_DEP_4)
	v_lshlrev_b64 v[5:6], 4, v[5:6]
	v_add_co_ci_u32_e32 v8, vcc_lo, s7, v2, vcc_lo
	v_add_co_u32 v9, vcc_lo, s6, v9
	v_add_co_ci_u32_e32 v10, vcc_lo, s7, v10, vcc_lo
	s_delay_alu instid0(VALU_DEP_4)
	v_add_co_u32 v13, vcc_lo, s6, v5
	v_add_co_ci_u32_e32 v14, vcc_lo, s7, v6, vcc_lo
	s_clause 0x3
	global_load_b128 v[1:4], v[7:8], off
	global_load_b128 v[5:8], v[7:8], off offset:48
	global_load_b128 v[9:12], v[9:10], off
	global_load_b128 v[13:16], v[13:14], off
	s_waitcnt vmcnt(2)
	v_mul_f64 v[32:33], v[7:8], -v[23:24]
	v_mul_f64 v[27:28], v[3:4], -v[23:24]
	v_mul_f64 v[3:4], v[21:22], v[3:4]
	v_mul_f64 v[7:8], v[21:22], v[7:8]
	s_waitcnt vmcnt(1)
	v_mul_f64 v[36:37], v[11:12], -v[23:24]
	v_mul_f64 v[11:12], v[21:22], v[11:12]
	s_waitcnt vmcnt(0)
	v_mul_f64 v[40:41], v[15:16], -v[23:24]
	v_mul_f64 v[15:16], v[21:22], v[15:16]
	v_fma_f64 v[32:33], v[21:22], v[5:6], v[32:33]
	v_fma_f64 v[28:29], v[21:22], v[1:2], v[27:28]
	;; [unrolled: 1-line block ×8, first 2 shown]
	s_branch .LBB68_19
.LBB68_18:                              ;   in Loop: Header=BB68_19 Depth=2
	s_or_b32 exec_lo, exec_lo, s29
	v_add_nc_u32_e32 v26, 16, v26
	s_delay_alu instid0(VALU_DEP_1) | instskip(SKIP_1) | instid1(SALU_CYCLE_1)
	v_cmp_ge_i32_e32 vcc_lo, v26, v52
	s_or_b32 s28, vcc_lo, s28
	s_and_not1_b32 exec_lo, exec_lo, s28
	s_cbranch_execz .LBB68_15
.LBB68_19:                              ;   Parent Loop BB68_16 Depth=1
                                        ; =>  This Loop Header: Depth=2
                                        ;       Child Loop BB68_21 Depth 3
                                        ;         Child Loop BB68_27 Depth 4
                                        ;         Child Loop BB68_29 Depth 4
                                        ;         Child Loop BB68_35 Depth 4
                                        ;         Child Loop BB68_37 Depth 4
                                        ;       Child Loop BB68_41 Depth 3
                                        ;         Child Loop BB68_47 Depth 4
                                        ;         Child Loop BB68_49 Depth 4
                                        ;         Child Loop BB68_55 Depth 4
                                        ;         Child Loop BB68_57 Depth 4
	;; [unrolled: 5-line block ×4, first 2 shown]
	v_lshlrev_b32_e32 v1, 2, v26
	v_ashrrev_i32_e32 v27, 31, v26
	s_mov_b32 s29, 0
	s_delay_alu instid0(VALU_DEP_2) | instskip(NEXT) | instid1(VALU_DEP_1)
	v_or_b32_e32 v2, s26, v1
	v_ashrrev_i32_e32 v3, 31, v2
	s_delay_alu instid0(VALU_DEP_1) | instskip(NEXT) | instid1(VALU_DEP_1)
	v_lshlrev_b64 v[2:3], 4, v[2:3]
	v_add_co_u32 v2, vcc_lo, s18, v2
	s_delay_alu instid0(VALU_DEP_2) | instskip(SKIP_2) | instid1(VALU_DEP_1)
	v_add_co_ci_u32_e32 v3, vcc_lo, s19, v3, vcc_lo
	global_load_b128 v[13:16], v[2:3], off
	v_ashrrev_i32_e32 v2, 31, v1
	v_lshlrev_b64 v[2:3], 4, v[1:2]
	s_delay_alu instid0(VALU_DEP_1) | instskip(NEXT) | instid1(VALU_DEP_2)
	v_add_co_u32 v5, vcc_lo, s18, v2
	v_add_co_ci_u32_e32 v6, vcc_lo, s19, v3, vcc_lo
	v_lshlrev_b64 v[2:3], 2, v[26:27]
	global_load_b128 v[9:12], v[5:6], off
	v_add_co_u32 v2, vcc_lo, s10, v2
	v_add_co_ci_u32_e32 v3, vcc_lo, s11, v3, vcc_lo
	global_load_b32 v27, v[2:3], off
	s_waitcnt vmcnt(2)
	v_mul_f64 v[44:45], v[15:16], -v[38:39]
	v_mul_f64 v[46:47], v[36:37], v[15:16]
	s_waitcnt vmcnt(0)
	v_subrev_nc_u32_e32 v27, s13, v27
	s_delay_alu instid0(VALU_DEP_1) | instskip(NEXT) | instid1(VALU_DEP_4)
	v_lshl_add_u32 v48, v27, 3, v27
	v_fma_f64 v[44:45], v[36:37], v[13:14], v[44:45]
	s_delay_alu instid0(VALU_DEP_2) | instskip(SKIP_1) | instid1(VALU_DEP_2)
	v_and_b32_e32 v53, 63, v48
	v_fma_f64 v[46:47], v[38:39], v[13:14], v[46:47]
	v_mov_b32_e32 v54, v53
	v_or_b32_e32 v1, s25, v1
	s_delay_alu instid0(VALU_DEP_1) | instskip(NEXT) | instid1(VALU_DEP_1)
	v_ashrrev_i32_e32 v2, 31, v1
	v_lshlrev_b64 v[1:2], 4, v[1:2]
	s_delay_alu instid0(VALU_DEP_1) | instskip(NEXT) | instid1(VALU_DEP_2)
	v_add_co_u32 v1, vcc_lo, s18, v1
	v_add_co_ci_u32_e32 v2, vcc_lo, s19, v2, vcc_lo
	s_clause 0x1
	global_load_b128 v[1:4], v[1:2], off
	global_load_b128 v[5:8], v[5:6], off offset:48
	v_fma_f64 v[44:45], v[28:29], v[9:10], v[44:45]
	v_fma_f64 v[46:47], v[30:31], v[9:10], v[46:47]
	s_delay_alu instid0(VALU_DEP_2) | instskip(NEXT) | instid1(VALU_DEP_2)
	v_fma_f64 v[44:45], -v[30:31], v[11:12], v[44:45]
	v_fma_f64 v[46:47], v[28:29], v[11:12], v[46:47]
	s_branch .LBB68_21
.LBB68_20:                              ;   in Loop: Header=BB68_21 Depth=3
	s_or_b32 exec_lo, exec_lo, s30
	s_xor_b32 s30, s31, -1
	s_delay_alu instid0(SALU_CYCLE_1) | instskip(NEXT) | instid1(SALU_CYCLE_1)
	s_and_b32 s30, exec_lo, s30
	s_or_b32 s29, s30, s29
	s_delay_alu instid0(SALU_CYCLE_1)
	s_and_not1_b32 exec_lo, exec_lo, s29
	s_cbranch_execz .LBB68_39
.LBB68_21:                              ;   Parent Loop BB68_16 Depth=1
                                        ;     Parent Loop BB68_19 Depth=2
                                        ; =>    This Loop Header: Depth=3
                                        ;         Child Loop BB68_27 Depth 4
                                        ;         Child Loop BB68_29 Depth 4
	;; [unrolled: 1-line block ×4, first 2 shown]
	v_lshl_add_u32 v48, v54, 2, 0
	s_mov_b32 s30, exec_lo
                                        ; implicit-def: $sgpr31
	ds_load_b32 v49, v48
	s_waitcnt lgkmcnt(0)
	v_cmpx_ne_u32_e64 v49, v27
	s_xor_b32 s30, exec_lo, s30
	s_cbranch_execz .LBB68_33
; %bb.22:                               ;   in Loop: Header=BB68_21 Depth=3
	s_mov_b32 s33, exec_lo
                                        ; implicit-def: $sgpr31
	v_cmpx_ne_u32_e64 s20, v49
	s_xor_b32 s33, exec_lo, s33
; %bb.23:                               ;   in Loop: Header=BB68_21 Depth=3
	v_add_nc_u32_e32 v48, 1, v54
	s_mov_b32 s31, -1
	s_delay_alu instid0(VALU_DEP_1)
	v_and_b32_e32 v54, 63, v48
                                        ; implicit-def: $vgpr48
; %bb.24:                               ;   in Loop: Header=BB68_21 Depth=3
	s_and_not1_saveexec_b32 s33, s33
	s_cbranch_execz .LBB68_32
; %bb.25:                               ;   in Loop: Header=BB68_21 Depth=3
	v_mov_b32_e32 v49, s20
	s_mov_b32 s35, -1
	s_mov_b32 s34, exec_lo
	ds_cmpstore_rtn_b32 v49, v48, v27, v49
	s_waitcnt lgkmcnt(0)
	v_cmpx_eq_u32_e64 s20, v49
	s_cbranch_execz .LBB68_31
; %bb.26:                               ;   in Loop: Header=BB68_21 Depth=3
	v_mul_lo_u32 v49, v54, 60
	s_mov_b32 s35, 0
	s_delay_alu instid0(VALU_DEP_1)
	v_add_nc_u32_e32 v55, v48, v49
	ds_load_b64 v[48:49], v55 offset:256
.LBB68_27:                              ;   Parent Loop BB68_16 Depth=1
                                        ;     Parent Loop BB68_19 Depth=2
                                        ;       Parent Loop BB68_21 Depth=3
                                        ; =>      This Inner Loop Header: Depth=4
	s_waitcnt lgkmcnt(0)
	v_add_f64 v[56:57], v[48:49], v[44:45]
	ds_cmpstore_rtn_b64 v[56:57], v55, v[56:57], v[48:49] offset:256
	s_waitcnt lgkmcnt(0)
	v_cmp_eq_u64_e32 vcc_lo, v[56:57], v[48:49]
	v_dual_mov_b32 v48, v56 :: v_dual_mov_b32 v49, v57
	s_or_b32 s35, vcc_lo, s35
	s_delay_alu instid0(SALU_CYCLE_1)
	s_and_not1_b32 exec_lo, exec_lo, s35
	s_cbranch_execnz .LBB68_27
; %bb.28:                               ;   in Loop: Header=BB68_21 Depth=3
	s_or_b32 exec_lo, exec_lo, s35
	ds_load_b64 v[48:49], v55 offset:264
	s_mov_b32 s35, 0
.LBB68_29:                              ;   Parent Loop BB68_16 Depth=1
                                        ;     Parent Loop BB68_19 Depth=2
                                        ;       Parent Loop BB68_21 Depth=3
                                        ; =>      This Inner Loop Header: Depth=4
	s_waitcnt lgkmcnt(0)
	v_add_f64 v[56:57], v[48:49], v[46:47]
	ds_cmpstore_rtn_b64 v[56:57], v55, v[56:57], v[48:49] offset:264
	s_waitcnt lgkmcnt(0)
	v_cmp_eq_u64_e32 vcc_lo, v[56:57], v[48:49]
	v_dual_mov_b32 v48, v56 :: v_dual_mov_b32 v49, v57
	s_or_b32 s35, vcc_lo, s35
	s_delay_alu instid0(SALU_CYCLE_1)
	s_and_not1_b32 exec_lo, exec_lo, s35
	s_cbranch_execnz .LBB68_29
; %bb.30:                               ;   in Loop: Header=BB68_21 Depth=3
	s_or_b32 exec_lo, exec_lo, s35
	s_delay_alu instid0(SALU_CYCLE_1)
	s_xor_b32 s35, exec_lo, -1
.LBB68_31:                              ;   in Loop: Header=BB68_21 Depth=3
	s_or_b32 exec_lo, exec_lo, s34
	s_delay_alu instid0(SALU_CYCLE_1) | instskip(SKIP_1) | instid1(SALU_CYCLE_1)
	s_and_not1_b32 s31, s31, exec_lo
	s_and_b32 s34, s35, exec_lo
	s_or_b32 s31, s31, s34
.LBB68_32:                              ;   in Loop: Header=BB68_21 Depth=3
	s_or_b32 exec_lo, exec_lo, s33
	s_delay_alu instid0(SALU_CYCLE_1)
	s_and_b32 s31, s31, exec_lo
                                        ; implicit-def: $vgpr48
.LBB68_33:                              ;   in Loop: Header=BB68_21 Depth=3
	s_and_not1_saveexec_b32 s30, s30
	s_cbranch_execz .LBB68_20
; %bb.34:                               ;   in Loop: Header=BB68_21 Depth=3
	v_mul_lo_u32 v49, v54, 60
	s_mov_b32 s33, 0
	s_delay_alu instid0(VALU_DEP_1)
	v_add_nc_u32_e32 v55, v48, v49
	ds_load_b64 v[48:49], v55 offset:256
.LBB68_35:                              ;   Parent Loop BB68_16 Depth=1
                                        ;     Parent Loop BB68_19 Depth=2
                                        ;       Parent Loop BB68_21 Depth=3
                                        ; =>      This Inner Loop Header: Depth=4
	s_waitcnt lgkmcnt(0)
	v_add_f64 v[56:57], v[48:49], v[44:45]
	ds_cmpstore_rtn_b64 v[56:57], v55, v[56:57], v[48:49] offset:256
	s_waitcnt lgkmcnt(0)
	v_cmp_eq_u64_e32 vcc_lo, v[56:57], v[48:49]
	v_dual_mov_b32 v48, v56 :: v_dual_mov_b32 v49, v57
	s_or_b32 s33, vcc_lo, s33
	s_delay_alu instid0(SALU_CYCLE_1)
	s_and_not1_b32 exec_lo, exec_lo, s33
	s_cbranch_execnz .LBB68_35
; %bb.36:                               ;   in Loop: Header=BB68_21 Depth=3
	s_or_b32 exec_lo, exec_lo, s33
	ds_load_b64 v[48:49], v55 offset:264
	s_mov_b32 s33, 0
.LBB68_37:                              ;   Parent Loop BB68_16 Depth=1
                                        ;     Parent Loop BB68_19 Depth=2
                                        ;       Parent Loop BB68_21 Depth=3
                                        ; =>      This Inner Loop Header: Depth=4
	s_waitcnt lgkmcnt(0)
	v_add_f64 v[56:57], v[48:49], v[46:47]
	ds_cmpstore_rtn_b64 v[56:57], v55, v[56:57], v[48:49] offset:264
	s_waitcnt lgkmcnt(0)
	v_cmp_eq_u64_e32 vcc_lo, v[56:57], v[48:49]
	v_dual_mov_b32 v48, v56 :: v_dual_mov_b32 v49, v57
	s_or_b32 s33, vcc_lo, s33
	s_delay_alu instid0(SALU_CYCLE_1)
	s_and_not1_b32 exec_lo, exec_lo, s33
	s_cbranch_execnz .LBB68_37
; %bb.38:                               ;   in Loop: Header=BB68_21 Depth=3
	s_or_b32 exec_lo, exec_lo, s33
	s_delay_alu instid0(SALU_CYCLE_1)
	s_and_not1_b32 s31, s31, exec_lo
	s_branch .LBB68_20
.LBB68_39:                              ;   in Loop: Header=BB68_19 Depth=2
	s_or_b32 exec_lo, exec_lo, s29
	s_waitcnt vmcnt(0)
	v_mul_f64 v[44:45], v[7:8], -v[38:39]
	v_mul_f64 v[46:47], v[36:37], v[7:8]
	v_mov_b32_e32 v54, v53
	s_mov_b32 s29, 0
	s_delay_alu instid0(VALU_DEP_3) | instskip(NEXT) | instid1(VALU_DEP_3)
	v_fma_f64 v[44:45], v[36:37], v[5:6], v[44:45]
	v_fma_f64 v[46:47], v[38:39], v[5:6], v[46:47]
	s_delay_alu instid0(VALU_DEP_2) | instskip(NEXT) | instid1(VALU_DEP_2)
	v_fma_f64 v[44:45], v[28:29], v[1:2], v[44:45]
	v_fma_f64 v[46:47], v[30:31], v[1:2], v[46:47]
	s_delay_alu instid0(VALU_DEP_2) | instskip(NEXT) | instid1(VALU_DEP_2)
	v_fma_f64 v[44:45], -v[30:31], v[3:4], v[44:45]
	v_fma_f64 v[46:47], v[28:29], v[3:4], v[46:47]
	s_branch .LBB68_41
.LBB68_40:                              ;   in Loop: Header=BB68_41 Depth=3
	s_or_b32 exec_lo, exec_lo, s30
	s_xor_b32 s30, s31, -1
	s_delay_alu instid0(SALU_CYCLE_1) | instskip(NEXT) | instid1(SALU_CYCLE_1)
	s_and_b32 s30, exec_lo, s30
	s_or_b32 s29, s30, s29
	s_delay_alu instid0(SALU_CYCLE_1)
	s_and_not1_b32 exec_lo, exec_lo, s29
	s_cbranch_execz .LBB68_59
.LBB68_41:                              ;   Parent Loop BB68_16 Depth=1
                                        ;     Parent Loop BB68_19 Depth=2
                                        ; =>    This Loop Header: Depth=3
                                        ;         Child Loop BB68_47 Depth 4
                                        ;         Child Loop BB68_49 Depth 4
	;; [unrolled: 1-line block ×4, first 2 shown]
	v_lshl_add_u32 v48, v54, 2, 0
	s_mov_b32 s30, exec_lo
                                        ; implicit-def: $sgpr31
	ds_load_b32 v49, v48
	s_waitcnt lgkmcnt(0)
	v_cmpx_ne_u32_e64 v49, v27
	s_xor_b32 s30, exec_lo, s30
	s_cbranch_execz .LBB68_53
; %bb.42:                               ;   in Loop: Header=BB68_41 Depth=3
	s_mov_b32 s33, exec_lo
                                        ; implicit-def: $sgpr31
	v_cmpx_ne_u32_e64 s20, v49
	s_xor_b32 s33, exec_lo, s33
; %bb.43:                               ;   in Loop: Header=BB68_41 Depth=3
	v_add_nc_u32_e32 v48, 1, v54
	s_mov_b32 s31, -1
	s_delay_alu instid0(VALU_DEP_1)
	v_and_b32_e32 v54, 63, v48
                                        ; implicit-def: $vgpr48
; %bb.44:                               ;   in Loop: Header=BB68_41 Depth=3
	s_and_not1_saveexec_b32 s33, s33
	s_cbranch_execz .LBB68_52
; %bb.45:                               ;   in Loop: Header=BB68_41 Depth=3
	v_mov_b32_e32 v49, s20
	s_mov_b32 s35, -1
	s_mov_b32 s34, exec_lo
	ds_cmpstore_rtn_b32 v49, v48, v27, v49
	s_waitcnt lgkmcnt(0)
	v_cmpx_eq_u32_e64 s20, v49
	s_cbranch_execz .LBB68_51
; %bb.46:                               ;   in Loop: Header=BB68_41 Depth=3
	v_mul_lo_u32 v49, v54, 60
	s_mov_b32 s35, 0
	s_delay_alu instid0(VALU_DEP_1)
	v_add_nc_u32_e32 v55, v48, v49
	ds_load_b64 v[48:49], v55 offset:272
.LBB68_47:                              ;   Parent Loop BB68_16 Depth=1
                                        ;     Parent Loop BB68_19 Depth=2
                                        ;       Parent Loop BB68_41 Depth=3
                                        ; =>      This Inner Loop Header: Depth=4
	s_waitcnt lgkmcnt(0)
	v_add_f64 v[56:57], v[48:49], v[44:45]
	ds_cmpstore_rtn_b64 v[56:57], v55, v[56:57], v[48:49] offset:272
	s_waitcnt lgkmcnt(0)
	v_cmp_eq_u64_e32 vcc_lo, v[56:57], v[48:49]
	v_dual_mov_b32 v48, v56 :: v_dual_mov_b32 v49, v57
	s_or_b32 s35, vcc_lo, s35
	s_delay_alu instid0(SALU_CYCLE_1)
	s_and_not1_b32 exec_lo, exec_lo, s35
	s_cbranch_execnz .LBB68_47
; %bb.48:                               ;   in Loop: Header=BB68_41 Depth=3
	s_or_b32 exec_lo, exec_lo, s35
	ds_load_b64 v[48:49], v55 offset:280
	s_mov_b32 s35, 0
.LBB68_49:                              ;   Parent Loop BB68_16 Depth=1
                                        ;     Parent Loop BB68_19 Depth=2
                                        ;       Parent Loop BB68_41 Depth=3
                                        ; =>      This Inner Loop Header: Depth=4
	s_waitcnt lgkmcnt(0)
	v_add_f64 v[56:57], v[48:49], v[46:47]
	ds_cmpstore_rtn_b64 v[56:57], v55, v[56:57], v[48:49] offset:280
	s_waitcnt lgkmcnt(0)
	v_cmp_eq_u64_e32 vcc_lo, v[56:57], v[48:49]
	v_dual_mov_b32 v48, v56 :: v_dual_mov_b32 v49, v57
	s_or_b32 s35, vcc_lo, s35
	s_delay_alu instid0(SALU_CYCLE_1)
	s_and_not1_b32 exec_lo, exec_lo, s35
	s_cbranch_execnz .LBB68_49
; %bb.50:                               ;   in Loop: Header=BB68_41 Depth=3
	s_or_b32 exec_lo, exec_lo, s35
	s_delay_alu instid0(SALU_CYCLE_1)
	s_xor_b32 s35, exec_lo, -1
.LBB68_51:                              ;   in Loop: Header=BB68_41 Depth=3
	s_or_b32 exec_lo, exec_lo, s34
	s_delay_alu instid0(SALU_CYCLE_1) | instskip(SKIP_1) | instid1(SALU_CYCLE_1)
	s_and_not1_b32 s31, s31, exec_lo
	s_and_b32 s34, s35, exec_lo
	s_or_b32 s31, s31, s34
.LBB68_52:                              ;   in Loop: Header=BB68_41 Depth=3
	s_or_b32 exec_lo, exec_lo, s33
	s_delay_alu instid0(SALU_CYCLE_1)
	s_and_b32 s31, s31, exec_lo
                                        ; implicit-def: $vgpr48
.LBB68_53:                              ;   in Loop: Header=BB68_41 Depth=3
	s_and_not1_saveexec_b32 s30, s30
	s_cbranch_execz .LBB68_40
; %bb.54:                               ;   in Loop: Header=BB68_41 Depth=3
	v_mul_lo_u32 v49, v54, 60
	s_mov_b32 s33, 0
	s_delay_alu instid0(VALU_DEP_1)
	v_add_nc_u32_e32 v55, v48, v49
	ds_load_b64 v[48:49], v55 offset:272
.LBB68_55:                              ;   Parent Loop BB68_16 Depth=1
                                        ;     Parent Loop BB68_19 Depth=2
                                        ;       Parent Loop BB68_41 Depth=3
                                        ; =>      This Inner Loop Header: Depth=4
	s_waitcnt lgkmcnt(0)
	v_add_f64 v[56:57], v[48:49], v[44:45]
	ds_cmpstore_rtn_b64 v[56:57], v55, v[56:57], v[48:49] offset:272
	s_waitcnt lgkmcnt(0)
	v_cmp_eq_u64_e32 vcc_lo, v[56:57], v[48:49]
	v_dual_mov_b32 v48, v56 :: v_dual_mov_b32 v49, v57
	s_or_b32 s33, vcc_lo, s33
	s_delay_alu instid0(SALU_CYCLE_1)
	s_and_not1_b32 exec_lo, exec_lo, s33
	s_cbranch_execnz .LBB68_55
; %bb.56:                               ;   in Loop: Header=BB68_41 Depth=3
	s_or_b32 exec_lo, exec_lo, s33
	ds_load_b64 v[48:49], v55 offset:280
	s_mov_b32 s33, 0
.LBB68_57:                              ;   Parent Loop BB68_16 Depth=1
                                        ;     Parent Loop BB68_19 Depth=2
                                        ;       Parent Loop BB68_41 Depth=3
                                        ; =>      This Inner Loop Header: Depth=4
	s_waitcnt lgkmcnt(0)
	v_add_f64 v[56:57], v[48:49], v[46:47]
	ds_cmpstore_rtn_b64 v[56:57], v55, v[56:57], v[48:49] offset:280
	s_waitcnt lgkmcnt(0)
	v_cmp_eq_u64_e32 vcc_lo, v[56:57], v[48:49]
	v_dual_mov_b32 v48, v56 :: v_dual_mov_b32 v49, v57
	s_or_b32 s33, vcc_lo, s33
	s_delay_alu instid0(SALU_CYCLE_1)
	s_and_not1_b32 exec_lo, exec_lo, s33
	s_cbranch_execnz .LBB68_57
; %bb.58:                               ;   in Loop: Header=BB68_41 Depth=3
	s_or_b32 exec_lo, exec_lo, s33
	s_delay_alu instid0(SALU_CYCLE_1)
	s_and_not1_b32 s31, s31, exec_lo
	s_branch .LBB68_40
.LBB68_59:                              ;   in Loop: Header=BB68_19 Depth=2
	s_or_b32 exec_lo, exec_lo, s29
	v_mul_f64 v[44:45], v[15:16], -v[34:35]
	v_mul_f64 v[15:16], v[32:33], v[15:16]
	s_mov_b32 s29, 0
	s_delay_alu instid0(VALU_DEP_2) | instskip(NEXT) | instid1(VALU_DEP_2)
	v_fma_f64 v[44:45], v[32:33], v[13:14], v[44:45]
	v_fma_f64 v[13:14], v[34:35], v[13:14], v[15:16]
	s_delay_alu instid0(VALU_DEP_2) | instskip(NEXT) | instid1(VALU_DEP_2)
	v_fma_f64 v[15:16], v[40:41], v[9:10], v[44:45]
	v_fma_f64 v[13:14], v[42:43], v[9:10], v[13:14]
	s_delay_alu instid0(VALU_DEP_2) | instskip(NEXT) | instid1(VALU_DEP_2)
	v_fma_f64 v[9:10], -v[42:43], v[11:12], v[15:16]
	v_fma_f64 v[11:12], v[40:41], v[11:12], v[13:14]
	v_mov_b32_e32 v15, v53
	s_branch .LBB68_61
.LBB68_60:                              ;   in Loop: Header=BB68_61 Depth=3
	s_or_b32 exec_lo, exec_lo, s30
	s_xor_b32 s30, s31, -1
	s_delay_alu instid0(SALU_CYCLE_1) | instskip(NEXT) | instid1(SALU_CYCLE_1)
	s_and_b32 s30, exec_lo, s30
	s_or_b32 s29, s30, s29
	s_delay_alu instid0(SALU_CYCLE_1)
	s_and_not1_b32 exec_lo, exec_lo, s29
	s_cbranch_execz .LBB68_79
.LBB68_61:                              ;   Parent Loop BB68_16 Depth=1
                                        ;     Parent Loop BB68_19 Depth=2
                                        ; =>    This Loop Header: Depth=3
                                        ;         Child Loop BB68_67 Depth 4
                                        ;         Child Loop BB68_69 Depth 4
	;; [unrolled: 1-line block ×4, first 2 shown]
	s_delay_alu instid0(VALU_DEP_1)
	v_lshl_add_u32 v13, v15, 2, 0
	s_mov_b32 s30, exec_lo
                                        ; implicit-def: $sgpr31
	ds_load_b32 v14, v13
	s_waitcnt lgkmcnt(0)
	v_cmpx_ne_u32_e64 v14, v27
	s_xor_b32 s30, exec_lo, s30
	s_cbranch_execz .LBB68_73
; %bb.62:                               ;   in Loop: Header=BB68_61 Depth=3
	s_mov_b32 s33, exec_lo
                                        ; implicit-def: $sgpr31
	v_cmpx_ne_u32_e64 s20, v14
	s_xor_b32 s33, exec_lo, s33
; %bb.63:                               ;   in Loop: Header=BB68_61 Depth=3
	v_add_nc_u32_e32 v13, 1, v15
	s_mov_b32 s31, -1
	s_delay_alu instid0(VALU_DEP_1)
	v_and_b32_e32 v15, 63, v13
                                        ; implicit-def: $vgpr13
; %bb.64:                               ;   in Loop: Header=BB68_61 Depth=3
	s_and_not1_saveexec_b32 s33, s33
	s_cbranch_execz .LBB68_72
; %bb.65:                               ;   in Loop: Header=BB68_61 Depth=3
	v_mov_b32_e32 v14, s20
	s_mov_b32 s35, -1
	s_mov_b32 s34, exec_lo
	ds_cmpstore_rtn_b32 v14, v13, v27, v14
	s_waitcnt lgkmcnt(0)
	v_cmpx_eq_u32_e64 s20, v14
	s_cbranch_execz .LBB68_71
; %bb.66:                               ;   in Loop: Header=BB68_61 Depth=3
	v_mul_lo_u32 v14, v15, 60
	s_mov_b32 s35, 0
	s_delay_alu instid0(VALU_DEP_1)
	v_add_nc_u32_e32 v16, v13, v14
	ds_load_b64 v[13:14], v16 offset:288
.LBB68_67:                              ;   Parent Loop BB68_16 Depth=1
                                        ;     Parent Loop BB68_19 Depth=2
                                        ;       Parent Loop BB68_61 Depth=3
                                        ; =>      This Inner Loop Header: Depth=4
	s_waitcnt lgkmcnt(0)
	v_add_f64 v[44:45], v[13:14], v[9:10]
	ds_cmpstore_rtn_b64 v[44:45], v16, v[44:45], v[13:14] offset:288
	s_waitcnt lgkmcnt(0)
	v_cmp_eq_u64_e32 vcc_lo, v[44:45], v[13:14]
	v_dual_mov_b32 v13, v44 :: v_dual_mov_b32 v14, v45
	s_or_b32 s35, vcc_lo, s35
	s_delay_alu instid0(SALU_CYCLE_1)
	s_and_not1_b32 exec_lo, exec_lo, s35
	s_cbranch_execnz .LBB68_67
; %bb.68:                               ;   in Loop: Header=BB68_61 Depth=3
	s_or_b32 exec_lo, exec_lo, s35
	ds_load_b64 v[13:14], v16 offset:296
	s_mov_b32 s35, 0
.LBB68_69:                              ;   Parent Loop BB68_16 Depth=1
                                        ;     Parent Loop BB68_19 Depth=2
                                        ;       Parent Loop BB68_61 Depth=3
                                        ; =>      This Inner Loop Header: Depth=4
	s_waitcnt lgkmcnt(0)
	v_add_f64 v[44:45], v[13:14], v[11:12]
	ds_cmpstore_rtn_b64 v[44:45], v16, v[44:45], v[13:14] offset:296
	s_waitcnt lgkmcnt(0)
	v_cmp_eq_u64_e32 vcc_lo, v[44:45], v[13:14]
	v_dual_mov_b32 v13, v44 :: v_dual_mov_b32 v14, v45
	s_or_b32 s35, vcc_lo, s35
	s_delay_alu instid0(SALU_CYCLE_1)
	s_and_not1_b32 exec_lo, exec_lo, s35
	s_cbranch_execnz .LBB68_69
; %bb.70:                               ;   in Loop: Header=BB68_61 Depth=3
	s_or_b32 exec_lo, exec_lo, s35
	s_delay_alu instid0(SALU_CYCLE_1)
	s_xor_b32 s35, exec_lo, -1
.LBB68_71:                              ;   in Loop: Header=BB68_61 Depth=3
	s_or_b32 exec_lo, exec_lo, s34
	s_delay_alu instid0(SALU_CYCLE_1) | instskip(SKIP_1) | instid1(SALU_CYCLE_1)
	s_and_not1_b32 s31, s31, exec_lo
	s_and_b32 s34, s35, exec_lo
	s_or_b32 s31, s31, s34
.LBB68_72:                              ;   in Loop: Header=BB68_61 Depth=3
	s_or_b32 exec_lo, exec_lo, s33
	s_delay_alu instid0(SALU_CYCLE_1)
	s_and_b32 s31, s31, exec_lo
                                        ; implicit-def: $vgpr13
.LBB68_73:                              ;   in Loop: Header=BB68_61 Depth=3
	s_and_not1_saveexec_b32 s30, s30
	s_cbranch_execz .LBB68_60
; %bb.74:                               ;   in Loop: Header=BB68_61 Depth=3
	v_mul_lo_u32 v14, v15, 60
	s_mov_b32 s33, 0
	s_delay_alu instid0(VALU_DEP_1)
	v_add_nc_u32_e32 v16, v13, v14
	ds_load_b64 v[13:14], v16 offset:288
.LBB68_75:                              ;   Parent Loop BB68_16 Depth=1
                                        ;     Parent Loop BB68_19 Depth=2
                                        ;       Parent Loop BB68_61 Depth=3
                                        ; =>      This Inner Loop Header: Depth=4
	s_waitcnt lgkmcnt(0)
	v_add_f64 v[44:45], v[13:14], v[9:10]
	ds_cmpstore_rtn_b64 v[44:45], v16, v[44:45], v[13:14] offset:288
	s_waitcnt lgkmcnt(0)
	v_cmp_eq_u64_e32 vcc_lo, v[44:45], v[13:14]
	v_dual_mov_b32 v13, v44 :: v_dual_mov_b32 v14, v45
	s_or_b32 s33, vcc_lo, s33
	s_delay_alu instid0(SALU_CYCLE_1)
	s_and_not1_b32 exec_lo, exec_lo, s33
	s_cbranch_execnz .LBB68_75
; %bb.76:                               ;   in Loop: Header=BB68_61 Depth=3
	s_or_b32 exec_lo, exec_lo, s33
	ds_load_b64 v[13:14], v16 offset:296
	s_mov_b32 s33, 0
.LBB68_77:                              ;   Parent Loop BB68_16 Depth=1
                                        ;     Parent Loop BB68_19 Depth=2
                                        ;       Parent Loop BB68_61 Depth=3
                                        ; =>      This Inner Loop Header: Depth=4
	s_waitcnt lgkmcnt(0)
	v_add_f64 v[44:45], v[13:14], v[11:12]
	ds_cmpstore_rtn_b64 v[44:45], v16, v[44:45], v[13:14] offset:296
	s_waitcnt lgkmcnt(0)
	v_cmp_eq_u64_e32 vcc_lo, v[44:45], v[13:14]
	v_dual_mov_b32 v13, v44 :: v_dual_mov_b32 v14, v45
	s_or_b32 s33, vcc_lo, s33
	s_delay_alu instid0(SALU_CYCLE_1)
	s_and_not1_b32 exec_lo, exec_lo, s33
	s_cbranch_execnz .LBB68_77
; %bb.78:                               ;   in Loop: Header=BB68_61 Depth=3
	s_or_b32 exec_lo, exec_lo, s33
	s_delay_alu instid0(SALU_CYCLE_1)
	s_and_not1_b32 s31, s31, exec_lo
	s_branch .LBB68_60
.LBB68_79:                              ;   in Loop: Header=BB68_19 Depth=2
	s_or_b32 exec_lo, exec_lo, s29
	v_mul_f64 v[9:10], v[7:8], -v[34:35]
	v_mul_f64 v[7:8], v[32:33], v[7:8]
	s_mov_b32 s29, 0
	s_delay_alu instid0(VALU_DEP_2) | instskip(NEXT) | instid1(VALU_DEP_2)
	v_fma_f64 v[9:10], v[32:33], v[5:6], v[9:10]
	v_fma_f64 v[5:6], v[34:35], v[5:6], v[7:8]
	s_delay_alu instid0(VALU_DEP_2) | instskip(NEXT) | instid1(VALU_DEP_2)
	v_fma_f64 v[7:8], v[40:41], v[1:2], v[9:10]
	v_fma_f64 v[5:6], v[42:43], v[1:2], v[5:6]
	s_delay_alu instid0(VALU_DEP_2) | instskip(NEXT) | instid1(VALU_DEP_2)
	v_fma_f64 v[1:2], -v[42:43], v[3:4], v[7:8]
	v_fma_f64 v[3:4], v[40:41], v[3:4], v[5:6]
	s_branch .LBB68_81
.LBB68_80:                              ;   in Loop: Header=BB68_81 Depth=3
	s_or_b32 exec_lo, exec_lo, s30
	s_xor_b32 s30, s31, -1
	s_delay_alu instid0(SALU_CYCLE_1) | instskip(NEXT) | instid1(SALU_CYCLE_1)
	s_and_b32 s30, exec_lo, s30
	s_or_b32 s29, s30, s29
	s_delay_alu instid0(SALU_CYCLE_1)
	s_and_not1_b32 exec_lo, exec_lo, s29
	s_cbranch_execz .LBB68_18
.LBB68_81:                              ;   Parent Loop BB68_16 Depth=1
                                        ;     Parent Loop BB68_19 Depth=2
                                        ; =>    This Loop Header: Depth=3
                                        ;         Child Loop BB68_87 Depth 4
                                        ;         Child Loop BB68_89 Depth 4
                                        ;         Child Loop BB68_95 Depth 4
                                        ;         Child Loop BB68_97 Depth 4
	v_lshl_add_u32 v5, v53, 2, 0
	s_mov_b32 s30, exec_lo
                                        ; implicit-def: $sgpr31
	ds_load_b32 v6, v5
	s_waitcnt lgkmcnt(0)
	v_cmpx_ne_u32_e64 v6, v27
	s_xor_b32 s30, exec_lo, s30
	s_cbranch_execz .LBB68_93
; %bb.82:                               ;   in Loop: Header=BB68_81 Depth=3
	s_mov_b32 s33, exec_lo
                                        ; implicit-def: $sgpr31
	v_cmpx_ne_u32_e64 s20, v6
	s_xor_b32 s33, exec_lo, s33
; %bb.83:                               ;   in Loop: Header=BB68_81 Depth=3
	v_add_nc_u32_e32 v5, 1, v53
	s_mov_b32 s31, -1
	s_delay_alu instid0(VALU_DEP_1)
	v_and_b32_e32 v53, 63, v5
                                        ; implicit-def: $vgpr5
; %bb.84:                               ;   in Loop: Header=BB68_81 Depth=3
	s_and_not1_saveexec_b32 s33, s33
	s_cbranch_execz .LBB68_92
; %bb.85:                               ;   in Loop: Header=BB68_81 Depth=3
	v_mov_b32_e32 v6, s20
	s_mov_b32 s35, -1
	s_mov_b32 s34, exec_lo
	ds_cmpstore_rtn_b32 v6, v5, v27, v6
	s_waitcnt lgkmcnt(0)
	v_cmpx_eq_u32_e64 s20, v6
	s_cbranch_execz .LBB68_91
; %bb.86:                               ;   in Loop: Header=BB68_81 Depth=3
	v_mul_lo_u32 v6, v53, 60
	s_mov_b32 s35, 0
	s_delay_alu instid0(VALU_DEP_1)
	v_add_nc_u32_e32 v7, v5, v6
	ds_load_b64 v[5:6], v7 offset:304
.LBB68_87:                              ;   Parent Loop BB68_16 Depth=1
                                        ;     Parent Loop BB68_19 Depth=2
                                        ;       Parent Loop BB68_81 Depth=3
                                        ; =>      This Inner Loop Header: Depth=4
	s_waitcnt lgkmcnt(0)
	v_add_f64 v[8:9], v[5:6], v[1:2]
	ds_cmpstore_rtn_b64 v[8:9], v7, v[8:9], v[5:6] offset:304
	s_waitcnt lgkmcnt(0)
	v_cmp_eq_u64_e32 vcc_lo, v[8:9], v[5:6]
	v_dual_mov_b32 v5, v8 :: v_dual_mov_b32 v6, v9
	s_or_b32 s35, vcc_lo, s35
	s_delay_alu instid0(SALU_CYCLE_1)
	s_and_not1_b32 exec_lo, exec_lo, s35
	s_cbranch_execnz .LBB68_87
; %bb.88:                               ;   in Loop: Header=BB68_81 Depth=3
	s_or_b32 exec_lo, exec_lo, s35
	ds_load_b64 v[5:6], v7 offset:312
	s_mov_b32 s35, 0
.LBB68_89:                              ;   Parent Loop BB68_16 Depth=1
                                        ;     Parent Loop BB68_19 Depth=2
                                        ;       Parent Loop BB68_81 Depth=3
                                        ; =>      This Inner Loop Header: Depth=4
	s_waitcnt lgkmcnt(0)
	v_add_f64 v[8:9], v[5:6], v[3:4]
	ds_cmpstore_rtn_b64 v[8:9], v7, v[8:9], v[5:6] offset:312
	s_waitcnt lgkmcnt(0)
	v_cmp_eq_u64_e32 vcc_lo, v[8:9], v[5:6]
	v_dual_mov_b32 v5, v8 :: v_dual_mov_b32 v6, v9
	s_or_b32 s35, vcc_lo, s35
	s_delay_alu instid0(SALU_CYCLE_1)
	s_and_not1_b32 exec_lo, exec_lo, s35
	s_cbranch_execnz .LBB68_89
; %bb.90:                               ;   in Loop: Header=BB68_81 Depth=3
	s_or_b32 exec_lo, exec_lo, s35
	s_delay_alu instid0(SALU_CYCLE_1)
	s_xor_b32 s35, exec_lo, -1
.LBB68_91:                              ;   in Loop: Header=BB68_81 Depth=3
	s_or_b32 exec_lo, exec_lo, s34
	s_delay_alu instid0(SALU_CYCLE_1) | instskip(SKIP_1) | instid1(SALU_CYCLE_1)
	s_and_not1_b32 s31, s31, exec_lo
	s_and_b32 s34, s35, exec_lo
	s_or_b32 s31, s31, s34
.LBB68_92:                              ;   in Loop: Header=BB68_81 Depth=3
	s_or_b32 exec_lo, exec_lo, s33
	s_delay_alu instid0(SALU_CYCLE_1)
	s_and_b32 s31, s31, exec_lo
                                        ; implicit-def: $vgpr5
.LBB68_93:                              ;   in Loop: Header=BB68_81 Depth=3
	s_and_not1_saveexec_b32 s30, s30
	s_cbranch_execz .LBB68_80
; %bb.94:                               ;   in Loop: Header=BB68_81 Depth=3
	v_mul_lo_u32 v6, v53, 60
	s_mov_b32 s33, 0
	s_delay_alu instid0(VALU_DEP_1)
	v_add_nc_u32_e32 v7, v5, v6
	ds_load_b64 v[5:6], v7 offset:304
.LBB68_95:                              ;   Parent Loop BB68_16 Depth=1
                                        ;     Parent Loop BB68_19 Depth=2
                                        ;       Parent Loop BB68_81 Depth=3
                                        ; =>      This Inner Loop Header: Depth=4
	s_waitcnt lgkmcnt(0)
	v_add_f64 v[8:9], v[5:6], v[1:2]
	ds_cmpstore_rtn_b64 v[8:9], v7, v[8:9], v[5:6] offset:304
	s_waitcnt lgkmcnt(0)
	v_cmp_eq_u64_e32 vcc_lo, v[8:9], v[5:6]
	v_dual_mov_b32 v5, v8 :: v_dual_mov_b32 v6, v9
	s_or_b32 s33, vcc_lo, s33
	s_delay_alu instid0(SALU_CYCLE_1)
	s_and_not1_b32 exec_lo, exec_lo, s33
	s_cbranch_execnz .LBB68_95
; %bb.96:                               ;   in Loop: Header=BB68_81 Depth=3
	s_or_b32 exec_lo, exec_lo, s33
	ds_load_b64 v[5:6], v7 offset:312
	s_mov_b32 s33, 0
.LBB68_97:                              ;   Parent Loop BB68_16 Depth=1
                                        ;     Parent Loop BB68_19 Depth=2
                                        ;       Parent Loop BB68_81 Depth=3
                                        ; =>      This Inner Loop Header: Depth=4
	s_waitcnt lgkmcnt(0)
	v_add_f64 v[8:9], v[5:6], v[3:4]
	ds_cmpstore_rtn_b64 v[8:9], v7, v[8:9], v[5:6] offset:312
	s_waitcnt lgkmcnt(0)
	v_cmp_eq_u64_e32 vcc_lo, v[8:9], v[5:6]
	v_dual_mov_b32 v5, v8 :: v_dual_mov_b32 v6, v9
	s_or_b32 s33, vcc_lo, s33
	s_delay_alu instid0(SALU_CYCLE_1)
	s_and_not1_b32 exec_lo, exec_lo, s33
	s_cbranch_execnz .LBB68_97
; %bb.98:                               ;   in Loop: Header=BB68_81 Depth=3
	s_or_b32 exec_lo, exec_lo, s33
	s_delay_alu instid0(SALU_CYCLE_1)
	s_and_not1_b32 s31, s31, exec_lo
	s_branch .LBB68_80
.LBB68_99:
	s_or_b32 exec_lo, exec_lo, s23
.LBB68_100:
	s_delay_alu instid0(SALU_CYCLE_1)
	s_and_not1_b32 vcc_lo, exec_lo, s21
	s_barrier
	buffer_gl0_inv
	s_cbranch_vccnz .LBB68_185
; %bb.101:
	s_load_b64 s[4:5], s[0:1], 0x70
	s_lshl_b64 s[6:7], s[16:17], 2
	v_subrev_nc_u32_e32 v1, s15, v0
	s_mov_b32 s9, exec_lo
	s_waitcnt lgkmcnt(0)
	s_add_u32 s4, s4, s6
	s_addc_u32 s5, s5, s7
	s_load_b64 s[4:5], s[4:5], 0x0
	s_waitcnt lgkmcnt(0)
	v_add_nc_u32_e32 v13, s4, v1
	s_sub_i32 s8, s5, s15
	s_delay_alu instid0(VALU_DEP_1) | instid1(SALU_CYCLE_1)
	v_cmpx_gt_i32_e64 s8, v13
	s_cbranch_execz .LBB68_184
; %bb.102:
	s_load_b128 s[4:7], s[0:1], 0x78
	s_cmp_eq_u32 s3, 0
	s_mov_b32 s10, 0
	s_cselect_b32 s11, 1, 2
	s_cselect_b32 s12, 2, 1
	s_branch .LBB68_104
.LBB68_103:                             ;   in Loop: Header=BB68_104 Depth=1
	s_or_b32 exec_lo, exec_lo, s13
	v_add_nc_u32_e32 v13, 0x100, v13
	s_delay_alu instid0(VALU_DEP_1) | instskip(SKIP_1) | instid1(SALU_CYCLE_1)
	v_cmp_le_i32_e32 vcc_lo, s8, v13
	s_or_b32 s10, vcc_lo, s10
	s_and_not1_b32 exec_lo, exec_lo, s10
	s_cbranch_execz .LBB68_184
.LBB68_104:                             ; =>This Loop Header: Depth=1
                                        ;     Child Loop BB68_106 Depth 2
                                        ;       Child Loop BB68_112 Depth 3
                                        ;       Child Loop BB68_114 Depth 3
                                        ;       Child Loop BB68_120 Depth 3
                                        ;       Child Loop BB68_122 Depth 3
                                        ;     Child Loop BB68_126 Depth 2
                                        ;       Child Loop BB68_132 Depth 3
                                        ;       Child Loop BB68_134 Depth 3
                                        ;       Child Loop BB68_140 Depth 3
                                        ;       Child Loop BB68_142 Depth 3
	;; [unrolled: 5-line block ×4, first 2 shown]
	v_lshlrev_b32_e32 v1, 2, v13
	v_ashrrev_i32_e32 v14, 31, v13
	s_mov_b32 s13, 0
	s_delay_alu instid0(VALU_DEP_2) | instskip(NEXT) | instid1(VALU_DEP_2)
	v_ashrrev_i32_e32 v2, 31, v1
	v_lshlrev_b64 v[4:5], 2, v[13:14]
	s_delay_alu instid0(VALU_DEP_2) | instskip(SKIP_1) | instid1(VALU_DEP_1)
	v_lshlrev_b64 v[2:3], 4, v[1:2]
	s_waitcnt lgkmcnt(0)
	v_add_co_u32 v2, vcc_lo, s6, v2
	s_delay_alu instid0(VALU_DEP_2) | instskip(NEXT) | instid1(VALU_DEP_4)
	v_add_co_ci_u32_e32 v3, vcc_lo, s7, v3, vcc_lo
	v_add_co_u32 v4, vcc_lo, s4, v4
	v_add_co_ci_u32_e32 v5, vcc_lo, s5, v5, vcc_lo
	global_load_b128 v[21:24], v[2:3], off
	global_load_b32 v16, v[4:5], off
	s_waitcnt vmcnt(1)
	v_mul_f64 v[14:15], v[23:24], -v[17:18]
	v_mul_f64 v[23:24], v[19:20], v[23:24]
	s_waitcnt vmcnt(0)
	v_subrev_nc_u32_e32 v16, s15, v16
	s_delay_alu instid0(VALU_DEP_3) | instskip(NEXT) | instid1(VALU_DEP_3)
	v_fma_f64 v[14:15], v[19:20], v[21:22], v[14:15]
	v_fma_f64 v[21:22], v[17:18], v[21:22], v[23:24]
	s_delay_alu instid0(VALU_DEP_3) | instskip(NEXT) | instid1(VALU_DEP_1)
	v_lshl_add_u32 v23, v16, 3, v16
	v_and_b32_e32 v25, 63, v23
	s_delay_alu instid0(VALU_DEP_1) | instskip(SKIP_2) | instid1(VALU_DEP_2)
	v_mov_b32_e32 v26, v25
	v_or_b32_e32 v6, s11, v1
	v_or_b32_e32 v8, s12, v1
	v_ashrrev_i32_e32 v7, 31, v6
	s_delay_alu instid0(VALU_DEP_2) | instskip(NEXT) | instid1(VALU_DEP_2)
	v_ashrrev_i32_e32 v9, 31, v8
	v_lshlrev_b64 v[4:5], 4, v[6:7]
	s_delay_alu instid0(VALU_DEP_2) | instskip(NEXT) | instid1(VALU_DEP_2)
	v_lshlrev_b64 v[6:7], 4, v[8:9]
	v_add_co_u32 v8, vcc_lo, s6, v4
	s_delay_alu instid0(VALU_DEP_3) | instskip(NEXT) | instid1(VALU_DEP_3)
	v_add_co_ci_u32_e32 v9, vcc_lo, s7, v5, vcc_lo
	v_add_co_u32 v5, vcc_lo, s6, v6
	s_delay_alu instid0(VALU_DEP_4)
	v_add_co_ci_u32_e32 v6, vcc_lo, s7, v7, vcc_lo
	s_clause 0x2
	global_load_b128 v[1:4], v[2:3], off offset:48
	global_load_b128 v[9:12], v[8:9], off
	global_load_b128 v[5:8], v[5:6], off
	s_branch .LBB68_106
.LBB68_105:                             ;   in Loop: Header=BB68_106 Depth=2
	s_or_b32 exec_lo, exec_lo, s18
	s_xor_b32 s18, s19, -1
	s_delay_alu instid0(SALU_CYCLE_1) | instskip(NEXT) | instid1(SALU_CYCLE_1)
	s_and_b32 s18, exec_lo, s18
	s_or_b32 s13, s18, s13
	s_delay_alu instid0(SALU_CYCLE_1)
	s_and_not1_b32 exec_lo, exec_lo, s13
	s_cbranch_execz .LBB68_124
.LBB68_106:                             ;   Parent Loop BB68_104 Depth=1
                                        ; =>  This Loop Header: Depth=2
                                        ;       Child Loop BB68_112 Depth 3
                                        ;       Child Loop BB68_114 Depth 3
                                        ;       Child Loop BB68_120 Depth 3
                                        ;       Child Loop BB68_122 Depth 3
	v_lshl_add_u32 v23, v26, 2, 0
	s_mov_b32 s18, exec_lo
                                        ; implicit-def: $sgpr19
	ds_load_b32 v24, v23
	s_waitcnt lgkmcnt(0)
	v_cmpx_ne_u32_e64 v24, v16
	s_xor_b32 s18, exec_lo, s18
	s_cbranch_execz .LBB68_118
; %bb.107:                              ;   in Loop: Header=BB68_106 Depth=2
	s_mov_b32 s21, exec_lo
                                        ; implicit-def: $sgpr19
	v_cmpx_ne_u32_e64 s20, v24
	s_xor_b32 s21, exec_lo, s21
; %bb.108:                              ;   in Loop: Header=BB68_106 Depth=2
	v_add_nc_u32_e32 v23, 1, v26
	s_mov_b32 s19, -1
	s_delay_alu instid0(VALU_DEP_1)
	v_and_b32_e32 v26, 63, v23
                                        ; implicit-def: $vgpr23
; %bb.109:                              ;   in Loop: Header=BB68_106 Depth=2
	s_and_not1_saveexec_b32 s21, s21
	s_cbranch_execz .LBB68_117
; %bb.110:                              ;   in Loop: Header=BB68_106 Depth=2
	v_mov_b32_e32 v24, s20
	s_mov_b32 s23, -1
	s_mov_b32 s22, exec_lo
	ds_cmpstore_rtn_b32 v24, v23, v16, v24
	s_waitcnt lgkmcnt(0)
	v_cmpx_eq_u32_e64 s20, v24
	s_cbranch_execz .LBB68_116
; %bb.111:                              ;   in Loop: Header=BB68_106 Depth=2
	v_mul_lo_u32 v24, v26, 60
	s_mov_b32 s23, 0
	s_delay_alu instid0(VALU_DEP_1)
	v_add_nc_u32_e32 v27, v23, v24
	ds_load_b64 v[23:24], v27 offset:256
.LBB68_112:                             ;   Parent Loop BB68_104 Depth=1
                                        ;     Parent Loop BB68_106 Depth=2
                                        ; =>    This Inner Loop Header: Depth=3
	s_waitcnt lgkmcnt(0)
	v_add_f64 v[28:29], v[23:24], v[14:15]
	ds_cmpstore_rtn_b64 v[28:29], v27, v[28:29], v[23:24] offset:256
	s_waitcnt lgkmcnt(0)
	v_cmp_eq_u64_e32 vcc_lo, v[28:29], v[23:24]
	v_dual_mov_b32 v23, v28 :: v_dual_mov_b32 v24, v29
	s_or_b32 s23, vcc_lo, s23
	s_delay_alu instid0(SALU_CYCLE_1)
	s_and_not1_b32 exec_lo, exec_lo, s23
	s_cbranch_execnz .LBB68_112
; %bb.113:                              ;   in Loop: Header=BB68_106 Depth=2
	s_or_b32 exec_lo, exec_lo, s23
	ds_load_b64 v[23:24], v27 offset:264
	s_mov_b32 s23, 0
.LBB68_114:                             ;   Parent Loop BB68_104 Depth=1
                                        ;     Parent Loop BB68_106 Depth=2
                                        ; =>    This Inner Loop Header: Depth=3
	s_waitcnt lgkmcnt(0)
	v_add_f64 v[28:29], v[23:24], v[21:22]
	ds_cmpstore_rtn_b64 v[28:29], v27, v[28:29], v[23:24] offset:264
	s_waitcnt lgkmcnt(0)
	v_cmp_eq_u64_e32 vcc_lo, v[28:29], v[23:24]
	v_dual_mov_b32 v23, v28 :: v_dual_mov_b32 v24, v29
	s_or_b32 s23, vcc_lo, s23
	s_delay_alu instid0(SALU_CYCLE_1)
	s_and_not1_b32 exec_lo, exec_lo, s23
	s_cbranch_execnz .LBB68_114
; %bb.115:                              ;   in Loop: Header=BB68_106 Depth=2
	s_or_b32 exec_lo, exec_lo, s23
	s_delay_alu instid0(SALU_CYCLE_1)
	s_xor_b32 s23, exec_lo, -1
.LBB68_116:                             ;   in Loop: Header=BB68_106 Depth=2
	s_or_b32 exec_lo, exec_lo, s22
	s_delay_alu instid0(SALU_CYCLE_1) | instskip(SKIP_1) | instid1(SALU_CYCLE_1)
	s_and_not1_b32 s19, s19, exec_lo
	s_and_b32 s22, s23, exec_lo
	s_or_b32 s19, s19, s22
.LBB68_117:                             ;   in Loop: Header=BB68_106 Depth=2
	s_or_b32 exec_lo, exec_lo, s21
	s_delay_alu instid0(SALU_CYCLE_1)
	s_and_b32 s19, s19, exec_lo
                                        ; implicit-def: $vgpr23
.LBB68_118:                             ;   in Loop: Header=BB68_106 Depth=2
	s_and_not1_saveexec_b32 s18, s18
	s_cbranch_execz .LBB68_105
; %bb.119:                              ;   in Loop: Header=BB68_106 Depth=2
	v_mul_lo_u32 v24, v26, 60
	s_mov_b32 s21, 0
	s_delay_alu instid0(VALU_DEP_1)
	v_add_nc_u32_e32 v27, v23, v24
	ds_load_b64 v[23:24], v27 offset:256
.LBB68_120:                             ;   Parent Loop BB68_104 Depth=1
                                        ;     Parent Loop BB68_106 Depth=2
                                        ; =>    This Inner Loop Header: Depth=3
	s_waitcnt lgkmcnt(0)
	v_add_f64 v[28:29], v[23:24], v[14:15]
	ds_cmpstore_rtn_b64 v[28:29], v27, v[28:29], v[23:24] offset:256
	s_waitcnt lgkmcnt(0)
	v_cmp_eq_u64_e32 vcc_lo, v[28:29], v[23:24]
	v_dual_mov_b32 v23, v28 :: v_dual_mov_b32 v24, v29
	s_or_b32 s21, vcc_lo, s21
	s_delay_alu instid0(SALU_CYCLE_1)
	s_and_not1_b32 exec_lo, exec_lo, s21
	s_cbranch_execnz .LBB68_120
; %bb.121:                              ;   in Loop: Header=BB68_106 Depth=2
	s_or_b32 exec_lo, exec_lo, s21
	ds_load_b64 v[23:24], v27 offset:264
	s_mov_b32 s21, 0
.LBB68_122:                             ;   Parent Loop BB68_104 Depth=1
                                        ;     Parent Loop BB68_106 Depth=2
                                        ; =>    This Inner Loop Header: Depth=3
	s_waitcnt lgkmcnt(0)
	v_add_f64 v[28:29], v[23:24], v[21:22]
	ds_cmpstore_rtn_b64 v[28:29], v27, v[28:29], v[23:24] offset:264
	s_waitcnt lgkmcnt(0)
	v_cmp_eq_u64_e32 vcc_lo, v[28:29], v[23:24]
	v_dual_mov_b32 v23, v28 :: v_dual_mov_b32 v24, v29
	s_or_b32 s21, vcc_lo, s21
	s_delay_alu instid0(SALU_CYCLE_1)
	s_and_not1_b32 exec_lo, exec_lo, s21
	s_cbranch_execnz .LBB68_122
; %bb.123:                              ;   in Loop: Header=BB68_106 Depth=2
	s_or_b32 exec_lo, exec_lo, s21
	s_delay_alu instid0(SALU_CYCLE_1)
	s_and_not1_b32 s19, s19, exec_lo
	s_branch .LBB68_105
.LBB68_124:                             ;   in Loop: Header=BB68_104 Depth=1
	s_or_b32 exec_lo, exec_lo, s13
	s_waitcnt vmcnt(1)
	v_mul_f64 v[14:15], v[11:12], -v[17:18]
	v_mul_f64 v[21:22], v[19:20], v[11:12]
	s_mov_b32 s13, 0
	s_delay_alu instid0(VALU_DEP_2) | instskip(NEXT) | instid1(VALU_DEP_2)
	v_fma_f64 v[11:12], v[19:20], v[9:10], v[14:15]
	v_fma_f64 v[9:10], v[17:18], v[9:10], v[21:22]
	v_mov_b32_e32 v21, v25
	s_branch .LBB68_126
.LBB68_125:                             ;   in Loop: Header=BB68_126 Depth=2
	s_or_b32 exec_lo, exec_lo, s18
	s_xor_b32 s18, s19, -1
	s_delay_alu instid0(SALU_CYCLE_1) | instskip(NEXT) | instid1(SALU_CYCLE_1)
	s_and_b32 s18, exec_lo, s18
	s_or_b32 s13, s18, s13
	s_delay_alu instid0(SALU_CYCLE_1)
	s_and_not1_b32 exec_lo, exec_lo, s13
	s_cbranch_execz .LBB68_144
.LBB68_126:                             ;   Parent Loop BB68_104 Depth=1
                                        ; =>  This Loop Header: Depth=2
                                        ;       Child Loop BB68_132 Depth 3
                                        ;       Child Loop BB68_134 Depth 3
	;; [unrolled: 1-line block ×4, first 2 shown]
	s_delay_alu instid0(VALU_DEP_1)
	v_lshl_add_u32 v14, v21, 2, 0
	s_mov_b32 s18, exec_lo
                                        ; implicit-def: $sgpr19
	ds_load_b32 v15, v14
	s_waitcnt lgkmcnt(0)
	v_cmpx_ne_u32_e64 v15, v16
	s_xor_b32 s18, exec_lo, s18
	s_cbranch_execz .LBB68_138
; %bb.127:                              ;   in Loop: Header=BB68_126 Depth=2
	s_mov_b32 s21, exec_lo
                                        ; implicit-def: $sgpr19
	v_cmpx_ne_u32_e64 s20, v15
	s_xor_b32 s21, exec_lo, s21
; %bb.128:                              ;   in Loop: Header=BB68_126 Depth=2
	v_add_nc_u32_e32 v14, 1, v21
	s_mov_b32 s19, -1
	s_delay_alu instid0(VALU_DEP_1)
	v_and_b32_e32 v21, 63, v14
                                        ; implicit-def: $vgpr14
; %bb.129:                              ;   in Loop: Header=BB68_126 Depth=2
	s_and_not1_saveexec_b32 s21, s21
	s_cbranch_execz .LBB68_137
; %bb.130:                              ;   in Loop: Header=BB68_126 Depth=2
	v_mov_b32_e32 v15, s20
	s_mov_b32 s23, -1
	s_mov_b32 s22, exec_lo
	ds_cmpstore_rtn_b32 v15, v14, v16, v15
	s_waitcnt lgkmcnt(0)
	v_cmpx_eq_u32_e64 s20, v15
	s_cbranch_execz .LBB68_136
; %bb.131:                              ;   in Loop: Header=BB68_126 Depth=2
	v_mul_lo_u32 v15, v21, 60
	s_mov_b32 s23, 0
	s_delay_alu instid0(VALU_DEP_1)
	v_add_nc_u32_e32 v22, v14, v15
	ds_load_b64 v[14:15], v22 offset:272
.LBB68_132:                             ;   Parent Loop BB68_104 Depth=1
                                        ;     Parent Loop BB68_126 Depth=2
                                        ; =>    This Inner Loop Header: Depth=3
	s_waitcnt lgkmcnt(0)
	v_add_f64 v[23:24], v[14:15], v[11:12]
	ds_cmpstore_rtn_b64 v[23:24], v22, v[23:24], v[14:15] offset:272
	s_waitcnt lgkmcnt(0)
	v_cmp_eq_u64_e32 vcc_lo, v[23:24], v[14:15]
	v_dual_mov_b32 v14, v23 :: v_dual_mov_b32 v15, v24
	s_or_b32 s23, vcc_lo, s23
	s_delay_alu instid0(SALU_CYCLE_1)
	s_and_not1_b32 exec_lo, exec_lo, s23
	s_cbranch_execnz .LBB68_132
; %bb.133:                              ;   in Loop: Header=BB68_126 Depth=2
	s_or_b32 exec_lo, exec_lo, s23
	ds_load_b64 v[14:15], v22 offset:280
	s_mov_b32 s23, 0
.LBB68_134:                             ;   Parent Loop BB68_104 Depth=1
                                        ;     Parent Loop BB68_126 Depth=2
                                        ; =>    This Inner Loop Header: Depth=3
	s_waitcnt lgkmcnt(0)
	v_add_f64 v[23:24], v[14:15], v[9:10]
	ds_cmpstore_rtn_b64 v[23:24], v22, v[23:24], v[14:15] offset:280
	s_waitcnt lgkmcnt(0)
	v_cmp_eq_u64_e32 vcc_lo, v[23:24], v[14:15]
	v_dual_mov_b32 v14, v23 :: v_dual_mov_b32 v15, v24
	s_or_b32 s23, vcc_lo, s23
	s_delay_alu instid0(SALU_CYCLE_1)
	s_and_not1_b32 exec_lo, exec_lo, s23
	s_cbranch_execnz .LBB68_134
; %bb.135:                              ;   in Loop: Header=BB68_126 Depth=2
	s_or_b32 exec_lo, exec_lo, s23
	s_delay_alu instid0(SALU_CYCLE_1)
	s_xor_b32 s23, exec_lo, -1
.LBB68_136:                             ;   in Loop: Header=BB68_126 Depth=2
	s_or_b32 exec_lo, exec_lo, s22
	s_delay_alu instid0(SALU_CYCLE_1) | instskip(SKIP_1) | instid1(SALU_CYCLE_1)
	s_and_not1_b32 s19, s19, exec_lo
	s_and_b32 s22, s23, exec_lo
	s_or_b32 s19, s19, s22
.LBB68_137:                             ;   in Loop: Header=BB68_126 Depth=2
	s_or_b32 exec_lo, exec_lo, s21
	s_delay_alu instid0(SALU_CYCLE_1)
	s_and_b32 s19, s19, exec_lo
                                        ; implicit-def: $vgpr14
.LBB68_138:                             ;   in Loop: Header=BB68_126 Depth=2
	s_and_not1_saveexec_b32 s18, s18
	s_cbranch_execz .LBB68_125
; %bb.139:                              ;   in Loop: Header=BB68_126 Depth=2
	v_mul_lo_u32 v15, v21, 60
	s_mov_b32 s21, 0
	s_delay_alu instid0(VALU_DEP_1)
	v_add_nc_u32_e32 v22, v14, v15
	ds_load_b64 v[14:15], v22 offset:272
.LBB68_140:                             ;   Parent Loop BB68_104 Depth=1
                                        ;     Parent Loop BB68_126 Depth=2
                                        ; =>    This Inner Loop Header: Depth=3
	s_waitcnt lgkmcnt(0)
	v_add_f64 v[23:24], v[14:15], v[11:12]
	ds_cmpstore_rtn_b64 v[23:24], v22, v[23:24], v[14:15] offset:272
	s_waitcnt lgkmcnt(0)
	v_cmp_eq_u64_e32 vcc_lo, v[23:24], v[14:15]
	v_dual_mov_b32 v14, v23 :: v_dual_mov_b32 v15, v24
	s_or_b32 s21, vcc_lo, s21
	s_delay_alu instid0(SALU_CYCLE_1)
	s_and_not1_b32 exec_lo, exec_lo, s21
	s_cbranch_execnz .LBB68_140
; %bb.141:                              ;   in Loop: Header=BB68_126 Depth=2
	s_or_b32 exec_lo, exec_lo, s21
	ds_load_b64 v[14:15], v22 offset:280
	s_mov_b32 s21, 0
.LBB68_142:                             ;   Parent Loop BB68_104 Depth=1
                                        ;     Parent Loop BB68_126 Depth=2
                                        ; =>    This Inner Loop Header: Depth=3
	s_waitcnt lgkmcnt(0)
	v_add_f64 v[23:24], v[14:15], v[9:10]
	ds_cmpstore_rtn_b64 v[23:24], v22, v[23:24], v[14:15] offset:280
	s_waitcnt lgkmcnt(0)
	v_cmp_eq_u64_e32 vcc_lo, v[23:24], v[14:15]
	v_dual_mov_b32 v14, v23 :: v_dual_mov_b32 v15, v24
	s_or_b32 s21, vcc_lo, s21
	s_delay_alu instid0(SALU_CYCLE_1)
	s_and_not1_b32 exec_lo, exec_lo, s21
	s_cbranch_execnz .LBB68_142
; %bb.143:                              ;   in Loop: Header=BB68_126 Depth=2
	s_or_b32 exec_lo, exec_lo, s21
	s_delay_alu instid0(SALU_CYCLE_1)
	s_and_not1_b32 s19, s19, exec_lo
	s_branch .LBB68_125
.LBB68_144:                             ;   in Loop: Header=BB68_104 Depth=1
	s_or_b32 exec_lo, exec_lo, s13
	s_waitcnt vmcnt(0)
	v_mul_f64 v[9:10], v[7:8], -v[17:18]
	v_mul_f64 v[11:12], v[19:20], v[7:8]
	s_mov_b32 s13, 0
	s_delay_alu instid0(VALU_DEP_2) | instskip(NEXT) | instid1(VALU_DEP_2)
	v_fma_f64 v[7:8], v[19:20], v[5:6], v[9:10]
	v_fma_f64 v[5:6], v[17:18], v[5:6], v[11:12]
	v_mov_b32_e32 v11, v25
	s_branch .LBB68_146
.LBB68_145:                             ;   in Loop: Header=BB68_146 Depth=2
	s_or_b32 exec_lo, exec_lo, s18
	s_xor_b32 s18, s19, -1
	s_delay_alu instid0(SALU_CYCLE_1) | instskip(NEXT) | instid1(SALU_CYCLE_1)
	s_and_b32 s18, exec_lo, s18
	s_or_b32 s13, s18, s13
	s_delay_alu instid0(SALU_CYCLE_1)
	s_and_not1_b32 exec_lo, exec_lo, s13
	s_cbranch_execz .LBB68_164
.LBB68_146:                             ;   Parent Loop BB68_104 Depth=1
                                        ; =>  This Loop Header: Depth=2
                                        ;       Child Loop BB68_152 Depth 3
                                        ;       Child Loop BB68_154 Depth 3
	;; [unrolled: 1-line block ×4, first 2 shown]
	s_delay_alu instid0(VALU_DEP_1)
	v_lshl_add_u32 v9, v11, 2, 0
	s_mov_b32 s18, exec_lo
                                        ; implicit-def: $sgpr19
	ds_load_b32 v10, v9
	s_waitcnt lgkmcnt(0)
	v_cmpx_ne_u32_e64 v10, v16
	s_xor_b32 s18, exec_lo, s18
	s_cbranch_execz .LBB68_158
; %bb.147:                              ;   in Loop: Header=BB68_146 Depth=2
	s_mov_b32 s21, exec_lo
                                        ; implicit-def: $sgpr19
	v_cmpx_ne_u32_e64 s20, v10
	s_xor_b32 s21, exec_lo, s21
; %bb.148:                              ;   in Loop: Header=BB68_146 Depth=2
	v_add_nc_u32_e32 v9, 1, v11
	s_mov_b32 s19, -1
	s_delay_alu instid0(VALU_DEP_1)
	v_and_b32_e32 v11, 63, v9
                                        ; implicit-def: $vgpr9
; %bb.149:                              ;   in Loop: Header=BB68_146 Depth=2
	s_and_not1_saveexec_b32 s21, s21
	s_cbranch_execz .LBB68_157
; %bb.150:                              ;   in Loop: Header=BB68_146 Depth=2
	v_mov_b32_e32 v10, s20
	s_mov_b32 s23, -1
	s_mov_b32 s22, exec_lo
	ds_cmpstore_rtn_b32 v10, v9, v16, v10
	s_waitcnt lgkmcnt(0)
	v_cmpx_eq_u32_e64 s20, v10
	s_cbranch_execz .LBB68_156
; %bb.151:                              ;   in Loop: Header=BB68_146 Depth=2
	v_mul_lo_u32 v10, v11, 60
	s_mov_b32 s23, 0
	s_delay_alu instid0(VALU_DEP_1)
	v_add_nc_u32_e32 v12, v9, v10
	ds_load_b64 v[9:10], v12 offset:288
.LBB68_152:                             ;   Parent Loop BB68_104 Depth=1
                                        ;     Parent Loop BB68_146 Depth=2
                                        ; =>    This Inner Loop Header: Depth=3
	s_waitcnt lgkmcnt(0)
	v_add_f64 v[14:15], v[9:10], v[7:8]
	ds_cmpstore_rtn_b64 v[14:15], v12, v[14:15], v[9:10] offset:288
	s_waitcnt lgkmcnt(0)
	v_cmp_eq_u64_e32 vcc_lo, v[14:15], v[9:10]
	v_dual_mov_b32 v9, v14 :: v_dual_mov_b32 v10, v15
	s_or_b32 s23, vcc_lo, s23
	s_delay_alu instid0(SALU_CYCLE_1)
	s_and_not1_b32 exec_lo, exec_lo, s23
	s_cbranch_execnz .LBB68_152
; %bb.153:                              ;   in Loop: Header=BB68_146 Depth=2
	s_or_b32 exec_lo, exec_lo, s23
	ds_load_b64 v[9:10], v12 offset:296
	s_mov_b32 s23, 0
.LBB68_154:                             ;   Parent Loop BB68_104 Depth=1
                                        ;     Parent Loop BB68_146 Depth=2
                                        ; =>    This Inner Loop Header: Depth=3
	s_waitcnt lgkmcnt(0)
	v_add_f64 v[14:15], v[9:10], v[5:6]
	ds_cmpstore_rtn_b64 v[14:15], v12, v[14:15], v[9:10] offset:296
	s_waitcnt lgkmcnt(0)
	v_cmp_eq_u64_e32 vcc_lo, v[14:15], v[9:10]
	v_dual_mov_b32 v9, v14 :: v_dual_mov_b32 v10, v15
	s_or_b32 s23, vcc_lo, s23
	s_delay_alu instid0(SALU_CYCLE_1)
	s_and_not1_b32 exec_lo, exec_lo, s23
	s_cbranch_execnz .LBB68_154
; %bb.155:                              ;   in Loop: Header=BB68_146 Depth=2
	s_or_b32 exec_lo, exec_lo, s23
	s_delay_alu instid0(SALU_CYCLE_1)
	s_xor_b32 s23, exec_lo, -1
.LBB68_156:                             ;   in Loop: Header=BB68_146 Depth=2
	s_or_b32 exec_lo, exec_lo, s22
	s_delay_alu instid0(SALU_CYCLE_1) | instskip(SKIP_1) | instid1(SALU_CYCLE_1)
	s_and_not1_b32 s19, s19, exec_lo
	s_and_b32 s22, s23, exec_lo
	s_or_b32 s19, s19, s22
.LBB68_157:                             ;   in Loop: Header=BB68_146 Depth=2
	s_or_b32 exec_lo, exec_lo, s21
	s_delay_alu instid0(SALU_CYCLE_1)
	s_and_b32 s19, s19, exec_lo
                                        ; implicit-def: $vgpr9
.LBB68_158:                             ;   in Loop: Header=BB68_146 Depth=2
	s_and_not1_saveexec_b32 s18, s18
	s_cbranch_execz .LBB68_145
; %bb.159:                              ;   in Loop: Header=BB68_146 Depth=2
	v_mul_lo_u32 v10, v11, 60
	s_mov_b32 s21, 0
	s_delay_alu instid0(VALU_DEP_1)
	v_add_nc_u32_e32 v12, v9, v10
	ds_load_b64 v[9:10], v12 offset:288
.LBB68_160:                             ;   Parent Loop BB68_104 Depth=1
                                        ;     Parent Loop BB68_146 Depth=2
                                        ; =>    This Inner Loop Header: Depth=3
	s_waitcnt lgkmcnt(0)
	v_add_f64 v[14:15], v[9:10], v[7:8]
	ds_cmpstore_rtn_b64 v[14:15], v12, v[14:15], v[9:10] offset:288
	s_waitcnt lgkmcnt(0)
	v_cmp_eq_u64_e32 vcc_lo, v[14:15], v[9:10]
	v_dual_mov_b32 v9, v14 :: v_dual_mov_b32 v10, v15
	s_or_b32 s21, vcc_lo, s21
	s_delay_alu instid0(SALU_CYCLE_1)
	s_and_not1_b32 exec_lo, exec_lo, s21
	s_cbranch_execnz .LBB68_160
; %bb.161:                              ;   in Loop: Header=BB68_146 Depth=2
	s_or_b32 exec_lo, exec_lo, s21
	ds_load_b64 v[9:10], v12 offset:296
	s_mov_b32 s21, 0
.LBB68_162:                             ;   Parent Loop BB68_104 Depth=1
                                        ;     Parent Loop BB68_146 Depth=2
                                        ; =>    This Inner Loop Header: Depth=3
	s_waitcnt lgkmcnt(0)
	v_add_f64 v[14:15], v[9:10], v[5:6]
	ds_cmpstore_rtn_b64 v[14:15], v12, v[14:15], v[9:10] offset:296
	s_waitcnt lgkmcnt(0)
	v_cmp_eq_u64_e32 vcc_lo, v[14:15], v[9:10]
	v_dual_mov_b32 v9, v14 :: v_dual_mov_b32 v10, v15
	s_or_b32 s21, vcc_lo, s21
	s_delay_alu instid0(SALU_CYCLE_1)
	s_and_not1_b32 exec_lo, exec_lo, s21
	s_cbranch_execnz .LBB68_162
; %bb.163:                              ;   in Loop: Header=BB68_146 Depth=2
	s_or_b32 exec_lo, exec_lo, s21
	s_delay_alu instid0(SALU_CYCLE_1)
	s_and_not1_b32 s19, s19, exec_lo
	s_branch .LBB68_145
.LBB68_164:                             ;   in Loop: Header=BB68_104 Depth=1
	s_or_b32 exec_lo, exec_lo, s13
	v_mul_f64 v[5:6], v[3:4], -v[17:18]
	v_mul_f64 v[7:8], v[19:20], v[3:4]
	s_mov_b32 s13, 0
	s_delay_alu instid0(VALU_DEP_2) | instskip(NEXT) | instid1(VALU_DEP_2)
	v_fma_f64 v[3:4], v[19:20], v[1:2], v[5:6]
	v_fma_f64 v[1:2], v[17:18], v[1:2], v[7:8]
	s_branch .LBB68_166
.LBB68_165:                             ;   in Loop: Header=BB68_166 Depth=2
	s_or_b32 exec_lo, exec_lo, s18
	s_xor_b32 s18, s19, -1
	s_delay_alu instid0(SALU_CYCLE_1) | instskip(NEXT) | instid1(SALU_CYCLE_1)
	s_and_b32 s18, exec_lo, s18
	s_or_b32 s13, s18, s13
	s_delay_alu instid0(SALU_CYCLE_1)
	s_and_not1_b32 exec_lo, exec_lo, s13
	s_cbranch_execz .LBB68_103
.LBB68_166:                             ;   Parent Loop BB68_104 Depth=1
                                        ; =>  This Loop Header: Depth=2
                                        ;       Child Loop BB68_172 Depth 3
                                        ;       Child Loop BB68_174 Depth 3
                                        ;       Child Loop BB68_180 Depth 3
                                        ;       Child Loop BB68_182 Depth 3
	v_lshl_add_u32 v5, v25, 2, 0
	s_mov_b32 s18, exec_lo
                                        ; implicit-def: $sgpr19
	ds_load_b32 v6, v5
	s_waitcnt lgkmcnt(0)
	v_cmpx_ne_u32_e64 v6, v16
	s_xor_b32 s18, exec_lo, s18
	s_cbranch_execz .LBB68_178
; %bb.167:                              ;   in Loop: Header=BB68_166 Depth=2
	s_mov_b32 s21, exec_lo
                                        ; implicit-def: $sgpr19
	v_cmpx_ne_u32_e64 s20, v6
	s_xor_b32 s21, exec_lo, s21
; %bb.168:                              ;   in Loop: Header=BB68_166 Depth=2
	v_add_nc_u32_e32 v5, 1, v25
	s_mov_b32 s19, -1
	s_delay_alu instid0(VALU_DEP_1)
	v_and_b32_e32 v25, 63, v5
                                        ; implicit-def: $vgpr5
; %bb.169:                              ;   in Loop: Header=BB68_166 Depth=2
	s_and_not1_saveexec_b32 s21, s21
	s_cbranch_execz .LBB68_177
; %bb.170:                              ;   in Loop: Header=BB68_166 Depth=2
	v_mov_b32_e32 v6, s20
	s_mov_b32 s23, -1
	s_mov_b32 s22, exec_lo
	ds_cmpstore_rtn_b32 v6, v5, v16, v6
	s_waitcnt lgkmcnt(0)
	v_cmpx_eq_u32_e64 s20, v6
	s_cbranch_execz .LBB68_176
; %bb.171:                              ;   in Loop: Header=BB68_166 Depth=2
	v_mul_lo_u32 v6, v25, 60
	s_mov_b32 s23, 0
	s_delay_alu instid0(VALU_DEP_1)
	v_add_nc_u32_e32 v7, v5, v6
	ds_load_b64 v[5:6], v7 offset:304
.LBB68_172:                             ;   Parent Loop BB68_104 Depth=1
                                        ;     Parent Loop BB68_166 Depth=2
                                        ; =>    This Inner Loop Header: Depth=3
	s_waitcnt lgkmcnt(0)
	v_add_f64 v[8:9], v[5:6], v[3:4]
	ds_cmpstore_rtn_b64 v[8:9], v7, v[8:9], v[5:6] offset:304
	s_waitcnt lgkmcnt(0)
	v_cmp_eq_u64_e32 vcc_lo, v[8:9], v[5:6]
	v_dual_mov_b32 v5, v8 :: v_dual_mov_b32 v6, v9
	s_or_b32 s23, vcc_lo, s23
	s_delay_alu instid0(SALU_CYCLE_1)
	s_and_not1_b32 exec_lo, exec_lo, s23
	s_cbranch_execnz .LBB68_172
; %bb.173:                              ;   in Loop: Header=BB68_166 Depth=2
	s_or_b32 exec_lo, exec_lo, s23
	ds_load_b64 v[5:6], v7 offset:312
	s_mov_b32 s23, 0
.LBB68_174:                             ;   Parent Loop BB68_104 Depth=1
                                        ;     Parent Loop BB68_166 Depth=2
                                        ; =>    This Inner Loop Header: Depth=3
	s_waitcnt lgkmcnt(0)
	v_add_f64 v[8:9], v[5:6], v[1:2]
	ds_cmpstore_rtn_b64 v[8:9], v7, v[8:9], v[5:6] offset:312
	s_waitcnt lgkmcnt(0)
	v_cmp_eq_u64_e32 vcc_lo, v[8:9], v[5:6]
	v_dual_mov_b32 v5, v8 :: v_dual_mov_b32 v6, v9
	s_or_b32 s23, vcc_lo, s23
	s_delay_alu instid0(SALU_CYCLE_1)
	s_and_not1_b32 exec_lo, exec_lo, s23
	s_cbranch_execnz .LBB68_174
; %bb.175:                              ;   in Loop: Header=BB68_166 Depth=2
	s_or_b32 exec_lo, exec_lo, s23
	s_delay_alu instid0(SALU_CYCLE_1)
	s_xor_b32 s23, exec_lo, -1
.LBB68_176:                             ;   in Loop: Header=BB68_166 Depth=2
	s_or_b32 exec_lo, exec_lo, s22
	s_delay_alu instid0(SALU_CYCLE_1) | instskip(SKIP_1) | instid1(SALU_CYCLE_1)
	s_and_not1_b32 s19, s19, exec_lo
	s_and_b32 s22, s23, exec_lo
	s_or_b32 s19, s19, s22
.LBB68_177:                             ;   in Loop: Header=BB68_166 Depth=2
	s_or_b32 exec_lo, exec_lo, s21
	s_delay_alu instid0(SALU_CYCLE_1)
	s_and_b32 s19, s19, exec_lo
                                        ; implicit-def: $vgpr5
.LBB68_178:                             ;   in Loop: Header=BB68_166 Depth=2
	s_and_not1_saveexec_b32 s18, s18
	s_cbranch_execz .LBB68_165
; %bb.179:                              ;   in Loop: Header=BB68_166 Depth=2
	v_mul_lo_u32 v6, v25, 60
	s_mov_b32 s21, 0
	s_delay_alu instid0(VALU_DEP_1)
	v_add_nc_u32_e32 v7, v5, v6
	ds_load_b64 v[5:6], v7 offset:304
.LBB68_180:                             ;   Parent Loop BB68_104 Depth=1
                                        ;     Parent Loop BB68_166 Depth=2
                                        ; =>    This Inner Loop Header: Depth=3
	s_waitcnt lgkmcnt(0)
	v_add_f64 v[8:9], v[5:6], v[3:4]
	ds_cmpstore_rtn_b64 v[8:9], v7, v[8:9], v[5:6] offset:304
	s_waitcnt lgkmcnt(0)
	v_cmp_eq_u64_e32 vcc_lo, v[8:9], v[5:6]
	v_dual_mov_b32 v5, v8 :: v_dual_mov_b32 v6, v9
	s_or_b32 s21, vcc_lo, s21
	s_delay_alu instid0(SALU_CYCLE_1)
	s_and_not1_b32 exec_lo, exec_lo, s21
	s_cbranch_execnz .LBB68_180
; %bb.181:                              ;   in Loop: Header=BB68_166 Depth=2
	s_or_b32 exec_lo, exec_lo, s21
	ds_load_b64 v[5:6], v7 offset:312
	s_mov_b32 s21, 0
.LBB68_182:                             ;   Parent Loop BB68_104 Depth=1
                                        ;     Parent Loop BB68_166 Depth=2
                                        ; =>    This Inner Loop Header: Depth=3
	s_waitcnt lgkmcnt(0)
	v_add_f64 v[8:9], v[5:6], v[1:2]
	ds_cmpstore_rtn_b64 v[8:9], v7, v[8:9], v[5:6] offset:312
	s_waitcnt lgkmcnt(0)
	v_cmp_eq_u64_e32 vcc_lo, v[8:9], v[5:6]
	v_dual_mov_b32 v5, v8 :: v_dual_mov_b32 v6, v9
	s_or_b32 s21, vcc_lo, s21
	s_delay_alu instid0(SALU_CYCLE_1)
	s_and_not1_b32 exec_lo, exec_lo, s21
	s_cbranch_execnz .LBB68_182
; %bb.183:                              ;   in Loop: Header=BB68_166 Depth=2
	s_or_b32 exec_lo, exec_lo, s21
	s_delay_alu instid0(SALU_CYCLE_1)
	s_and_not1_b32 s19, s19, exec_lo
	s_branch .LBB68_165
.LBB68_184:
	s_or_b32 exec_lo, exec_lo, s9
.LBB68_185:
	s_barrier
	buffer_gl0_inv
	s_and_saveexec_b32 s4, s2
	s_cbranch_execz .LBB68_188
; %bb.186:
	ds_load_b32 v1, v50
	s_waitcnt lgkmcnt(0)
	v_cmp_gt_i32_e32 vcc_lo, s20, v1
	s_and_b32 exec_lo, exec_lo, vcc_lo
	s_cbranch_execz .LBB68_188
; %bb.187:
	s_load_b128 s[4:7], s[0:1], 0x88
	v_mov_b32_e32 v64, 0
	s_lshl_b64 s[8:9], s[16:17], 2
	s_load_b64 s[0:1], s[0:1], 0x98
	ds_load_2addr_b32 v[2:3], v64 offset1:1
	ds_load_2addr_b32 v[4:5], v64 offset0:2 offset1:3
	ds_load_2addr_b32 v[6:7], v64 offset0:4 offset1:5
	ds_load_2addr_b32 v[8:9], v64 offset0:6 offset1:7
	ds_load_2addr_b32 v[10:11], v64 offset0:8 offset1:9
	ds_load_2addr_b32 v[12:13], v64 offset0:10 offset1:11
	ds_load_2addr_b32 v[14:15], v64 offset0:12 offset1:13
	ds_load_2addr_b32 v[16:17], v64 offset0:14 offset1:15
	ds_load_2addr_b32 v[18:19], v64 offset0:16 offset1:17
	ds_load_2addr_b32 v[20:21], v64 offset0:18 offset1:19
	ds_load_2addr_b32 v[22:23], v64 offset0:20 offset1:21
	ds_load_2addr_b32 v[24:25], v64 offset0:22 offset1:23
	ds_load_2addr_b32 v[26:27], v64 offset0:24 offset1:25
	ds_load_2addr_b32 v[28:29], v64 offset0:26 offset1:27
	ds_load_2addr_b32 v[30:31], v64 offset0:28 offset1:29
	ds_load_2addr_b32 v[32:33], v64 offset0:30 offset1:31
	s_waitcnt lgkmcnt(0)
	v_cmp_gt_i32_e32 vcc_lo, v1, v2
	v_cndmask_b32_e64 v2, 0, 1, vcc_lo
	s_add_u32 s4, s4, s8
	s_addc_u32 s5, s5, s9
	v_cmp_gt_i32_e32 vcc_lo, v1, v4
	s_load_b32 s2, s[4:5], 0x0
	v_cndmask_b32_e64 v4, 0, 1, vcc_lo
	v_cmp_gt_i32_e32 vcc_lo, v1, v3
	s_waitcnt lgkmcnt(0)
	s_sub_i32 s2, s2, s14
	s_cmp_eq_u32 s3, 0
	v_add_co_ci_u32_e32 v2, vcc_lo, s2, v2, vcc_lo
	v_cmp_gt_i32_e32 vcc_lo, v1, v6
	s_cselect_b32 s2, 1, 2
	s_cselect_b32 s3, 2, 1
	v_cndmask_b32_e64 v3, 0, 1, vcc_lo
	v_cmp_gt_i32_e32 vcc_lo, v1, v5
	v_lshlrev_b32_e32 v5, 2, v0
	ds_load_2addr_b32 v[34:35], v64 offset0:32 offset1:33
	ds_load_2addr_b32 v[36:37], v64 offset0:34 offset1:35
	ds_load_2addr_b32 v[38:39], v64 offset0:36 offset1:37
	ds_load_2addr_b32 v[40:41], v64 offset0:38 offset1:39
	ds_load_2addr_b32 v[42:43], v64 offset0:40 offset1:41
	ds_load_2addr_b32 v[44:45], v64 offset0:42 offset1:43
	ds_load_2addr_b32 v[46:47], v64 offset0:44 offset1:45
	ds_load_2addr_b32 v[48:49], v64 offset0:46 offset1:47
	ds_load_2addr_b32 v[50:51], v64 offset0:48 offset1:49
	ds_load_2addr_b32 v[52:53], v64 offset0:50 offset1:51
	ds_load_2addr_b32 v[54:55], v64 offset0:52 offset1:53
	ds_load_2addr_b32 v[56:57], v64 offset0:54 offset1:55
	ds_load_2addr_b32 v[58:59], v64 offset0:56 offset1:57
	ds_load_2addr_b32 v[60:61], v64 offset0:58 offset1:59
	ds_load_2addr_b32 v[62:63], v64 offset0:60 offset1:61
	ds_load_2addr_b32 v[64:65], v64 offset0:62 offset1:63
	v_lshlrev_b32_e32 v0, 6, v0
	v_add_co_ci_u32_e32 v2, vcc_lo, v2, v4, vcc_lo
	v_cmp_gt_i32_e32 vcc_lo, v1, v8
	s_delay_alu instid0(VALU_DEP_3)
	v_add_nc_u32_e32 v6, 0, v0
	v_add3_u32 v0, 0, 0x100, v0
	v_cndmask_b32_e64 v4, 0, 1, vcc_lo
	v_cmp_gt_i32_e32 vcc_lo, v1, v7
	v_add_co_ci_u32_e32 v2, vcc_lo, v2, v3, vcc_lo
	v_cmp_gt_i32_e32 vcc_lo, v1, v10
	v_cndmask_b32_e64 v3, 0, 1, vcc_lo
	v_cmp_gt_i32_e32 vcc_lo, v1, v9
	s_delay_alu instid0(VALU_DEP_4) | instskip(SKIP_3) | instid1(VALU_DEP_4)
	v_add_co_ci_u32_e32 v2, vcc_lo, v2, v4, vcc_lo
	v_cmp_gt_i32_e32 vcc_lo, v1, v12
	v_cndmask_b32_e64 v4, 0, 1, vcc_lo
	v_cmp_gt_i32_e32 vcc_lo, v1, v11
	v_add_co_ci_u32_e32 v2, vcc_lo, v2, v3, vcc_lo
	v_cmp_gt_i32_e32 vcc_lo, v1, v14
	v_cndmask_b32_e64 v3, 0, 1, vcc_lo
	v_cmp_gt_i32_e32 vcc_lo, v1, v13
	s_delay_alu instid0(VALU_DEP_4) | instskip(SKIP_3) | instid1(VALU_DEP_4)
	v_add_co_ci_u32_e32 v2, vcc_lo, v2, v4, vcc_lo
	v_cmp_gt_i32_e32 vcc_lo, v1, v16
	;; [unrolled: 9-line block ×3, first 2 shown]
	v_cndmask_b32_e64 v4, 0, 1, vcc_lo
	v_cmp_gt_i32_e32 vcc_lo, v1, v19
	v_add_co_ci_u32_e32 v2, vcc_lo, v2, v3, vcc_lo
	v_cmp_gt_i32_e32 vcc_lo, v1, v22
	v_add_nc_u32_e32 v22, s14, v1
	v_cndmask_b32_e64 v3, 0, 1, vcc_lo
	v_cmp_gt_i32_e32 vcc_lo, v1, v21
	v_add_co_ci_u32_e32 v2, vcc_lo, v2, v4, vcc_lo
	v_cmp_gt_i32_e32 vcc_lo, v1, v24
	v_cndmask_b32_e64 v4, 0, 1, vcc_lo
	v_cmp_gt_i32_e32 vcc_lo, v1, v23
	s_delay_alu instid0(VALU_DEP_4) | instskip(SKIP_3) | instid1(VALU_DEP_4)
	v_add_co_ci_u32_e32 v2, vcc_lo, v2, v3, vcc_lo
	v_cmp_gt_i32_e32 vcc_lo, v1, v26
	v_cndmask_b32_e64 v3, 0, 1, vcc_lo
	v_cmp_gt_i32_e32 vcc_lo, v1, v25
	v_add_co_ci_u32_e32 v2, vcc_lo, v2, v4, vcc_lo
	v_cmp_gt_i32_e32 vcc_lo, v1, v28
	v_cndmask_b32_e64 v4, 0, 1, vcc_lo
	v_cmp_gt_i32_e32 vcc_lo, v1, v27
	s_delay_alu instid0(VALU_DEP_4) | instskip(SKIP_3) | instid1(VALU_DEP_4)
	v_add_co_ci_u32_e32 v2, vcc_lo, v2, v3, vcc_lo
	v_cmp_gt_i32_e32 vcc_lo, v1, v30
	v_cndmask_b32_e64 v3, 0, 1, vcc_lo
	v_cmp_gt_i32_e32 vcc_lo, v1, v29
	v_add_co_ci_u32_e32 v2, vcc_lo, v2, v4, vcc_lo
	v_cmp_gt_i32_e32 vcc_lo, v1, v32
	v_cndmask_b32_e64 v4, 0, 1, vcc_lo
	v_cmp_gt_i32_e32 vcc_lo, v1, v31
	s_delay_alu instid0(VALU_DEP_4)
	v_add_co_ci_u32_e32 v2, vcc_lo, v2, v3, vcc_lo
	s_waitcnt lgkmcnt(15)
	v_cmp_gt_i32_e32 vcc_lo, v1, v34
	v_cndmask_b32_e64 v3, 0, 1, vcc_lo
	v_cmp_gt_i32_e32 vcc_lo, v1, v33
	v_add_co_ci_u32_e32 v2, vcc_lo, v2, v4, vcc_lo
	s_waitcnt lgkmcnt(14)
	v_cmp_gt_i32_e32 vcc_lo, v1, v36
	v_cndmask_b32_e64 v4, 0, 1, vcc_lo
	v_cmp_gt_i32_e32 vcc_lo, v1, v35
	;; [unrolled: 5-line block ×16, first 2 shown]
	v_add_co_ci_u32_e32 v2, vcc_lo, v2, v3, vcc_lo
	v_cmp_gt_i32_e32 vcc_lo, v1, v65
	s_delay_alu instid0(VALU_DEP_2) | instskip(SKIP_2) | instid1(VALU_DEP_3)
	v_add_co_ci_u32_e32 v2, vcc_lo, v2, v4, vcc_lo
	v_or_b32_e32 v4, s2, v5
	v_or_b32_e32 v5, s3, v5
	v_ashrrev_i32_e32 v3, 31, v2
	v_lshlrev_b32_e32 v18, 2, v2
	s_delay_alu instid0(VALU_DEP_4) | instskip(NEXT) | instid1(VALU_DEP_4)
	v_lshl_add_u32 v7, v4, 4, 0
	v_lshl_add_u32 v10, v5, 4, 0
	s_delay_alu instid0(VALU_DEP_4)
	v_lshlrev_b64 v[20:21], 2, v[2:3]
	ds_load_2addr_b64 v[2:5], v6 offset0:32 offset1:33
	ds_load_2addr_b64 v[6:9], v7 offset0:32 offset1:33
	;; [unrolled: 1-line block ×4, first 2 shown]
	v_ashrrev_i32_e32 v19, 31, v18
	s_delay_alu instid0(VALU_DEP_1) | instskip(SKIP_2) | instid1(VALU_DEP_3)
	v_lshlrev_b64 v[0:1], 4, v[18:19]
	v_add_co_u32 v18, vcc_lo, s6, v20
	v_add_co_ci_u32_e32 v19, vcc_lo, s7, v21, vcc_lo
	v_add_co_u32 v0, vcc_lo, s0, v0
	s_delay_alu instid0(VALU_DEP_4)
	v_add_co_ci_u32_e32 v1, vcc_lo, s1, v1, vcc_lo
	global_store_b32 v[18:19], v22, off
	s_waitcnt lgkmcnt(3)
	global_store_b128 v[0:1], v[2:5], off
	s_waitcnt lgkmcnt(2)
	global_store_b128 v[0:1], v[6:9], off offset:16
	s_waitcnt lgkmcnt(1)
	global_store_b128 v[0:1], v[10:13], off offset:32
	;; [unrolled: 2-line block ×3, first 2 shown]
.LBB68_188:
	s_nop 0
	s_sendmsg sendmsg(MSG_DEALLOC_VGPRS)
	s_endpgm
	.section	.rodata,"a",@progbits
	.p2align	6, 0x0
	.amdhsa_kernel _ZN9rocsparseL30bsrgemm_fill_block_per_row_2x2ILj256ELj16ELj64ELj137Eii21rocsparse_complex_numIdEEEv20rocsparse_direction_T4_S4_PKS4_S6_NS_24const_host_device_scalarIT5_EEPKT3_S6_PKS8_SC_S6_SE_S9_SC_S6_SE_SC_PS4_PS8_21rocsparse_index_base_SH_SH_SH_bbb
		.amdhsa_group_segment_fixed_size 0
		.amdhsa_private_segment_fixed_size 24
		.amdhsa_kernarg_size 180
		.amdhsa_user_sgpr_count 15
		.amdhsa_user_sgpr_dispatch_ptr 0
		.amdhsa_user_sgpr_queue_ptr 0
		.amdhsa_user_sgpr_kernarg_segment_ptr 1
		.amdhsa_user_sgpr_dispatch_id 0
		.amdhsa_user_sgpr_private_segment_size 0
		.amdhsa_wavefront_size32 1
		.amdhsa_uses_dynamic_stack 0
		.amdhsa_enable_private_segment 1
		.amdhsa_system_sgpr_workgroup_id_x 1
		.amdhsa_system_sgpr_workgroup_id_y 0
		.amdhsa_system_sgpr_workgroup_id_z 0
		.amdhsa_system_sgpr_workgroup_info 0
		.amdhsa_system_vgpr_workitem_id 0
		.amdhsa_next_free_vgpr 66
		.amdhsa_next_free_sgpr 36
		.amdhsa_reserve_vcc 1
		.amdhsa_float_round_mode_32 0
		.amdhsa_float_round_mode_16_64 0
		.amdhsa_float_denorm_mode_32 3
		.amdhsa_float_denorm_mode_16_64 3
		.amdhsa_dx10_clamp 1
		.amdhsa_ieee_mode 1
		.amdhsa_fp16_overflow 0
		.amdhsa_workgroup_processor_mode 1
		.amdhsa_memory_ordered 1
		.amdhsa_forward_progress 0
		.amdhsa_shared_vgpr_count 0
		.amdhsa_exception_fp_ieee_invalid_op 0
		.amdhsa_exception_fp_denorm_src 0
		.amdhsa_exception_fp_ieee_div_zero 0
		.amdhsa_exception_fp_ieee_overflow 0
		.amdhsa_exception_fp_ieee_underflow 0
		.amdhsa_exception_fp_ieee_inexact 0
		.amdhsa_exception_int_div_zero 0
	.end_amdhsa_kernel
	.section	.text._ZN9rocsparseL30bsrgemm_fill_block_per_row_2x2ILj256ELj16ELj64ELj137Eii21rocsparse_complex_numIdEEEv20rocsparse_direction_T4_S4_PKS4_S6_NS_24const_host_device_scalarIT5_EEPKT3_S6_PKS8_SC_S6_SE_S9_SC_S6_SE_SC_PS4_PS8_21rocsparse_index_base_SH_SH_SH_bbb,"axG",@progbits,_ZN9rocsparseL30bsrgemm_fill_block_per_row_2x2ILj256ELj16ELj64ELj137Eii21rocsparse_complex_numIdEEEv20rocsparse_direction_T4_S4_PKS4_S6_NS_24const_host_device_scalarIT5_EEPKT3_S6_PKS8_SC_S6_SE_S9_SC_S6_SE_SC_PS4_PS8_21rocsparse_index_base_SH_SH_SH_bbb,comdat
.Lfunc_end68:
	.size	_ZN9rocsparseL30bsrgemm_fill_block_per_row_2x2ILj256ELj16ELj64ELj137Eii21rocsparse_complex_numIdEEEv20rocsparse_direction_T4_S4_PKS4_S6_NS_24const_host_device_scalarIT5_EEPKT3_S6_PKS8_SC_S6_SE_S9_SC_S6_SE_SC_PS4_PS8_21rocsparse_index_base_SH_SH_SH_bbb, .Lfunc_end68-_ZN9rocsparseL30bsrgemm_fill_block_per_row_2x2ILj256ELj16ELj64ELj137Eii21rocsparse_complex_numIdEEEv20rocsparse_direction_T4_S4_PKS4_S6_NS_24const_host_device_scalarIT5_EEPKT3_S6_PKS8_SC_S6_SE_S9_SC_S6_SE_SC_PS4_PS8_21rocsparse_index_base_SH_SH_SH_bbb
                                        ; -- End function
	.section	.AMDGPU.csdata,"",@progbits
; Kernel info:
; codeLenInByte = 7736
; NumSgprs: 38
; NumVgprs: 66
; ScratchSize: 24
; MemoryBound: 0
; FloatMode: 240
; IeeeMode: 1
; LDSByteSize: 0 bytes/workgroup (compile time only)
; SGPRBlocks: 4
; VGPRBlocks: 8
; NumSGPRsForWavesPerEU: 38
; NumVGPRsForWavesPerEU: 66
; Occupancy: 16
; WaveLimiterHint : 1
; COMPUTE_PGM_RSRC2:SCRATCH_EN: 1
; COMPUTE_PGM_RSRC2:USER_SGPR: 15
; COMPUTE_PGM_RSRC2:TRAP_HANDLER: 0
; COMPUTE_PGM_RSRC2:TGID_X_EN: 1
; COMPUTE_PGM_RSRC2:TGID_Y_EN: 0
; COMPUTE_PGM_RSRC2:TGID_Z_EN: 0
; COMPUTE_PGM_RSRC2:TIDIG_COMP_CNT: 0
	.section	.text._ZN9rocsparseL30bsrgemm_fill_block_per_row_2x2ILj256ELj16ELj128ELj137Eii21rocsparse_complex_numIdEEEv20rocsparse_direction_T4_S4_PKS4_S6_NS_24const_host_device_scalarIT5_EEPKT3_S6_PKS8_SC_S6_SE_S9_SC_S6_SE_SC_PS4_PS8_21rocsparse_index_base_SH_SH_SH_bbb,"axG",@progbits,_ZN9rocsparseL30bsrgemm_fill_block_per_row_2x2ILj256ELj16ELj128ELj137Eii21rocsparse_complex_numIdEEEv20rocsparse_direction_T4_S4_PKS4_S6_NS_24const_host_device_scalarIT5_EEPKT3_S6_PKS8_SC_S6_SE_S9_SC_S6_SE_SC_PS4_PS8_21rocsparse_index_base_SH_SH_SH_bbb,comdat
	.globl	_ZN9rocsparseL30bsrgemm_fill_block_per_row_2x2ILj256ELj16ELj128ELj137Eii21rocsparse_complex_numIdEEEv20rocsparse_direction_T4_S4_PKS4_S6_NS_24const_host_device_scalarIT5_EEPKT3_S6_PKS8_SC_S6_SE_S9_SC_S6_SE_SC_PS4_PS8_21rocsparse_index_base_SH_SH_SH_bbb ; -- Begin function _ZN9rocsparseL30bsrgemm_fill_block_per_row_2x2ILj256ELj16ELj128ELj137Eii21rocsparse_complex_numIdEEEv20rocsparse_direction_T4_S4_PKS4_S6_NS_24const_host_device_scalarIT5_EEPKT3_S6_PKS8_SC_S6_SE_S9_SC_S6_SE_SC_PS4_PS8_21rocsparse_index_base_SH_SH_SH_bbb
	.p2align	8
	.type	_ZN9rocsparseL30bsrgemm_fill_block_per_row_2x2ILj256ELj16ELj128ELj137Eii21rocsparse_complex_numIdEEEv20rocsparse_direction_T4_S4_PKS4_S6_NS_24const_host_device_scalarIT5_EEPKT3_S6_PKS8_SC_S6_SE_S9_SC_S6_SE_SC_PS4_PS8_21rocsparse_index_base_SH_SH_SH_bbb,@function
_ZN9rocsparseL30bsrgemm_fill_block_per_row_2x2ILj256ELj16ELj128ELj137Eii21rocsparse_complex_numIdEEEv20rocsparse_direction_T4_S4_PKS4_S6_NS_24const_host_device_scalarIT5_EEPKT3_S6_PKS8_SC_S6_SE_S9_SC_S6_SE_SC_PS4_PS8_21rocsparse_index_base_SH_SH_SH_bbb: ; @_ZN9rocsparseL30bsrgemm_fill_block_per_row_2x2ILj256ELj16ELj128ELj137Eii21rocsparse_complex_numIdEEEv20rocsparse_direction_T4_S4_PKS4_S6_NS_24const_host_device_scalarIT5_EEPKT3_S6_PKS8_SC_S6_SE_S9_SC_S6_SE_SC_PS4_PS8_21rocsparse_index_base_SH_SH_SH_bbb
; %bb.0:
	s_clause 0x2
	s_load_b32 s12, s[0:1], 0xb0
	s_load_b128 s[8:11], s[0:1], 0x20
	s_load_b128 s[4:7], s[0:1], 0x60
	v_mov_b32_e32 v17, 0
	v_mov_b32_e32 v18, 0
	s_mov_b32 s34, s15
	s_waitcnt lgkmcnt(0)
	s_bitcmp1_b32 s12, 0
	v_mov_b32_e32 v1, s8
	s_cselect_b32 s35, -1, 0
	s_bitcmp1_b32 s12, 16
	v_dual_mov_b32 v22, v18 :: v_dual_mov_b32 v21, v17
	s_cselect_b32 s2, -1, 0
	v_mov_b32_e32 v2, s9
	s_xor_b32 s3, s2, -1
	v_dual_mov_b32 v24, v18 :: v_dual_mov_b32 v23, v17
	v_cndmask_b32_e64 v5, 0, 1, s3
	v_dual_mov_b32 v3, s4 :: v_dual_mov_b32 v4, s5
	s_bitcmp0_b32 s12, 0
	s_clause 0x1
	scratch_store_b64 off, v[1:2], off
	scratch_store_b64 off, v[3:4], off offset:8
	v_cmp_ne_u32_e32 vcc_lo, 1, v5
	s_cbranch_scc1 .LBB69_3
; %bb.1:
	s_mov_b64 s[14:15], src_private_base
	s_and_b32 s13, s2, exec_lo
	s_cselect_b32 s13, s15, s9
	s_delay_alu instid0(SALU_CYCLE_1) | instskip(SKIP_2) | instid1(VALU_DEP_2)
	v_dual_mov_b32 v1, 0 :: v_dual_mov_b32 v2, s13
	v_dual_mov_b32 v24, s11 :: v_dual_mov_b32 v23, s10
	s_and_b32 vcc_lo, exec_lo, vcc_lo
	v_cndmask_b32_e64 v1, s8, v1, s2
	flat_load_b64 v[21:22], v[1:2]
	s_cbranch_vccnz .LBB69_3
; %bb.2:
	v_dual_mov_b32 v1, s8 :: v_dual_mov_b32 v2, s9
	flat_load_b64 v[23:24], v[1:2] offset:8
.LBB69_3:
	s_bitcmp1_b32 s12, 8
	v_dual_mov_b32 v20, v18 :: v_dual_mov_b32 v19, v17
	s_cselect_b32 s33, -1, 0
	s_bfe_u32 s8, s12, 0x10008
	s_delay_alu instid0(SALU_CYCLE_1)
	s_cmp_eq_u32 s8, 0
	s_cbranch_scc1 .LBB69_6
; %bb.4:
	s_mov_b64 s[8:9], src_private_base
	s_and_b32 s8, s2, exec_lo
	s_cselect_b32 s8, s9, s5
	s_delay_alu instid0(SALU_CYCLE_1) | instskip(SKIP_2) | instid1(VALU_DEP_2)
	v_dual_mov_b32 v1, 8 :: v_dual_mov_b32 v2, s8
	v_dual_mov_b32 v18, s7 :: v_dual_mov_b32 v17, s6
	s_and_not1_b32 vcc_lo, exec_lo, s3
	v_cndmask_b32_e64 v1, s4, v1, s2
	flat_load_b64 v[19:20], v[1:2]
	s_cbranch_vccnz .LBB69_6
; %bb.5:
	v_dual_mov_b32 v1, s4 :: v_dual_mov_b32 v2, s5
	flat_load_b64 v[17:18], v[1:2] offset:8
.LBB69_6:
	s_clause 0x1
	s_load_b128 s[20:23], s[0:1], 0xa0
	s_load_b32 s3, s[0:1], 0x8
	v_cmp_gt_u32_e64 s2, 0x80, v0
	v_lshl_add_u32 v50, v0, 2, 0
	s_delay_alu instid0(VALU_DEP_2)
	s_and_saveexec_b32 s4, s2
	s_cbranch_execz .LBB69_8
; %bb.7:
	s_waitcnt lgkmcnt(0)
	v_mov_b32_e32 v1, s3
	ds_store_b32 v50, v1
.LBB69_8:
	s_or_b32 exec_lo, exec_lo, s4
	s_clause 0x4
	s_load_b128 s[24:27], s[0:1], 0x90
	s_load_b256 s[4:11], s[0:1], 0x70
	s_load_b128 s[28:31], s[0:1], 0x50
	s_load_b128 s[36:39], s[0:1], 0x10
	s_load_b256 s[12:19], s[0:1], 0x30
	s_mov_b32 s42, exec_lo
	v_cmpx_gt_u32_e32 0x200, v0
	s_cbranch_execz .LBB69_11
; %bb.9:
	s_mov_b32 s40, 0
	v_or_b32_e32 v5, 0xffffff00, v0
	s_mov_b32 s41, s40
	v_lshlrev_b32_e32 v1, 4, v0
	s_mov_b32 s44, s40
	s_mov_b32 s45, s40
	s_delay_alu instid0(SALU_CYCLE_1) | instskip(NEXT) | instid1(VALU_DEP_2)
	v_dual_mov_b32 v3, s44 :: v_dual_mov_b32 v4, s45
	v_add3_u32 v6, v1, 0, 0x200
	v_dual_mov_b32 v1, s40 :: v_dual_mov_b32 v2, s41
.LBB69_10:                              ; =>This Inner Loop Header: Depth=1
	v_add_co_u32 v5, s41, 0x100, v5
	s_delay_alu instid0(VALU_DEP_1) | instskip(SKIP_3) | instid1(SALU_CYCLE_1)
	s_xor_b32 s41, s41, -1
	ds_store_2addr_b64 v6, v[1:2], v[3:4] offset1:1
	v_add_nc_u32_e32 v6, 0x1000, v6
	s_and_b32 s41, exec_lo, s41
	s_or_b32 s40, s41, s40
	s_delay_alu instid0(SALU_CYCLE_1)
	s_and_not1_b32 exec_lo, exec_lo, s40
	s_cbranch_execnz .LBB69_10
.LBB69_11:
	s_or_b32 exec_lo, exec_lo, s42
	s_waitcnt lgkmcnt(0)
	s_cmp_lg_u64 s[38:39], 0
	s_waitcnt vmcnt(0)
	s_waitcnt_vscnt null, 0x0
	s_barrier
	buffer_gl0_inv
	s_cbranch_scc0 .LBB69_13
; %bb.12:
	s_load_b32 s36, s[36:37], 0x0
	s_mov_b32 s37, 0
	s_waitcnt lgkmcnt(0)
	s_add_i32 s36, s36, s34
	s_delay_alu instid0(SALU_CYCLE_1) | instskip(NEXT) | instid1(SALU_CYCLE_1)
	s_lshl_b64 s[36:37], s[36:37], 2
	s_add_u32 s36, s38, s36
	s_addc_u32 s37, s39, s37
	s_load_b32 s34, s[36:37], 0x0
.LBB69_13:
	s_load_b32 s0, s[0:1], 0x0
	s_and_not1_b32 vcc_lo, exec_lo, s35
	s_waitcnt lgkmcnt(0)
	s_ashr_i32 s35, s34, 31
	s_cbranch_vccnz .LBB69_101
; %bb.14:
	s_lshl_b64 s[36:37], s[34:35], 2
	v_lshrrev_b32_e32 v1, 4, v0
	s_add_u32 s12, s12, s36
	s_addc_u32 s13, s13, s37
	s_load_b64 s[12:13], s[12:13], 0x0
	s_delay_alu instid0(VALU_DEP_1) | instskip(SKIP_1) | instid1(VALU_DEP_1)
	v_subrev_nc_u32_e32 v1, s20, v1
	s_waitcnt lgkmcnt(0)
	v_add_nc_u32_e32 v25, s12, v1
	s_sub_i32 s1, s13, s20
	s_mov_b32 s12, exec_lo
	s_delay_alu instid0(VALU_DEP_1)
	v_cmpx_gt_i32_e64 s1, v25
	s_cbranch_execz .LBB69_100
; %bb.15:
	v_and_b32_e32 v1, 15, v0
	s_cmp_eq_u32 s0, 0
	s_mov_b32 s13, 0
	s_cselect_b32 s36, 1, 2
	s_cselect_b32 s37, 2, 1
	v_subrev_nc_u32_e32 v51, s21, v1
	s_branch .LBB69_17
.LBB69_16:                              ;   in Loop: Header=BB69_17 Depth=1
	s_or_b32 exec_lo, exec_lo, s38
	v_add_nc_u32_e32 v25, 16, v25
	s_delay_alu instid0(VALU_DEP_1) | instskip(SKIP_1) | instid1(SALU_CYCLE_1)
	v_cmp_le_i32_e32 vcc_lo, s1, v25
	s_or_b32 s13, vcc_lo, s13
	s_and_not1_b32 exec_lo, exec_lo, s13
	s_cbranch_execz .LBB69_100
.LBB69_17:                              ; =>This Loop Header: Depth=1
                                        ;     Child Loop BB69_20 Depth 2
                                        ;       Child Loop BB69_22 Depth 3
                                        ;         Child Loop BB69_28 Depth 4
                                        ;         Child Loop BB69_30 Depth 4
                                        ;         Child Loop BB69_36 Depth 4
                                        ;         Child Loop BB69_38 Depth 4
                                        ;       Child Loop BB69_42 Depth 3
                                        ;         Child Loop BB69_48 Depth 4
                                        ;         Child Loop BB69_50 Depth 4
                                        ;         Child Loop BB69_56 Depth 4
                                        ;         Child Loop BB69_58 Depth 4
	;; [unrolled: 5-line block ×4, first 2 shown]
	v_ashrrev_i32_e32 v26, 31, v25
	s_mov_b32 s38, exec_lo
	s_delay_alu instid0(VALU_DEP_1) | instskip(NEXT) | instid1(VALU_DEP_1)
	v_lshlrev_b64 v[1:2], 2, v[25:26]
	v_add_co_u32 v1, vcc_lo, s14, v1
	s_delay_alu instid0(VALU_DEP_2) | instskip(SKIP_3) | instid1(VALU_DEP_1)
	v_add_co_ci_u32_e32 v2, vcc_lo, s15, v2, vcc_lo
	global_load_b32 v1, v[1:2], off
	s_waitcnt vmcnt(0)
	v_subrev_nc_u32_e32 v1, s20, v1
	v_ashrrev_i32_e32 v2, 31, v1
	s_delay_alu instid0(VALU_DEP_1) | instskip(NEXT) | instid1(VALU_DEP_1)
	v_lshlrev_b64 v[1:2], 2, v[1:2]
	v_add_co_u32 v1, vcc_lo, s18, v1
	s_delay_alu instid0(VALU_DEP_2) | instskip(SKIP_4) | instid1(VALU_DEP_1)
	v_add_co_ci_u32_e32 v2, vcc_lo, s19, v2, vcc_lo
	global_load_b64 v[1:2], v[1:2], off
	s_waitcnt vmcnt(0)
	v_subrev_nc_u32_e32 v52, s21, v2
	v_add_nc_u32_e32 v26, v1, v51
	v_cmpx_lt_i32_e64 v26, v52
	s_cbranch_execz .LBB69_16
; %bb.18:                               ;   in Loop: Header=BB69_17 Depth=1
	v_lshlrev_b32_e32 v1, 2, v25
	s_mov_b32 s39, 0
	s_delay_alu instid0(VALU_DEP_1) | instskip(SKIP_2) | instid1(VALU_DEP_3)
	v_or_b32_e32 v3, s36, v1
	v_ashrrev_i32_e32 v2, 31, v1
	v_or_b32_e32 v5, s37, v1
	v_ashrrev_i32_e32 v4, 31, v3
	s_delay_alu instid0(VALU_DEP_3) | instskip(NEXT) | instid1(VALU_DEP_3)
	v_lshlrev_b64 v[1:2], 4, v[1:2]
	v_ashrrev_i32_e32 v6, 31, v5
	s_delay_alu instid0(VALU_DEP_3) | instskip(NEXT) | instid1(VALU_DEP_3)
	v_lshlrev_b64 v[9:10], 4, v[3:4]
	v_add_co_u32 v7, vcc_lo, s16, v1
	s_delay_alu instid0(VALU_DEP_3) | instskip(SKIP_1) | instid1(VALU_DEP_4)
	v_lshlrev_b64 v[5:6], 4, v[5:6]
	v_add_co_ci_u32_e32 v8, vcc_lo, s17, v2, vcc_lo
	v_add_co_u32 v9, vcc_lo, s16, v9
	v_add_co_ci_u32_e32 v10, vcc_lo, s17, v10, vcc_lo
	s_delay_alu instid0(VALU_DEP_4)
	v_add_co_u32 v13, vcc_lo, s16, v5
	v_add_co_ci_u32_e32 v14, vcc_lo, s17, v6, vcc_lo
	s_clause 0x3
	global_load_b128 v[1:4], v[7:8], off
	global_load_b128 v[5:8], v[7:8], off offset:48
	global_load_b128 v[9:12], v[9:10], off
	global_load_b128 v[13:16], v[13:14], off
	s_waitcnt vmcnt(2)
	v_mul_f64 v[32:33], v[7:8], -v[23:24]
	v_mul_f64 v[27:28], v[3:4], -v[23:24]
	v_mul_f64 v[3:4], v[21:22], v[3:4]
	v_mul_f64 v[7:8], v[21:22], v[7:8]
	s_waitcnt vmcnt(1)
	v_mul_f64 v[36:37], v[11:12], -v[23:24]
	v_mul_f64 v[11:12], v[21:22], v[11:12]
	s_waitcnt vmcnt(0)
	v_mul_f64 v[40:41], v[15:16], -v[23:24]
	v_mul_f64 v[15:16], v[21:22], v[15:16]
	v_fma_f64 v[32:33], v[21:22], v[5:6], v[32:33]
	v_fma_f64 v[28:29], v[21:22], v[1:2], v[27:28]
	;; [unrolled: 1-line block ×8, first 2 shown]
	s_branch .LBB69_20
.LBB69_19:                              ;   in Loop: Header=BB69_20 Depth=2
	s_or_b32 exec_lo, exec_lo, s40
	v_add_nc_u32_e32 v26, 16, v26
	s_delay_alu instid0(VALU_DEP_1) | instskip(SKIP_1) | instid1(SALU_CYCLE_1)
	v_cmp_ge_i32_e32 vcc_lo, v26, v52
	s_or_b32 s39, vcc_lo, s39
	s_and_not1_b32 exec_lo, exec_lo, s39
	s_cbranch_execz .LBB69_16
.LBB69_20:                              ;   Parent Loop BB69_17 Depth=1
                                        ; =>  This Loop Header: Depth=2
                                        ;       Child Loop BB69_22 Depth 3
                                        ;         Child Loop BB69_28 Depth 4
                                        ;         Child Loop BB69_30 Depth 4
                                        ;         Child Loop BB69_36 Depth 4
                                        ;         Child Loop BB69_38 Depth 4
                                        ;       Child Loop BB69_42 Depth 3
                                        ;         Child Loop BB69_48 Depth 4
                                        ;         Child Loop BB69_50 Depth 4
                                        ;         Child Loop BB69_56 Depth 4
                                        ;         Child Loop BB69_58 Depth 4
                                        ;       Child Loop BB69_62 Depth 3
                                        ;         Child Loop BB69_68 Depth 4
                                        ;         Child Loop BB69_70 Depth 4
                                        ;         Child Loop BB69_76 Depth 4
                                        ;         Child Loop BB69_78 Depth 4
                                        ;       Child Loop BB69_82 Depth 3
                                        ;         Child Loop BB69_88 Depth 4
                                        ;         Child Loop BB69_90 Depth 4
                                        ;         Child Loop BB69_96 Depth 4
                                        ;         Child Loop BB69_98 Depth 4
	v_lshlrev_b32_e32 v1, 2, v26
	v_ashrrev_i32_e32 v27, 31, v26
	s_mov_b32 s40, 0
	s_delay_alu instid0(VALU_DEP_2) | instskip(NEXT) | instid1(VALU_DEP_1)
	v_or_b32_e32 v2, s37, v1
	v_ashrrev_i32_e32 v3, 31, v2
	s_delay_alu instid0(VALU_DEP_1) | instskip(NEXT) | instid1(VALU_DEP_1)
	v_lshlrev_b64 v[2:3], 4, v[2:3]
	v_add_co_u32 v2, vcc_lo, s30, v2
	s_delay_alu instid0(VALU_DEP_2) | instskip(SKIP_2) | instid1(VALU_DEP_1)
	v_add_co_ci_u32_e32 v3, vcc_lo, s31, v3, vcc_lo
	global_load_b128 v[13:16], v[2:3], off
	v_ashrrev_i32_e32 v2, 31, v1
	v_lshlrev_b64 v[2:3], 4, v[1:2]
	s_delay_alu instid0(VALU_DEP_1) | instskip(NEXT) | instid1(VALU_DEP_2)
	v_add_co_u32 v5, vcc_lo, s30, v2
	v_add_co_ci_u32_e32 v6, vcc_lo, s31, v3, vcc_lo
	v_lshlrev_b64 v[2:3], 2, v[26:27]
	global_load_b128 v[9:12], v[5:6], off
	v_add_co_u32 v2, vcc_lo, s28, v2
	v_add_co_ci_u32_e32 v3, vcc_lo, s29, v3, vcc_lo
	global_load_b32 v27, v[2:3], off
	s_waitcnt vmcnt(2)
	v_mul_f64 v[44:45], v[15:16], -v[38:39]
	v_mul_f64 v[46:47], v[36:37], v[15:16]
	s_waitcnt vmcnt(0)
	v_subrev_nc_u32_e32 v27, s21, v27
	s_delay_alu instid0(VALU_DEP_1) | instskip(NEXT) | instid1(VALU_DEP_4)
	v_lshl_add_u32 v48, v27, 3, v27
	v_fma_f64 v[44:45], v[36:37], v[13:14], v[44:45]
	s_delay_alu instid0(VALU_DEP_2) | instskip(SKIP_1) | instid1(VALU_DEP_2)
	v_and_b32_e32 v53, 0x7f, v48
	v_fma_f64 v[46:47], v[38:39], v[13:14], v[46:47]
	v_mov_b32_e32 v54, v53
	v_or_b32_e32 v1, s36, v1
	s_delay_alu instid0(VALU_DEP_1) | instskip(NEXT) | instid1(VALU_DEP_1)
	v_ashrrev_i32_e32 v2, 31, v1
	v_lshlrev_b64 v[1:2], 4, v[1:2]
	s_delay_alu instid0(VALU_DEP_1) | instskip(NEXT) | instid1(VALU_DEP_2)
	v_add_co_u32 v1, vcc_lo, s30, v1
	v_add_co_ci_u32_e32 v2, vcc_lo, s31, v2, vcc_lo
	s_clause 0x1
	global_load_b128 v[1:4], v[1:2], off
	global_load_b128 v[5:8], v[5:6], off offset:48
	v_fma_f64 v[44:45], v[28:29], v[9:10], v[44:45]
	v_fma_f64 v[46:47], v[30:31], v[9:10], v[46:47]
	s_delay_alu instid0(VALU_DEP_2) | instskip(NEXT) | instid1(VALU_DEP_2)
	v_fma_f64 v[44:45], -v[30:31], v[11:12], v[44:45]
	v_fma_f64 v[46:47], v[28:29], v[11:12], v[46:47]
	s_branch .LBB69_22
.LBB69_21:                              ;   in Loop: Header=BB69_22 Depth=3
	s_or_b32 exec_lo, exec_lo, s41
	s_xor_b32 s41, s42, -1
	s_delay_alu instid0(SALU_CYCLE_1) | instskip(NEXT) | instid1(SALU_CYCLE_1)
	s_and_b32 s41, exec_lo, s41
	s_or_b32 s40, s41, s40
	s_delay_alu instid0(SALU_CYCLE_1)
	s_and_not1_b32 exec_lo, exec_lo, s40
	s_cbranch_execz .LBB69_40
.LBB69_22:                              ;   Parent Loop BB69_17 Depth=1
                                        ;     Parent Loop BB69_20 Depth=2
                                        ; =>    This Loop Header: Depth=3
                                        ;         Child Loop BB69_28 Depth 4
                                        ;         Child Loop BB69_30 Depth 4
	;; [unrolled: 1-line block ×4, first 2 shown]
	v_lshl_add_u32 v48, v54, 2, 0
	s_mov_b32 s41, exec_lo
                                        ; implicit-def: $sgpr42
	ds_load_b32 v49, v48
	s_waitcnt lgkmcnt(0)
	v_cmpx_ne_u32_e64 v49, v27
	s_xor_b32 s41, exec_lo, s41
	s_cbranch_execz .LBB69_34
; %bb.23:                               ;   in Loop: Header=BB69_22 Depth=3
	s_mov_b32 s43, exec_lo
                                        ; implicit-def: $sgpr42
	v_cmpx_ne_u32_e64 s3, v49
	s_xor_b32 s43, exec_lo, s43
; %bb.24:                               ;   in Loop: Header=BB69_22 Depth=3
	v_add_nc_u32_e32 v48, 1, v54
	s_mov_b32 s42, -1
	s_delay_alu instid0(VALU_DEP_1)
	v_and_b32_e32 v54, 0x7f, v48
                                        ; implicit-def: $vgpr48
; %bb.25:                               ;   in Loop: Header=BB69_22 Depth=3
	s_and_not1_saveexec_b32 s43, s43
	s_cbranch_execz .LBB69_33
; %bb.26:                               ;   in Loop: Header=BB69_22 Depth=3
	v_mov_b32_e32 v49, s3
	s_mov_b32 s45, -1
	s_mov_b32 s44, exec_lo
	ds_cmpstore_rtn_b32 v49, v48, v27, v49
	s_waitcnt lgkmcnt(0)
	v_cmpx_eq_u32_e64 s3, v49
	s_cbranch_execz .LBB69_32
; %bb.27:                               ;   in Loop: Header=BB69_22 Depth=3
	v_mul_lo_u32 v49, v54, 60
	s_mov_b32 s45, 0
	s_delay_alu instid0(VALU_DEP_1)
	v_add_nc_u32_e32 v55, v48, v49
	ds_load_b64 v[48:49], v55 offset:512
.LBB69_28:                              ;   Parent Loop BB69_17 Depth=1
                                        ;     Parent Loop BB69_20 Depth=2
                                        ;       Parent Loop BB69_22 Depth=3
                                        ; =>      This Inner Loop Header: Depth=4
	s_waitcnt lgkmcnt(0)
	v_add_f64 v[56:57], v[48:49], v[44:45]
	ds_cmpstore_rtn_b64 v[56:57], v55, v[56:57], v[48:49] offset:512
	s_waitcnt lgkmcnt(0)
	v_cmp_eq_u64_e32 vcc_lo, v[56:57], v[48:49]
	v_dual_mov_b32 v48, v56 :: v_dual_mov_b32 v49, v57
	s_or_b32 s45, vcc_lo, s45
	s_delay_alu instid0(SALU_CYCLE_1)
	s_and_not1_b32 exec_lo, exec_lo, s45
	s_cbranch_execnz .LBB69_28
; %bb.29:                               ;   in Loop: Header=BB69_22 Depth=3
	s_or_b32 exec_lo, exec_lo, s45
	ds_load_b64 v[48:49], v55 offset:520
	s_mov_b32 s45, 0
.LBB69_30:                              ;   Parent Loop BB69_17 Depth=1
                                        ;     Parent Loop BB69_20 Depth=2
                                        ;       Parent Loop BB69_22 Depth=3
                                        ; =>      This Inner Loop Header: Depth=4
	s_waitcnt lgkmcnt(0)
	v_add_f64 v[56:57], v[48:49], v[46:47]
	ds_cmpstore_rtn_b64 v[56:57], v55, v[56:57], v[48:49] offset:520
	s_waitcnt lgkmcnt(0)
	v_cmp_eq_u64_e32 vcc_lo, v[56:57], v[48:49]
	v_dual_mov_b32 v48, v56 :: v_dual_mov_b32 v49, v57
	s_or_b32 s45, vcc_lo, s45
	s_delay_alu instid0(SALU_CYCLE_1)
	s_and_not1_b32 exec_lo, exec_lo, s45
	s_cbranch_execnz .LBB69_30
; %bb.31:                               ;   in Loop: Header=BB69_22 Depth=3
	s_or_b32 exec_lo, exec_lo, s45
	s_delay_alu instid0(SALU_CYCLE_1)
	s_xor_b32 s45, exec_lo, -1
.LBB69_32:                              ;   in Loop: Header=BB69_22 Depth=3
	s_or_b32 exec_lo, exec_lo, s44
	s_delay_alu instid0(SALU_CYCLE_1) | instskip(SKIP_1) | instid1(SALU_CYCLE_1)
	s_and_not1_b32 s42, s42, exec_lo
	s_and_b32 s44, s45, exec_lo
	s_or_b32 s42, s42, s44
.LBB69_33:                              ;   in Loop: Header=BB69_22 Depth=3
	s_or_b32 exec_lo, exec_lo, s43
	s_delay_alu instid0(SALU_CYCLE_1)
	s_and_b32 s42, s42, exec_lo
                                        ; implicit-def: $vgpr48
.LBB69_34:                              ;   in Loop: Header=BB69_22 Depth=3
	s_and_not1_saveexec_b32 s41, s41
	s_cbranch_execz .LBB69_21
; %bb.35:                               ;   in Loop: Header=BB69_22 Depth=3
	v_mul_lo_u32 v49, v54, 60
	s_mov_b32 s43, 0
	s_delay_alu instid0(VALU_DEP_1)
	v_add_nc_u32_e32 v55, v48, v49
	ds_load_b64 v[48:49], v55 offset:512
.LBB69_36:                              ;   Parent Loop BB69_17 Depth=1
                                        ;     Parent Loop BB69_20 Depth=2
                                        ;       Parent Loop BB69_22 Depth=3
                                        ; =>      This Inner Loop Header: Depth=4
	s_waitcnt lgkmcnt(0)
	v_add_f64 v[56:57], v[48:49], v[44:45]
	ds_cmpstore_rtn_b64 v[56:57], v55, v[56:57], v[48:49] offset:512
	s_waitcnt lgkmcnt(0)
	v_cmp_eq_u64_e32 vcc_lo, v[56:57], v[48:49]
	v_dual_mov_b32 v48, v56 :: v_dual_mov_b32 v49, v57
	s_or_b32 s43, vcc_lo, s43
	s_delay_alu instid0(SALU_CYCLE_1)
	s_and_not1_b32 exec_lo, exec_lo, s43
	s_cbranch_execnz .LBB69_36
; %bb.37:                               ;   in Loop: Header=BB69_22 Depth=3
	s_or_b32 exec_lo, exec_lo, s43
	ds_load_b64 v[48:49], v55 offset:520
	s_mov_b32 s43, 0
.LBB69_38:                              ;   Parent Loop BB69_17 Depth=1
                                        ;     Parent Loop BB69_20 Depth=2
                                        ;       Parent Loop BB69_22 Depth=3
                                        ; =>      This Inner Loop Header: Depth=4
	s_waitcnt lgkmcnt(0)
	v_add_f64 v[56:57], v[48:49], v[46:47]
	ds_cmpstore_rtn_b64 v[56:57], v55, v[56:57], v[48:49] offset:520
	s_waitcnt lgkmcnt(0)
	v_cmp_eq_u64_e32 vcc_lo, v[56:57], v[48:49]
	v_dual_mov_b32 v48, v56 :: v_dual_mov_b32 v49, v57
	s_or_b32 s43, vcc_lo, s43
	s_delay_alu instid0(SALU_CYCLE_1)
	s_and_not1_b32 exec_lo, exec_lo, s43
	s_cbranch_execnz .LBB69_38
; %bb.39:                               ;   in Loop: Header=BB69_22 Depth=3
	s_or_b32 exec_lo, exec_lo, s43
	s_delay_alu instid0(SALU_CYCLE_1)
	s_and_not1_b32 s42, s42, exec_lo
	s_branch .LBB69_21
.LBB69_40:                              ;   in Loop: Header=BB69_20 Depth=2
	s_or_b32 exec_lo, exec_lo, s40
	s_waitcnt vmcnt(0)
	v_mul_f64 v[44:45], v[7:8], -v[38:39]
	v_mul_f64 v[46:47], v[36:37], v[7:8]
	v_mov_b32_e32 v54, v53
	s_mov_b32 s40, 0
	s_delay_alu instid0(VALU_DEP_3) | instskip(NEXT) | instid1(VALU_DEP_3)
	v_fma_f64 v[44:45], v[36:37], v[5:6], v[44:45]
	v_fma_f64 v[46:47], v[38:39], v[5:6], v[46:47]
	s_delay_alu instid0(VALU_DEP_2) | instskip(NEXT) | instid1(VALU_DEP_2)
	v_fma_f64 v[44:45], v[28:29], v[1:2], v[44:45]
	v_fma_f64 v[46:47], v[30:31], v[1:2], v[46:47]
	s_delay_alu instid0(VALU_DEP_2) | instskip(NEXT) | instid1(VALU_DEP_2)
	v_fma_f64 v[44:45], -v[30:31], v[3:4], v[44:45]
	v_fma_f64 v[46:47], v[28:29], v[3:4], v[46:47]
	s_branch .LBB69_42
.LBB69_41:                              ;   in Loop: Header=BB69_42 Depth=3
	s_or_b32 exec_lo, exec_lo, s41
	s_xor_b32 s41, s42, -1
	s_delay_alu instid0(SALU_CYCLE_1) | instskip(NEXT) | instid1(SALU_CYCLE_1)
	s_and_b32 s41, exec_lo, s41
	s_or_b32 s40, s41, s40
	s_delay_alu instid0(SALU_CYCLE_1)
	s_and_not1_b32 exec_lo, exec_lo, s40
	s_cbranch_execz .LBB69_60
.LBB69_42:                              ;   Parent Loop BB69_17 Depth=1
                                        ;     Parent Loop BB69_20 Depth=2
                                        ; =>    This Loop Header: Depth=3
                                        ;         Child Loop BB69_48 Depth 4
                                        ;         Child Loop BB69_50 Depth 4
	;; [unrolled: 1-line block ×4, first 2 shown]
	v_lshl_add_u32 v48, v54, 2, 0
	s_mov_b32 s41, exec_lo
                                        ; implicit-def: $sgpr42
	ds_load_b32 v49, v48
	s_waitcnt lgkmcnt(0)
	v_cmpx_ne_u32_e64 v49, v27
	s_xor_b32 s41, exec_lo, s41
	s_cbranch_execz .LBB69_54
; %bb.43:                               ;   in Loop: Header=BB69_42 Depth=3
	s_mov_b32 s43, exec_lo
                                        ; implicit-def: $sgpr42
	v_cmpx_ne_u32_e64 s3, v49
	s_xor_b32 s43, exec_lo, s43
; %bb.44:                               ;   in Loop: Header=BB69_42 Depth=3
	v_add_nc_u32_e32 v48, 1, v54
	s_mov_b32 s42, -1
	s_delay_alu instid0(VALU_DEP_1)
	v_and_b32_e32 v54, 0x7f, v48
                                        ; implicit-def: $vgpr48
; %bb.45:                               ;   in Loop: Header=BB69_42 Depth=3
	s_and_not1_saveexec_b32 s43, s43
	s_cbranch_execz .LBB69_53
; %bb.46:                               ;   in Loop: Header=BB69_42 Depth=3
	v_mov_b32_e32 v49, s3
	s_mov_b32 s45, -1
	s_mov_b32 s44, exec_lo
	ds_cmpstore_rtn_b32 v49, v48, v27, v49
	s_waitcnt lgkmcnt(0)
	v_cmpx_eq_u32_e64 s3, v49
	s_cbranch_execz .LBB69_52
; %bb.47:                               ;   in Loop: Header=BB69_42 Depth=3
	v_mul_lo_u32 v49, v54, 60
	s_mov_b32 s45, 0
	s_delay_alu instid0(VALU_DEP_1)
	v_add_nc_u32_e32 v55, v48, v49
	ds_load_b64 v[48:49], v55 offset:528
.LBB69_48:                              ;   Parent Loop BB69_17 Depth=1
                                        ;     Parent Loop BB69_20 Depth=2
                                        ;       Parent Loop BB69_42 Depth=3
                                        ; =>      This Inner Loop Header: Depth=4
	s_waitcnt lgkmcnt(0)
	v_add_f64 v[56:57], v[48:49], v[44:45]
	ds_cmpstore_rtn_b64 v[56:57], v55, v[56:57], v[48:49] offset:528
	s_waitcnt lgkmcnt(0)
	v_cmp_eq_u64_e32 vcc_lo, v[56:57], v[48:49]
	v_dual_mov_b32 v48, v56 :: v_dual_mov_b32 v49, v57
	s_or_b32 s45, vcc_lo, s45
	s_delay_alu instid0(SALU_CYCLE_1)
	s_and_not1_b32 exec_lo, exec_lo, s45
	s_cbranch_execnz .LBB69_48
; %bb.49:                               ;   in Loop: Header=BB69_42 Depth=3
	s_or_b32 exec_lo, exec_lo, s45
	ds_load_b64 v[48:49], v55 offset:536
	s_mov_b32 s45, 0
.LBB69_50:                              ;   Parent Loop BB69_17 Depth=1
                                        ;     Parent Loop BB69_20 Depth=2
                                        ;       Parent Loop BB69_42 Depth=3
                                        ; =>      This Inner Loop Header: Depth=4
	s_waitcnt lgkmcnt(0)
	v_add_f64 v[56:57], v[48:49], v[46:47]
	ds_cmpstore_rtn_b64 v[56:57], v55, v[56:57], v[48:49] offset:536
	s_waitcnt lgkmcnt(0)
	v_cmp_eq_u64_e32 vcc_lo, v[56:57], v[48:49]
	v_dual_mov_b32 v48, v56 :: v_dual_mov_b32 v49, v57
	s_or_b32 s45, vcc_lo, s45
	s_delay_alu instid0(SALU_CYCLE_1)
	s_and_not1_b32 exec_lo, exec_lo, s45
	s_cbranch_execnz .LBB69_50
; %bb.51:                               ;   in Loop: Header=BB69_42 Depth=3
	s_or_b32 exec_lo, exec_lo, s45
	s_delay_alu instid0(SALU_CYCLE_1)
	s_xor_b32 s45, exec_lo, -1
.LBB69_52:                              ;   in Loop: Header=BB69_42 Depth=3
	s_or_b32 exec_lo, exec_lo, s44
	s_delay_alu instid0(SALU_CYCLE_1) | instskip(SKIP_1) | instid1(SALU_CYCLE_1)
	s_and_not1_b32 s42, s42, exec_lo
	s_and_b32 s44, s45, exec_lo
	s_or_b32 s42, s42, s44
.LBB69_53:                              ;   in Loop: Header=BB69_42 Depth=3
	s_or_b32 exec_lo, exec_lo, s43
	s_delay_alu instid0(SALU_CYCLE_1)
	s_and_b32 s42, s42, exec_lo
                                        ; implicit-def: $vgpr48
.LBB69_54:                              ;   in Loop: Header=BB69_42 Depth=3
	s_and_not1_saveexec_b32 s41, s41
	s_cbranch_execz .LBB69_41
; %bb.55:                               ;   in Loop: Header=BB69_42 Depth=3
	v_mul_lo_u32 v49, v54, 60
	s_mov_b32 s43, 0
	s_delay_alu instid0(VALU_DEP_1)
	v_add_nc_u32_e32 v55, v48, v49
	ds_load_b64 v[48:49], v55 offset:528
.LBB69_56:                              ;   Parent Loop BB69_17 Depth=1
                                        ;     Parent Loop BB69_20 Depth=2
                                        ;       Parent Loop BB69_42 Depth=3
                                        ; =>      This Inner Loop Header: Depth=4
	s_waitcnt lgkmcnt(0)
	v_add_f64 v[56:57], v[48:49], v[44:45]
	ds_cmpstore_rtn_b64 v[56:57], v55, v[56:57], v[48:49] offset:528
	s_waitcnt lgkmcnt(0)
	v_cmp_eq_u64_e32 vcc_lo, v[56:57], v[48:49]
	v_dual_mov_b32 v48, v56 :: v_dual_mov_b32 v49, v57
	s_or_b32 s43, vcc_lo, s43
	s_delay_alu instid0(SALU_CYCLE_1)
	s_and_not1_b32 exec_lo, exec_lo, s43
	s_cbranch_execnz .LBB69_56
; %bb.57:                               ;   in Loop: Header=BB69_42 Depth=3
	s_or_b32 exec_lo, exec_lo, s43
	ds_load_b64 v[48:49], v55 offset:536
	s_mov_b32 s43, 0
.LBB69_58:                              ;   Parent Loop BB69_17 Depth=1
                                        ;     Parent Loop BB69_20 Depth=2
                                        ;       Parent Loop BB69_42 Depth=3
                                        ; =>      This Inner Loop Header: Depth=4
	s_waitcnt lgkmcnt(0)
	v_add_f64 v[56:57], v[48:49], v[46:47]
	ds_cmpstore_rtn_b64 v[56:57], v55, v[56:57], v[48:49] offset:536
	s_waitcnt lgkmcnt(0)
	v_cmp_eq_u64_e32 vcc_lo, v[56:57], v[48:49]
	v_dual_mov_b32 v48, v56 :: v_dual_mov_b32 v49, v57
	s_or_b32 s43, vcc_lo, s43
	s_delay_alu instid0(SALU_CYCLE_1)
	s_and_not1_b32 exec_lo, exec_lo, s43
	s_cbranch_execnz .LBB69_58
; %bb.59:                               ;   in Loop: Header=BB69_42 Depth=3
	s_or_b32 exec_lo, exec_lo, s43
	s_delay_alu instid0(SALU_CYCLE_1)
	s_and_not1_b32 s42, s42, exec_lo
	s_branch .LBB69_41
.LBB69_60:                              ;   in Loop: Header=BB69_20 Depth=2
	s_or_b32 exec_lo, exec_lo, s40
	v_mul_f64 v[44:45], v[15:16], -v[34:35]
	v_mul_f64 v[15:16], v[32:33], v[15:16]
	s_mov_b32 s40, 0
	s_delay_alu instid0(VALU_DEP_2) | instskip(NEXT) | instid1(VALU_DEP_2)
	v_fma_f64 v[44:45], v[32:33], v[13:14], v[44:45]
	v_fma_f64 v[13:14], v[34:35], v[13:14], v[15:16]
	s_delay_alu instid0(VALU_DEP_2) | instskip(NEXT) | instid1(VALU_DEP_2)
	v_fma_f64 v[15:16], v[40:41], v[9:10], v[44:45]
	v_fma_f64 v[13:14], v[42:43], v[9:10], v[13:14]
	s_delay_alu instid0(VALU_DEP_2) | instskip(NEXT) | instid1(VALU_DEP_2)
	v_fma_f64 v[9:10], -v[42:43], v[11:12], v[15:16]
	v_fma_f64 v[11:12], v[40:41], v[11:12], v[13:14]
	v_mov_b32_e32 v15, v53
	s_branch .LBB69_62
.LBB69_61:                              ;   in Loop: Header=BB69_62 Depth=3
	s_or_b32 exec_lo, exec_lo, s41
	s_xor_b32 s41, s42, -1
	s_delay_alu instid0(SALU_CYCLE_1) | instskip(NEXT) | instid1(SALU_CYCLE_1)
	s_and_b32 s41, exec_lo, s41
	s_or_b32 s40, s41, s40
	s_delay_alu instid0(SALU_CYCLE_1)
	s_and_not1_b32 exec_lo, exec_lo, s40
	s_cbranch_execz .LBB69_80
.LBB69_62:                              ;   Parent Loop BB69_17 Depth=1
                                        ;     Parent Loop BB69_20 Depth=2
                                        ; =>    This Loop Header: Depth=3
                                        ;         Child Loop BB69_68 Depth 4
                                        ;         Child Loop BB69_70 Depth 4
	;; [unrolled: 1-line block ×4, first 2 shown]
	s_delay_alu instid0(VALU_DEP_1)
	v_lshl_add_u32 v13, v15, 2, 0
	s_mov_b32 s41, exec_lo
                                        ; implicit-def: $sgpr42
	ds_load_b32 v14, v13
	s_waitcnt lgkmcnt(0)
	v_cmpx_ne_u32_e64 v14, v27
	s_xor_b32 s41, exec_lo, s41
	s_cbranch_execz .LBB69_74
; %bb.63:                               ;   in Loop: Header=BB69_62 Depth=3
	s_mov_b32 s43, exec_lo
                                        ; implicit-def: $sgpr42
	v_cmpx_ne_u32_e64 s3, v14
	s_xor_b32 s43, exec_lo, s43
; %bb.64:                               ;   in Loop: Header=BB69_62 Depth=3
	v_add_nc_u32_e32 v13, 1, v15
	s_mov_b32 s42, -1
	s_delay_alu instid0(VALU_DEP_1)
	v_and_b32_e32 v15, 0x7f, v13
                                        ; implicit-def: $vgpr13
; %bb.65:                               ;   in Loop: Header=BB69_62 Depth=3
	s_and_not1_saveexec_b32 s43, s43
	s_cbranch_execz .LBB69_73
; %bb.66:                               ;   in Loop: Header=BB69_62 Depth=3
	v_mov_b32_e32 v14, s3
	s_mov_b32 s45, -1
	s_mov_b32 s44, exec_lo
	ds_cmpstore_rtn_b32 v14, v13, v27, v14
	s_waitcnt lgkmcnt(0)
	v_cmpx_eq_u32_e64 s3, v14
	s_cbranch_execz .LBB69_72
; %bb.67:                               ;   in Loop: Header=BB69_62 Depth=3
	v_mul_lo_u32 v14, v15, 60
	s_mov_b32 s45, 0
	s_delay_alu instid0(VALU_DEP_1)
	v_add_nc_u32_e32 v16, v13, v14
	ds_load_b64 v[13:14], v16 offset:544
.LBB69_68:                              ;   Parent Loop BB69_17 Depth=1
                                        ;     Parent Loop BB69_20 Depth=2
                                        ;       Parent Loop BB69_62 Depth=3
                                        ; =>      This Inner Loop Header: Depth=4
	s_waitcnt lgkmcnt(0)
	v_add_f64 v[44:45], v[13:14], v[9:10]
	ds_cmpstore_rtn_b64 v[44:45], v16, v[44:45], v[13:14] offset:544
	s_waitcnt lgkmcnt(0)
	v_cmp_eq_u64_e32 vcc_lo, v[44:45], v[13:14]
	v_dual_mov_b32 v13, v44 :: v_dual_mov_b32 v14, v45
	s_or_b32 s45, vcc_lo, s45
	s_delay_alu instid0(SALU_CYCLE_1)
	s_and_not1_b32 exec_lo, exec_lo, s45
	s_cbranch_execnz .LBB69_68
; %bb.69:                               ;   in Loop: Header=BB69_62 Depth=3
	s_or_b32 exec_lo, exec_lo, s45
	ds_load_b64 v[13:14], v16 offset:552
	s_mov_b32 s45, 0
.LBB69_70:                              ;   Parent Loop BB69_17 Depth=1
                                        ;     Parent Loop BB69_20 Depth=2
                                        ;       Parent Loop BB69_62 Depth=3
                                        ; =>      This Inner Loop Header: Depth=4
	s_waitcnt lgkmcnt(0)
	v_add_f64 v[44:45], v[13:14], v[11:12]
	ds_cmpstore_rtn_b64 v[44:45], v16, v[44:45], v[13:14] offset:552
	s_waitcnt lgkmcnt(0)
	v_cmp_eq_u64_e32 vcc_lo, v[44:45], v[13:14]
	v_dual_mov_b32 v13, v44 :: v_dual_mov_b32 v14, v45
	s_or_b32 s45, vcc_lo, s45
	s_delay_alu instid0(SALU_CYCLE_1)
	s_and_not1_b32 exec_lo, exec_lo, s45
	s_cbranch_execnz .LBB69_70
; %bb.71:                               ;   in Loop: Header=BB69_62 Depth=3
	s_or_b32 exec_lo, exec_lo, s45
	s_delay_alu instid0(SALU_CYCLE_1)
	s_xor_b32 s45, exec_lo, -1
.LBB69_72:                              ;   in Loop: Header=BB69_62 Depth=3
	s_or_b32 exec_lo, exec_lo, s44
	s_delay_alu instid0(SALU_CYCLE_1) | instskip(SKIP_1) | instid1(SALU_CYCLE_1)
	s_and_not1_b32 s42, s42, exec_lo
	s_and_b32 s44, s45, exec_lo
	s_or_b32 s42, s42, s44
.LBB69_73:                              ;   in Loop: Header=BB69_62 Depth=3
	s_or_b32 exec_lo, exec_lo, s43
	s_delay_alu instid0(SALU_CYCLE_1)
	s_and_b32 s42, s42, exec_lo
                                        ; implicit-def: $vgpr13
.LBB69_74:                              ;   in Loop: Header=BB69_62 Depth=3
	s_and_not1_saveexec_b32 s41, s41
	s_cbranch_execz .LBB69_61
; %bb.75:                               ;   in Loop: Header=BB69_62 Depth=3
	v_mul_lo_u32 v14, v15, 60
	s_mov_b32 s43, 0
	s_delay_alu instid0(VALU_DEP_1)
	v_add_nc_u32_e32 v16, v13, v14
	ds_load_b64 v[13:14], v16 offset:544
.LBB69_76:                              ;   Parent Loop BB69_17 Depth=1
                                        ;     Parent Loop BB69_20 Depth=2
                                        ;       Parent Loop BB69_62 Depth=3
                                        ; =>      This Inner Loop Header: Depth=4
	s_waitcnt lgkmcnt(0)
	v_add_f64 v[44:45], v[13:14], v[9:10]
	ds_cmpstore_rtn_b64 v[44:45], v16, v[44:45], v[13:14] offset:544
	s_waitcnt lgkmcnt(0)
	v_cmp_eq_u64_e32 vcc_lo, v[44:45], v[13:14]
	v_dual_mov_b32 v13, v44 :: v_dual_mov_b32 v14, v45
	s_or_b32 s43, vcc_lo, s43
	s_delay_alu instid0(SALU_CYCLE_1)
	s_and_not1_b32 exec_lo, exec_lo, s43
	s_cbranch_execnz .LBB69_76
; %bb.77:                               ;   in Loop: Header=BB69_62 Depth=3
	s_or_b32 exec_lo, exec_lo, s43
	ds_load_b64 v[13:14], v16 offset:552
	s_mov_b32 s43, 0
.LBB69_78:                              ;   Parent Loop BB69_17 Depth=1
                                        ;     Parent Loop BB69_20 Depth=2
                                        ;       Parent Loop BB69_62 Depth=3
                                        ; =>      This Inner Loop Header: Depth=4
	s_waitcnt lgkmcnt(0)
	v_add_f64 v[44:45], v[13:14], v[11:12]
	ds_cmpstore_rtn_b64 v[44:45], v16, v[44:45], v[13:14] offset:552
	s_waitcnt lgkmcnt(0)
	v_cmp_eq_u64_e32 vcc_lo, v[44:45], v[13:14]
	v_dual_mov_b32 v13, v44 :: v_dual_mov_b32 v14, v45
	s_or_b32 s43, vcc_lo, s43
	s_delay_alu instid0(SALU_CYCLE_1)
	s_and_not1_b32 exec_lo, exec_lo, s43
	s_cbranch_execnz .LBB69_78
; %bb.79:                               ;   in Loop: Header=BB69_62 Depth=3
	s_or_b32 exec_lo, exec_lo, s43
	s_delay_alu instid0(SALU_CYCLE_1)
	s_and_not1_b32 s42, s42, exec_lo
	s_branch .LBB69_61
.LBB69_80:                              ;   in Loop: Header=BB69_20 Depth=2
	s_or_b32 exec_lo, exec_lo, s40
	v_mul_f64 v[9:10], v[7:8], -v[34:35]
	v_mul_f64 v[7:8], v[32:33], v[7:8]
	s_mov_b32 s40, 0
	s_delay_alu instid0(VALU_DEP_2) | instskip(NEXT) | instid1(VALU_DEP_2)
	v_fma_f64 v[9:10], v[32:33], v[5:6], v[9:10]
	v_fma_f64 v[5:6], v[34:35], v[5:6], v[7:8]
	s_delay_alu instid0(VALU_DEP_2) | instskip(NEXT) | instid1(VALU_DEP_2)
	v_fma_f64 v[7:8], v[40:41], v[1:2], v[9:10]
	v_fma_f64 v[5:6], v[42:43], v[1:2], v[5:6]
	s_delay_alu instid0(VALU_DEP_2) | instskip(NEXT) | instid1(VALU_DEP_2)
	v_fma_f64 v[1:2], -v[42:43], v[3:4], v[7:8]
	v_fma_f64 v[3:4], v[40:41], v[3:4], v[5:6]
	s_branch .LBB69_82
.LBB69_81:                              ;   in Loop: Header=BB69_82 Depth=3
	s_or_b32 exec_lo, exec_lo, s41
	s_xor_b32 s41, s42, -1
	s_delay_alu instid0(SALU_CYCLE_1) | instskip(NEXT) | instid1(SALU_CYCLE_1)
	s_and_b32 s41, exec_lo, s41
	s_or_b32 s40, s41, s40
	s_delay_alu instid0(SALU_CYCLE_1)
	s_and_not1_b32 exec_lo, exec_lo, s40
	s_cbranch_execz .LBB69_19
.LBB69_82:                              ;   Parent Loop BB69_17 Depth=1
                                        ;     Parent Loop BB69_20 Depth=2
                                        ; =>    This Loop Header: Depth=3
                                        ;         Child Loop BB69_88 Depth 4
                                        ;         Child Loop BB69_90 Depth 4
                                        ;         Child Loop BB69_96 Depth 4
                                        ;         Child Loop BB69_98 Depth 4
	v_lshl_add_u32 v5, v53, 2, 0
	s_mov_b32 s41, exec_lo
                                        ; implicit-def: $sgpr42
	ds_load_b32 v6, v5
	s_waitcnt lgkmcnt(0)
	v_cmpx_ne_u32_e64 v6, v27
	s_xor_b32 s41, exec_lo, s41
	s_cbranch_execz .LBB69_94
; %bb.83:                               ;   in Loop: Header=BB69_82 Depth=3
	s_mov_b32 s43, exec_lo
                                        ; implicit-def: $sgpr42
	v_cmpx_ne_u32_e64 s3, v6
	s_xor_b32 s43, exec_lo, s43
; %bb.84:                               ;   in Loop: Header=BB69_82 Depth=3
	v_add_nc_u32_e32 v5, 1, v53
	s_mov_b32 s42, -1
	s_delay_alu instid0(VALU_DEP_1)
	v_and_b32_e32 v53, 0x7f, v5
                                        ; implicit-def: $vgpr5
; %bb.85:                               ;   in Loop: Header=BB69_82 Depth=3
	s_and_not1_saveexec_b32 s43, s43
	s_cbranch_execz .LBB69_93
; %bb.86:                               ;   in Loop: Header=BB69_82 Depth=3
	v_mov_b32_e32 v6, s3
	s_mov_b32 s45, -1
	s_mov_b32 s44, exec_lo
	ds_cmpstore_rtn_b32 v6, v5, v27, v6
	s_waitcnt lgkmcnt(0)
	v_cmpx_eq_u32_e64 s3, v6
	s_cbranch_execz .LBB69_92
; %bb.87:                               ;   in Loop: Header=BB69_82 Depth=3
	v_mul_lo_u32 v6, v53, 60
	s_mov_b32 s45, 0
	s_delay_alu instid0(VALU_DEP_1)
	v_add_nc_u32_e32 v7, v5, v6
	ds_load_b64 v[5:6], v7 offset:560
.LBB69_88:                              ;   Parent Loop BB69_17 Depth=1
                                        ;     Parent Loop BB69_20 Depth=2
                                        ;       Parent Loop BB69_82 Depth=3
                                        ; =>      This Inner Loop Header: Depth=4
	s_waitcnt lgkmcnt(0)
	v_add_f64 v[8:9], v[5:6], v[1:2]
	ds_cmpstore_rtn_b64 v[8:9], v7, v[8:9], v[5:6] offset:560
	s_waitcnt lgkmcnt(0)
	v_cmp_eq_u64_e32 vcc_lo, v[8:9], v[5:6]
	v_dual_mov_b32 v5, v8 :: v_dual_mov_b32 v6, v9
	s_or_b32 s45, vcc_lo, s45
	s_delay_alu instid0(SALU_CYCLE_1)
	s_and_not1_b32 exec_lo, exec_lo, s45
	s_cbranch_execnz .LBB69_88
; %bb.89:                               ;   in Loop: Header=BB69_82 Depth=3
	s_or_b32 exec_lo, exec_lo, s45
	ds_load_b64 v[5:6], v7 offset:568
	s_mov_b32 s45, 0
.LBB69_90:                              ;   Parent Loop BB69_17 Depth=1
                                        ;     Parent Loop BB69_20 Depth=2
                                        ;       Parent Loop BB69_82 Depth=3
                                        ; =>      This Inner Loop Header: Depth=4
	s_waitcnt lgkmcnt(0)
	v_add_f64 v[8:9], v[5:6], v[3:4]
	ds_cmpstore_rtn_b64 v[8:9], v7, v[8:9], v[5:6] offset:568
	s_waitcnt lgkmcnt(0)
	v_cmp_eq_u64_e32 vcc_lo, v[8:9], v[5:6]
	v_dual_mov_b32 v5, v8 :: v_dual_mov_b32 v6, v9
	s_or_b32 s45, vcc_lo, s45
	s_delay_alu instid0(SALU_CYCLE_1)
	s_and_not1_b32 exec_lo, exec_lo, s45
	s_cbranch_execnz .LBB69_90
; %bb.91:                               ;   in Loop: Header=BB69_82 Depth=3
	s_or_b32 exec_lo, exec_lo, s45
	s_delay_alu instid0(SALU_CYCLE_1)
	s_xor_b32 s45, exec_lo, -1
.LBB69_92:                              ;   in Loop: Header=BB69_82 Depth=3
	s_or_b32 exec_lo, exec_lo, s44
	s_delay_alu instid0(SALU_CYCLE_1) | instskip(SKIP_1) | instid1(SALU_CYCLE_1)
	s_and_not1_b32 s42, s42, exec_lo
	s_and_b32 s44, s45, exec_lo
	s_or_b32 s42, s42, s44
.LBB69_93:                              ;   in Loop: Header=BB69_82 Depth=3
	s_or_b32 exec_lo, exec_lo, s43
	s_delay_alu instid0(SALU_CYCLE_1)
	s_and_b32 s42, s42, exec_lo
                                        ; implicit-def: $vgpr5
.LBB69_94:                              ;   in Loop: Header=BB69_82 Depth=3
	s_and_not1_saveexec_b32 s41, s41
	s_cbranch_execz .LBB69_81
; %bb.95:                               ;   in Loop: Header=BB69_82 Depth=3
	v_mul_lo_u32 v6, v53, 60
	s_mov_b32 s43, 0
	s_delay_alu instid0(VALU_DEP_1)
	v_add_nc_u32_e32 v7, v5, v6
	ds_load_b64 v[5:6], v7 offset:560
.LBB69_96:                              ;   Parent Loop BB69_17 Depth=1
                                        ;     Parent Loop BB69_20 Depth=2
                                        ;       Parent Loop BB69_82 Depth=3
                                        ; =>      This Inner Loop Header: Depth=4
	s_waitcnt lgkmcnt(0)
	v_add_f64 v[8:9], v[5:6], v[1:2]
	ds_cmpstore_rtn_b64 v[8:9], v7, v[8:9], v[5:6] offset:560
	s_waitcnt lgkmcnt(0)
	v_cmp_eq_u64_e32 vcc_lo, v[8:9], v[5:6]
	v_dual_mov_b32 v5, v8 :: v_dual_mov_b32 v6, v9
	s_or_b32 s43, vcc_lo, s43
	s_delay_alu instid0(SALU_CYCLE_1)
	s_and_not1_b32 exec_lo, exec_lo, s43
	s_cbranch_execnz .LBB69_96
; %bb.97:                               ;   in Loop: Header=BB69_82 Depth=3
	s_or_b32 exec_lo, exec_lo, s43
	ds_load_b64 v[5:6], v7 offset:568
	s_mov_b32 s43, 0
.LBB69_98:                              ;   Parent Loop BB69_17 Depth=1
                                        ;     Parent Loop BB69_20 Depth=2
                                        ;       Parent Loop BB69_82 Depth=3
                                        ; =>      This Inner Loop Header: Depth=4
	s_waitcnt lgkmcnt(0)
	v_add_f64 v[8:9], v[5:6], v[3:4]
	ds_cmpstore_rtn_b64 v[8:9], v7, v[8:9], v[5:6] offset:568
	s_waitcnt lgkmcnt(0)
	v_cmp_eq_u64_e32 vcc_lo, v[8:9], v[5:6]
	v_dual_mov_b32 v5, v8 :: v_dual_mov_b32 v6, v9
	s_or_b32 s43, vcc_lo, s43
	s_delay_alu instid0(SALU_CYCLE_1)
	s_and_not1_b32 exec_lo, exec_lo, s43
	s_cbranch_execnz .LBB69_98
; %bb.99:                               ;   in Loop: Header=BB69_82 Depth=3
	s_or_b32 exec_lo, exec_lo, s43
	s_delay_alu instid0(SALU_CYCLE_1)
	s_and_not1_b32 s42, s42, exec_lo
	s_branch .LBB69_81
.LBB69_100:
	s_or_b32 exec_lo, exec_lo, s12
.LBB69_101:
	s_delay_alu instid0(SALU_CYCLE_1)
	s_and_not1_b32 vcc_lo, exec_lo, s33
	s_barrier
	buffer_gl0_inv
	s_cbranch_vccnz .LBB69_186
; %bb.102:
	s_lshl_b64 s[12:13], s[34:35], 2
	v_subrev_nc_u32_e32 v1, s23, v0
	s_add_u32 s4, s4, s12
	s_addc_u32 s5, s5, s13
	s_load_b64 s[4:5], s[4:5], 0x0
	s_waitcnt lgkmcnt(0)
	v_add_nc_u32_e32 v13, s4, v1
	s_sub_i32 s1, s5, s23
	s_mov_b32 s4, exec_lo
	s_delay_alu instid0(VALU_DEP_1)
	v_cmpx_gt_i32_e64 s1, v13
	s_cbranch_execz .LBB69_185
; %bb.103:
	s_cmp_eq_u32 s0, 0
	s_mov_b32 s5, 0
	s_cselect_b32 s12, 1, 2
	s_cselect_b32 s13, 2, 1
	s_branch .LBB69_105
.LBB69_104:                             ;   in Loop: Header=BB69_105 Depth=1
	s_or_b32 exec_lo, exec_lo, s14
	v_add_nc_u32_e32 v13, 0x100, v13
	s_delay_alu instid0(VALU_DEP_1) | instskip(SKIP_1) | instid1(SALU_CYCLE_1)
	v_cmp_le_i32_e32 vcc_lo, s1, v13
	s_or_b32 s5, vcc_lo, s5
	s_and_not1_b32 exec_lo, exec_lo, s5
	s_cbranch_execz .LBB69_185
.LBB69_105:                             ; =>This Loop Header: Depth=1
                                        ;     Child Loop BB69_107 Depth 2
                                        ;       Child Loop BB69_113 Depth 3
                                        ;       Child Loop BB69_115 Depth 3
                                        ;       Child Loop BB69_121 Depth 3
                                        ;       Child Loop BB69_123 Depth 3
                                        ;     Child Loop BB69_127 Depth 2
                                        ;       Child Loop BB69_133 Depth 3
                                        ;       Child Loop BB69_135 Depth 3
                                        ;       Child Loop BB69_141 Depth 3
                                        ;       Child Loop BB69_143 Depth 3
	;; [unrolled: 5-line block ×4, first 2 shown]
	v_lshlrev_b32_e32 v1, 2, v13
	v_ashrrev_i32_e32 v14, 31, v13
	s_mov_b32 s14, 0
	s_delay_alu instid0(VALU_DEP_2) | instskip(NEXT) | instid1(VALU_DEP_2)
	v_ashrrev_i32_e32 v2, 31, v1
	v_lshlrev_b64 v[4:5], 2, v[13:14]
	s_delay_alu instid0(VALU_DEP_2) | instskip(NEXT) | instid1(VALU_DEP_1)
	v_lshlrev_b64 v[2:3], 4, v[1:2]
	v_add_co_u32 v2, vcc_lo, s8, v2
	s_delay_alu instid0(VALU_DEP_2) | instskip(NEXT) | instid1(VALU_DEP_4)
	v_add_co_ci_u32_e32 v3, vcc_lo, s9, v3, vcc_lo
	v_add_co_u32 v4, vcc_lo, s6, v4
	v_add_co_ci_u32_e32 v5, vcc_lo, s7, v5, vcc_lo
	global_load_b128 v[21:24], v[2:3], off
	global_load_b32 v16, v[4:5], off
	s_waitcnt vmcnt(1)
	v_mul_f64 v[14:15], v[23:24], -v[17:18]
	v_mul_f64 v[23:24], v[19:20], v[23:24]
	s_waitcnt vmcnt(0)
	v_subrev_nc_u32_e32 v16, s23, v16
	s_delay_alu instid0(VALU_DEP_3) | instskip(NEXT) | instid1(VALU_DEP_3)
	v_fma_f64 v[14:15], v[19:20], v[21:22], v[14:15]
	v_fma_f64 v[21:22], v[17:18], v[21:22], v[23:24]
	s_delay_alu instid0(VALU_DEP_3) | instskip(NEXT) | instid1(VALU_DEP_1)
	v_lshl_add_u32 v23, v16, 3, v16
	v_and_b32_e32 v25, 0x7f, v23
	s_delay_alu instid0(VALU_DEP_1) | instskip(SKIP_2) | instid1(VALU_DEP_2)
	v_mov_b32_e32 v26, v25
	v_or_b32_e32 v6, s12, v1
	v_or_b32_e32 v8, s13, v1
	v_ashrrev_i32_e32 v7, 31, v6
	s_delay_alu instid0(VALU_DEP_2) | instskip(NEXT) | instid1(VALU_DEP_2)
	v_ashrrev_i32_e32 v9, 31, v8
	v_lshlrev_b64 v[4:5], 4, v[6:7]
	s_delay_alu instid0(VALU_DEP_2) | instskip(NEXT) | instid1(VALU_DEP_2)
	v_lshlrev_b64 v[6:7], 4, v[8:9]
	v_add_co_u32 v8, vcc_lo, s8, v4
	s_delay_alu instid0(VALU_DEP_3) | instskip(NEXT) | instid1(VALU_DEP_3)
	v_add_co_ci_u32_e32 v9, vcc_lo, s9, v5, vcc_lo
	v_add_co_u32 v5, vcc_lo, s8, v6
	s_delay_alu instid0(VALU_DEP_4)
	v_add_co_ci_u32_e32 v6, vcc_lo, s9, v7, vcc_lo
	s_clause 0x2
	global_load_b128 v[1:4], v[2:3], off offset:48
	global_load_b128 v[9:12], v[8:9], off
	global_load_b128 v[5:8], v[5:6], off
	s_branch .LBB69_107
.LBB69_106:                             ;   in Loop: Header=BB69_107 Depth=2
	s_or_b32 exec_lo, exec_lo, s15
	s_xor_b32 s15, s16, -1
	s_delay_alu instid0(SALU_CYCLE_1) | instskip(NEXT) | instid1(SALU_CYCLE_1)
	s_and_b32 s15, exec_lo, s15
	s_or_b32 s14, s15, s14
	s_delay_alu instid0(SALU_CYCLE_1)
	s_and_not1_b32 exec_lo, exec_lo, s14
	s_cbranch_execz .LBB69_125
.LBB69_107:                             ;   Parent Loop BB69_105 Depth=1
                                        ; =>  This Loop Header: Depth=2
                                        ;       Child Loop BB69_113 Depth 3
                                        ;       Child Loop BB69_115 Depth 3
                                        ;       Child Loop BB69_121 Depth 3
                                        ;       Child Loop BB69_123 Depth 3
	v_lshl_add_u32 v23, v26, 2, 0
	s_mov_b32 s15, exec_lo
                                        ; implicit-def: $sgpr16
	ds_load_b32 v24, v23
	s_waitcnt lgkmcnt(0)
	v_cmpx_ne_u32_e64 v24, v16
	s_xor_b32 s15, exec_lo, s15
	s_cbranch_execz .LBB69_119
; %bb.108:                              ;   in Loop: Header=BB69_107 Depth=2
	s_mov_b32 s17, exec_lo
                                        ; implicit-def: $sgpr16
	v_cmpx_ne_u32_e64 s3, v24
	s_xor_b32 s17, exec_lo, s17
; %bb.109:                              ;   in Loop: Header=BB69_107 Depth=2
	v_add_nc_u32_e32 v23, 1, v26
	s_mov_b32 s16, -1
	s_delay_alu instid0(VALU_DEP_1)
	v_and_b32_e32 v26, 0x7f, v23
                                        ; implicit-def: $vgpr23
; %bb.110:                              ;   in Loop: Header=BB69_107 Depth=2
	s_and_not1_saveexec_b32 s17, s17
	s_cbranch_execz .LBB69_118
; %bb.111:                              ;   in Loop: Header=BB69_107 Depth=2
	v_mov_b32_e32 v24, s3
	s_mov_b32 s19, -1
	s_mov_b32 s18, exec_lo
	ds_cmpstore_rtn_b32 v24, v23, v16, v24
	s_waitcnt lgkmcnt(0)
	v_cmpx_eq_u32_e64 s3, v24
	s_cbranch_execz .LBB69_117
; %bb.112:                              ;   in Loop: Header=BB69_107 Depth=2
	v_mul_lo_u32 v24, v26, 60
	s_mov_b32 s19, 0
	s_delay_alu instid0(VALU_DEP_1)
	v_add_nc_u32_e32 v27, v23, v24
	ds_load_b64 v[23:24], v27 offset:512
.LBB69_113:                             ;   Parent Loop BB69_105 Depth=1
                                        ;     Parent Loop BB69_107 Depth=2
                                        ; =>    This Inner Loop Header: Depth=3
	s_waitcnt lgkmcnt(0)
	v_add_f64 v[28:29], v[23:24], v[14:15]
	ds_cmpstore_rtn_b64 v[28:29], v27, v[28:29], v[23:24] offset:512
	s_waitcnt lgkmcnt(0)
	v_cmp_eq_u64_e32 vcc_lo, v[28:29], v[23:24]
	v_dual_mov_b32 v23, v28 :: v_dual_mov_b32 v24, v29
	s_or_b32 s19, vcc_lo, s19
	s_delay_alu instid0(SALU_CYCLE_1)
	s_and_not1_b32 exec_lo, exec_lo, s19
	s_cbranch_execnz .LBB69_113
; %bb.114:                              ;   in Loop: Header=BB69_107 Depth=2
	s_or_b32 exec_lo, exec_lo, s19
	ds_load_b64 v[23:24], v27 offset:520
	s_mov_b32 s19, 0
.LBB69_115:                             ;   Parent Loop BB69_105 Depth=1
                                        ;     Parent Loop BB69_107 Depth=2
                                        ; =>    This Inner Loop Header: Depth=3
	s_waitcnt lgkmcnt(0)
	v_add_f64 v[28:29], v[23:24], v[21:22]
	ds_cmpstore_rtn_b64 v[28:29], v27, v[28:29], v[23:24] offset:520
	s_waitcnt lgkmcnt(0)
	v_cmp_eq_u64_e32 vcc_lo, v[28:29], v[23:24]
	v_dual_mov_b32 v23, v28 :: v_dual_mov_b32 v24, v29
	s_or_b32 s19, vcc_lo, s19
	s_delay_alu instid0(SALU_CYCLE_1)
	s_and_not1_b32 exec_lo, exec_lo, s19
	s_cbranch_execnz .LBB69_115
; %bb.116:                              ;   in Loop: Header=BB69_107 Depth=2
	s_or_b32 exec_lo, exec_lo, s19
	s_delay_alu instid0(SALU_CYCLE_1)
	s_xor_b32 s19, exec_lo, -1
.LBB69_117:                             ;   in Loop: Header=BB69_107 Depth=2
	s_or_b32 exec_lo, exec_lo, s18
	s_delay_alu instid0(SALU_CYCLE_1) | instskip(SKIP_1) | instid1(SALU_CYCLE_1)
	s_and_not1_b32 s16, s16, exec_lo
	s_and_b32 s18, s19, exec_lo
	s_or_b32 s16, s16, s18
.LBB69_118:                             ;   in Loop: Header=BB69_107 Depth=2
	s_or_b32 exec_lo, exec_lo, s17
	s_delay_alu instid0(SALU_CYCLE_1)
	s_and_b32 s16, s16, exec_lo
                                        ; implicit-def: $vgpr23
.LBB69_119:                             ;   in Loop: Header=BB69_107 Depth=2
	s_and_not1_saveexec_b32 s15, s15
	s_cbranch_execz .LBB69_106
; %bb.120:                              ;   in Loop: Header=BB69_107 Depth=2
	v_mul_lo_u32 v24, v26, 60
	s_mov_b32 s17, 0
	s_delay_alu instid0(VALU_DEP_1)
	v_add_nc_u32_e32 v27, v23, v24
	ds_load_b64 v[23:24], v27 offset:512
.LBB69_121:                             ;   Parent Loop BB69_105 Depth=1
                                        ;     Parent Loop BB69_107 Depth=2
                                        ; =>    This Inner Loop Header: Depth=3
	s_waitcnt lgkmcnt(0)
	v_add_f64 v[28:29], v[23:24], v[14:15]
	ds_cmpstore_rtn_b64 v[28:29], v27, v[28:29], v[23:24] offset:512
	s_waitcnt lgkmcnt(0)
	v_cmp_eq_u64_e32 vcc_lo, v[28:29], v[23:24]
	v_dual_mov_b32 v23, v28 :: v_dual_mov_b32 v24, v29
	s_or_b32 s17, vcc_lo, s17
	s_delay_alu instid0(SALU_CYCLE_1)
	s_and_not1_b32 exec_lo, exec_lo, s17
	s_cbranch_execnz .LBB69_121
; %bb.122:                              ;   in Loop: Header=BB69_107 Depth=2
	s_or_b32 exec_lo, exec_lo, s17
	ds_load_b64 v[23:24], v27 offset:520
	s_mov_b32 s17, 0
.LBB69_123:                             ;   Parent Loop BB69_105 Depth=1
                                        ;     Parent Loop BB69_107 Depth=2
                                        ; =>    This Inner Loop Header: Depth=3
	s_waitcnt lgkmcnt(0)
	v_add_f64 v[28:29], v[23:24], v[21:22]
	ds_cmpstore_rtn_b64 v[28:29], v27, v[28:29], v[23:24] offset:520
	s_waitcnt lgkmcnt(0)
	v_cmp_eq_u64_e32 vcc_lo, v[28:29], v[23:24]
	v_dual_mov_b32 v23, v28 :: v_dual_mov_b32 v24, v29
	s_or_b32 s17, vcc_lo, s17
	s_delay_alu instid0(SALU_CYCLE_1)
	s_and_not1_b32 exec_lo, exec_lo, s17
	s_cbranch_execnz .LBB69_123
; %bb.124:                              ;   in Loop: Header=BB69_107 Depth=2
	s_or_b32 exec_lo, exec_lo, s17
	s_delay_alu instid0(SALU_CYCLE_1)
	s_and_not1_b32 s16, s16, exec_lo
	s_branch .LBB69_106
.LBB69_125:                             ;   in Loop: Header=BB69_105 Depth=1
	s_or_b32 exec_lo, exec_lo, s14
	s_waitcnt vmcnt(1)
	v_mul_f64 v[14:15], v[11:12], -v[17:18]
	v_mul_f64 v[21:22], v[19:20], v[11:12]
	s_mov_b32 s14, 0
	s_delay_alu instid0(VALU_DEP_2) | instskip(NEXT) | instid1(VALU_DEP_2)
	v_fma_f64 v[11:12], v[19:20], v[9:10], v[14:15]
	v_fma_f64 v[9:10], v[17:18], v[9:10], v[21:22]
	v_mov_b32_e32 v21, v25
	s_branch .LBB69_127
.LBB69_126:                             ;   in Loop: Header=BB69_127 Depth=2
	s_or_b32 exec_lo, exec_lo, s15
	s_xor_b32 s15, s16, -1
	s_delay_alu instid0(SALU_CYCLE_1) | instskip(NEXT) | instid1(SALU_CYCLE_1)
	s_and_b32 s15, exec_lo, s15
	s_or_b32 s14, s15, s14
	s_delay_alu instid0(SALU_CYCLE_1)
	s_and_not1_b32 exec_lo, exec_lo, s14
	s_cbranch_execz .LBB69_145
.LBB69_127:                             ;   Parent Loop BB69_105 Depth=1
                                        ; =>  This Loop Header: Depth=2
                                        ;       Child Loop BB69_133 Depth 3
                                        ;       Child Loop BB69_135 Depth 3
	;; [unrolled: 1-line block ×4, first 2 shown]
	s_delay_alu instid0(VALU_DEP_1)
	v_lshl_add_u32 v14, v21, 2, 0
	s_mov_b32 s15, exec_lo
                                        ; implicit-def: $sgpr16
	ds_load_b32 v15, v14
	s_waitcnt lgkmcnt(0)
	v_cmpx_ne_u32_e64 v15, v16
	s_xor_b32 s15, exec_lo, s15
	s_cbranch_execz .LBB69_139
; %bb.128:                              ;   in Loop: Header=BB69_127 Depth=2
	s_mov_b32 s17, exec_lo
                                        ; implicit-def: $sgpr16
	v_cmpx_ne_u32_e64 s3, v15
	s_xor_b32 s17, exec_lo, s17
; %bb.129:                              ;   in Loop: Header=BB69_127 Depth=2
	v_add_nc_u32_e32 v14, 1, v21
	s_mov_b32 s16, -1
	s_delay_alu instid0(VALU_DEP_1)
	v_and_b32_e32 v21, 0x7f, v14
                                        ; implicit-def: $vgpr14
; %bb.130:                              ;   in Loop: Header=BB69_127 Depth=2
	s_and_not1_saveexec_b32 s17, s17
	s_cbranch_execz .LBB69_138
; %bb.131:                              ;   in Loop: Header=BB69_127 Depth=2
	v_mov_b32_e32 v15, s3
	s_mov_b32 s19, -1
	s_mov_b32 s18, exec_lo
	ds_cmpstore_rtn_b32 v15, v14, v16, v15
	s_waitcnt lgkmcnt(0)
	v_cmpx_eq_u32_e64 s3, v15
	s_cbranch_execz .LBB69_137
; %bb.132:                              ;   in Loop: Header=BB69_127 Depth=2
	v_mul_lo_u32 v15, v21, 60
	s_mov_b32 s19, 0
	s_delay_alu instid0(VALU_DEP_1)
	v_add_nc_u32_e32 v22, v14, v15
	ds_load_b64 v[14:15], v22 offset:528
.LBB69_133:                             ;   Parent Loop BB69_105 Depth=1
                                        ;     Parent Loop BB69_127 Depth=2
                                        ; =>    This Inner Loop Header: Depth=3
	s_waitcnt lgkmcnt(0)
	v_add_f64 v[23:24], v[14:15], v[11:12]
	ds_cmpstore_rtn_b64 v[23:24], v22, v[23:24], v[14:15] offset:528
	s_waitcnt lgkmcnt(0)
	v_cmp_eq_u64_e32 vcc_lo, v[23:24], v[14:15]
	v_dual_mov_b32 v14, v23 :: v_dual_mov_b32 v15, v24
	s_or_b32 s19, vcc_lo, s19
	s_delay_alu instid0(SALU_CYCLE_1)
	s_and_not1_b32 exec_lo, exec_lo, s19
	s_cbranch_execnz .LBB69_133
; %bb.134:                              ;   in Loop: Header=BB69_127 Depth=2
	s_or_b32 exec_lo, exec_lo, s19
	ds_load_b64 v[14:15], v22 offset:536
	s_mov_b32 s19, 0
.LBB69_135:                             ;   Parent Loop BB69_105 Depth=1
                                        ;     Parent Loop BB69_127 Depth=2
                                        ; =>    This Inner Loop Header: Depth=3
	s_waitcnt lgkmcnt(0)
	v_add_f64 v[23:24], v[14:15], v[9:10]
	ds_cmpstore_rtn_b64 v[23:24], v22, v[23:24], v[14:15] offset:536
	s_waitcnt lgkmcnt(0)
	v_cmp_eq_u64_e32 vcc_lo, v[23:24], v[14:15]
	v_dual_mov_b32 v14, v23 :: v_dual_mov_b32 v15, v24
	s_or_b32 s19, vcc_lo, s19
	s_delay_alu instid0(SALU_CYCLE_1)
	s_and_not1_b32 exec_lo, exec_lo, s19
	s_cbranch_execnz .LBB69_135
; %bb.136:                              ;   in Loop: Header=BB69_127 Depth=2
	s_or_b32 exec_lo, exec_lo, s19
	s_delay_alu instid0(SALU_CYCLE_1)
	s_xor_b32 s19, exec_lo, -1
.LBB69_137:                             ;   in Loop: Header=BB69_127 Depth=2
	s_or_b32 exec_lo, exec_lo, s18
	s_delay_alu instid0(SALU_CYCLE_1) | instskip(SKIP_1) | instid1(SALU_CYCLE_1)
	s_and_not1_b32 s16, s16, exec_lo
	s_and_b32 s18, s19, exec_lo
	s_or_b32 s16, s16, s18
.LBB69_138:                             ;   in Loop: Header=BB69_127 Depth=2
	s_or_b32 exec_lo, exec_lo, s17
	s_delay_alu instid0(SALU_CYCLE_1)
	s_and_b32 s16, s16, exec_lo
                                        ; implicit-def: $vgpr14
.LBB69_139:                             ;   in Loop: Header=BB69_127 Depth=2
	s_and_not1_saveexec_b32 s15, s15
	s_cbranch_execz .LBB69_126
; %bb.140:                              ;   in Loop: Header=BB69_127 Depth=2
	v_mul_lo_u32 v15, v21, 60
	s_mov_b32 s17, 0
	s_delay_alu instid0(VALU_DEP_1)
	v_add_nc_u32_e32 v22, v14, v15
	ds_load_b64 v[14:15], v22 offset:528
.LBB69_141:                             ;   Parent Loop BB69_105 Depth=1
                                        ;     Parent Loop BB69_127 Depth=2
                                        ; =>    This Inner Loop Header: Depth=3
	s_waitcnt lgkmcnt(0)
	v_add_f64 v[23:24], v[14:15], v[11:12]
	ds_cmpstore_rtn_b64 v[23:24], v22, v[23:24], v[14:15] offset:528
	s_waitcnt lgkmcnt(0)
	v_cmp_eq_u64_e32 vcc_lo, v[23:24], v[14:15]
	v_dual_mov_b32 v14, v23 :: v_dual_mov_b32 v15, v24
	s_or_b32 s17, vcc_lo, s17
	s_delay_alu instid0(SALU_CYCLE_1)
	s_and_not1_b32 exec_lo, exec_lo, s17
	s_cbranch_execnz .LBB69_141
; %bb.142:                              ;   in Loop: Header=BB69_127 Depth=2
	s_or_b32 exec_lo, exec_lo, s17
	ds_load_b64 v[14:15], v22 offset:536
	s_mov_b32 s17, 0
.LBB69_143:                             ;   Parent Loop BB69_105 Depth=1
                                        ;     Parent Loop BB69_127 Depth=2
                                        ; =>    This Inner Loop Header: Depth=3
	s_waitcnt lgkmcnt(0)
	v_add_f64 v[23:24], v[14:15], v[9:10]
	ds_cmpstore_rtn_b64 v[23:24], v22, v[23:24], v[14:15] offset:536
	s_waitcnt lgkmcnt(0)
	v_cmp_eq_u64_e32 vcc_lo, v[23:24], v[14:15]
	v_dual_mov_b32 v14, v23 :: v_dual_mov_b32 v15, v24
	s_or_b32 s17, vcc_lo, s17
	s_delay_alu instid0(SALU_CYCLE_1)
	s_and_not1_b32 exec_lo, exec_lo, s17
	s_cbranch_execnz .LBB69_143
; %bb.144:                              ;   in Loop: Header=BB69_127 Depth=2
	s_or_b32 exec_lo, exec_lo, s17
	s_delay_alu instid0(SALU_CYCLE_1)
	s_and_not1_b32 s16, s16, exec_lo
	s_branch .LBB69_126
.LBB69_145:                             ;   in Loop: Header=BB69_105 Depth=1
	s_or_b32 exec_lo, exec_lo, s14
	s_waitcnt vmcnt(0)
	v_mul_f64 v[9:10], v[7:8], -v[17:18]
	v_mul_f64 v[11:12], v[19:20], v[7:8]
	s_mov_b32 s14, 0
	s_delay_alu instid0(VALU_DEP_2) | instskip(NEXT) | instid1(VALU_DEP_2)
	v_fma_f64 v[7:8], v[19:20], v[5:6], v[9:10]
	v_fma_f64 v[5:6], v[17:18], v[5:6], v[11:12]
	v_mov_b32_e32 v11, v25
	s_branch .LBB69_147
.LBB69_146:                             ;   in Loop: Header=BB69_147 Depth=2
	s_or_b32 exec_lo, exec_lo, s15
	s_xor_b32 s15, s16, -1
	s_delay_alu instid0(SALU_CYCLE_1) | instskip(NEXT) | instid1(SALU_CYCLE_1)
	s_and_b32 s15, exec_lo, s15
	s_or_b32 s14, s15, s14
	s_delay_alu instid0(SALU_CYCLE_1)
	s_and_not1_b32 exec_lo, exec_lo, s14
	s_cbranch_execz .LBB69_165
.LBB69_147:                             ;   Parent Loop BB69_105 Depth=1
                                        ; =>  This Loop Header: Depth=2
                                        ;       Child Loop BB69_153 Depth 3
                                        ;       Child Loop BB69_155 Depth 3
                                        ;       Child Loop BB69_161 Depth 3
                                        ;       Child Loop BB69_163 Depth 3
	s_delay_alu instid0(VALU_DEP_1)
	v_lshl_add_u32 v9, v11, 2, 0
	s_mov_b32 s15, exec_lo
                                        ; implicit-def: $sgpr16
	ds_load_b32 v10, v9
	s_waitcnt lgkmcnt(0)
	v_cmpx_ne_u32_e64 v10, v16
	s_xor_b32 s15, exec_lo, s15
	s_cbranch_execz .LBB69_159
; %bb.148:                              ;   in Loop: Header=BB69_147 Depth=2
	s_mov_b32 s17, exec_lo
                                        ; implicit-def: $sgpr16
	v_cmpx_ne_u32_e64 s3, v10
	s_xor_b32 s17, exec_lo, s17
; %bb.149:                              ;   in Loop: Header=BB69_147 Depth=2
	v_add_nc_u32_e32 v9, 1, v11
	s_mov_b32 s16, -1
	s_delay_alu instid0(VALU_DEP_1)
	v_and_b32_e32 v11, 0x7f, v9
                                        ; implicit-def: $vgpr9
; %bb.150:                              ;   in Loop: Header=BB69_147 Depth=2
	s_and_not1_saveexec_b32 s17, s17
	s_cbranch_execz .LBB69_158
; %bb.151:                              ;   in Loop: Header=BB69_147 Depth=2
	v_mov_b32_e32 v10, s3
	s_mov_b32 s19, -1
	s_mov_b32 s18, exec_lo
	ds_cmpstore_rtn_b32 v10, v9, v16, v10
	s_waitcnt lgkmcnt(0)
	v_cmpx_eq_u32_e64 s3, v10
	s_cbranch_execz .LBB69_157
; %bb.152:                              ;   in Loop: Header=BB69_147 Depth=2
	v_mul_lo_u32 v10, v11, 60
	s_mov_b32 s19, 0
	s_delay_alu instid0(VALU_DEP_1)
	v_add_nc_u32_e32 v12, v9, v10
	ds_load_b64 v[9:10], v12 offset:544
.LBB69_153:                             ;   Parent Loop BB69_105 Depth=1
                                        ;     Parent Loop BB69_147 Depth=2
                                        ; =>    This Inner Loop Header: Depth=3
	s_waitcnt lgkmcnt(0)
	v_add_f64 v[14:15], v[9:10], v[7:8]
	ds_cmpstore_rtn_b64 v[14:15], v12, v[14:15], v[9:10] offset:544
	s_waitcnt lgkmcnt(0)
	v_cmp_eq_u64_e32 vcc_lo, v[14:15], v[9:10]
	v_dual_mov_b32 v9, v14 :: v_dual_mov_b32 v10, v15
	s_or_b32 s19, vcc_lo, s19
	s_delay_alu instid0(SALU_CYCLE_1)
	s_and_not1_b32 exec_lo, exec_lo, s19
	s_cbranch_execnz .LBB69_153
; %bb.154:                              ;   in Loop: Header=BB69_147 Depth=2
	s_or_b32 exec_lo, exec_lo, s19
	ds_load_b64 v[9:10], v12 offset:552
	s_mov_b32 s19, 0
.LBB69_155:                             ;   Parent Loop BB69_105 Depth=1
                                        ;     Parent Loop BB69_147 Depth=2
                                        ; =>    This Inner Loop Header: Depth=3
	s_waitcnt lgkmcnt(0)
	v_add_f64 v[14:15], v[9:10], v[5:6]
	ds_cmpstore_rtn_b64 v[14:15], v12, v[14:15], v[9:10] offset:552
	s_waitcnt lgkmcnt(0)
	v_cmp_eq_u64_e32 vcc_lo, v[14:15], v[9:10]
	v_dual_mov_b32 v9, v14 :: v_dual_mov_b32 v10, v15
	s_or_b32 s19, vcc_lo, s19
	s_delay_alu instid0(SALU_CYCLE_1)
	s_and_not1_b32 exec_lo, exec_lo, s19
	s_cbranch_execnz .LBB69_155
; %bb.156:                              ;   in Loop: Header=BB69_147 Depth=2
	s_or_b32 exec_lo, exec_lo, s19
	s_delay_alu instid0(SALU_CYCLE_1)
	s_xor_b32 s19, exec_lo, -1
.LBB69_157:                             ;   in Loop: Header=BB69_147 Depth=2
	s_or_b32 exec_lo, exec_lo, s18
	s_delay_alu instid0(SALU_CYCLE_1) | instskip(SKIP_1) | instid1(SALU_CYCLE_1)
	s_and_not1_b32 s16, s16, exec_lo
	s_and_b32 s18, s19, exec_lo
	s_or_b32 s16, s16, s18
.LBB69_158:                             ;   in Loop: Header=BB69_147 Depth=2
	s_or_b32 exec_lo, exec_lo, s17
	s_delay_alu instid0(SALU_CYCLE_1)
	s_and_b32 s16, s16, exec_lo
                                        ; implicit-def: $vgpr9
.LBB69_159:                             ;   in Loop: Header=BB69_147 Depth=2
	s_and_not1_saveexec_b32 s15, s15
	s_cbranch_execz .LBB69_146
; %bb.160:                              ;   in Loop: Header=BB69_147 Depth=2
	v_mul_lo_u32 v10, v11, 60
	s_mov_b32 s17, 0
	s_delay_alu instid0(VALU_DEP_1)
	v_add_nc_u32_e32 v12, v9, v10
	ds_load_b64 v[9:10], v12 offset:544
.LBB69_161:                             ;   Parent Loop BB69_105 Depth=1
                                        ;     Parent Loop BB69_147 Depth=2
                                        ; =>    This Inner Loop Header: Depth=3
	s_waitcnt lgkmcnt(0)
	v_add_f64 v[14:15], v[9:10], v[7:8]
	ds_cmpstore_rtn_b64 v[14:15], v12, v[14:15], v[9:10] offset:544
	s_waitcnt lgkmcnt(0)
	v_cmp_eq_u64_e32 vcc_lo, v[14:15], v[9:10]
	v_dual_mov_b32 v9, v14 :: v_dual_mov_b32 v10, v15
	s_or_b32 s17, vcc_lo, s17
	s_delay_alu instid0(SALU_CYCLE_1)
	s_and_not1_b32 exec_lo, exec_lo, s17
	s_cbranch_execnz .LBB69_161
; %bb.162:                              ;   in Loop: Header=BB69_147 Depth=2
	s_or_b32 exec_lo, exec_lo, s17
	ds_load_b64 v[9:10], v12 offset:552
	s_mov_b32 s17, 0
.LBB69_163:                             ;   Parent Loop BB69_105 Depth=1
                                        ;     Parent Loop BB69_147 Depth=2
                                        ; =>    This Inner Loop Header: Depth=3
	s_waitcnt lgkmcnt(0)
	v_add_f64 v[14:15], v[9:10], v[5:6]
	ds_cmpstore_rtn_b64 v[14:15], v12, v[14:15], v[9:10] offset:552
	s_waitcnt lgkmcnt(0)
	v_cmp_eq_u64_e32 vcc_lo, v[14:15], v[9:10]
	v_dual_mov_b32 v9, v14 :: v_dual_mov_b32 v10, v15
	s_or_b32 s17, vcc_lo, s17
	s_delay_alu instid0(SALU_CYCLE_1)
	s_and_not1_b32 exec_lo, exec_lo, s17
	s_cbranch_execnz .LBB69_163
; %bb.164:                              ;   in Loop: Header=BB69_147 Depth=2
	s_or_b32 exec_lo, exec_lo, s17
	s_delay_alu instid0(SALU_CYCLE_1)
	s_and_not1_b32 s16, s16, exec_lo
	s_branch .LBB69_146
.LBB69_165:                             ;   in Loop: Header=BB69_105 Depth=1
	s_or_b32 exec_lo, exec_lo, s14
	v_mul_f64 v[5:6], v[3:4], -v[17:18]
	v_mul_f64 v[7:8], v[19:20], v[3:4]
	s_mov_b32 s14, 0
	s_delay_alu instid0(VALU_DEP_2) | instskip(NEXT) | instid1(VALU_DEP_2)
	v_fma_f64 v[3:4], v[19:20], v[1:2], v[5:6]
	v_fma_f64 v[1:2], v[17:18], v[1:2], v[7:8]
	s_branch .LBB69_167
.LBB69_166:                             ;   in Loop: Header=BB69_167 Depth=2
	s_or_b32 exec_lo, exec_lo, s15
	s_xor_b32 s15, s16, -1
	s_delay_alu instid0(SALU_CYCLE_1) | instskip(NEXT) | instid1(SALU_CYCLE_1)
	s_and_b32 s15, exec_lo, s15
	s_or_b32 s14, s15, s14
	s_delay_alu instid0(SALU_CYCLE_1)
	s_and_not1_b32 exec_lo, exec_lo, s14
	s_cbranch_execz .LBB69_104
.LBB69_167:                             ;   Parent Loop BB69_105 Depth=1
                                        ; =>  This Loop Header: Depth=2
                                        ;       Child Loop BB69_173 Depth 3
                                        ;       Child Loop BB69_175 Depth 3
	;; [unrolled: 1-line block ×4, first 2 shown]
	v_lshl_add_u32 v5, v25, 2, 0
	s_mov_b32 s15, exec_lo
                                        ; implicit-def: $sgpr16
	ds_load_b32 v6, v5
	s_waitcnt lgkmcnt(0)
	v_cmpx_ne_u32_e64 v6, v16
	s_xor_b32 s15, exec_lo, s15
	s_cbranch_execz .LBB69_179
; %bb.168:                              ;   in Loop: Header=BB69_167 Depth=2
	s_mov_b32 s17, exec_lo
                                        ; implicit-def: $sgpr16
	v_cmpx_ne_u32_e64 s3, v6
	s_xor_b32 s17, exec_lo, s17
; %bb.169:                              ;   in Loop: Header=BB69_167 Depth=2
	v_add_nc_u32_e32 v5, 1, v25
	s_mov_b32 s16, -1
	s_delay_alu instid0(VALU_DEP_1)
	v_and_b32_e32 v25, 0x7f, v5
                                        ; implicit-def: $vgpr5
; %bb.170:                              ;   in Loop: Header=BB69_167 Depth=2
	s_and_not1_saveexec_b32 s17, s17
	s_cbranch_execz .LBB69_178
; %bb.171:                              ;   in Loop: Header=BB69_167 Depth=2
	v_mov_b32_e32 v6, s3
	s_mov_b32 s19, -1
	s_mov_b32 s18, exec_lo
	ds_cmpstore_rtn_b32 v6, v5, v16, v6
	s_waitcnt lgkmcnt(0)
	v_cmpx_eq_u32_e64 s3, v6
	s_cbranch_execz .LBB69_177
; %bb.172:                              ;   in Loop: Header=BB69_167 Depth=2
	v_mul_lo_u32 v6, v25, 60
	s_mov_b32 s19, 0
	s_delay_alu instid0(VALU_DEP_1)
	v_add_nc_u32_e32 v7, v5, v6
	ds_load_b64 v[5:6], v7 offset:560
.LBB69_173:                             ;   Parent Loop BB69_105 Depth=1
                                        ;     Parent Loop BB69_167 Depth=2
                                        ; =>    This Inner Loop Header: Depth=3
	s_waitcnt lgkmcnt(0)
	v_add_f64 v[8:9], v[5:6], v[3:4]
	ds_cmpstore_rtn_b64 v[8:9], v7, v[8:9], v[5:6] offset:560
	s_waitcnt lgkmcnt(0)
	v_cmp_eq_u64_e32 vcc_lo, v[8:9], v[5:6]
	v_dual_mov_b32 v5, v8 :: v_dual_mov_b32 v6, v9
	s_or_b32 s19, vcc_lo, s19
	s_delay_alu instid0(SALU_CYCLE_1)
	s_and_not1_b32 exec_lo, exec_lo, s19
	s_cbranch_execnz .LBB69_173
; %bb.174:                              ;   in Loop: Header=BB69_167 Depth=2
	s_or_b32 exec_lo, exec_lo, s19
	ds_load_b64 v[5:6], v7 offset:568
	s_mov_b32 s19, 0
.LBB69_175:                             ;   Parent Loop BB69_105 Depth=1
                                        ;     Parent Loop BB69_167 Depth=2
                                        ; =>    This Inner Loop Header: Depth=3
	s_waitcnt lgkmcnt(0)
	v_add_f64 v[8:9], v[5:6], v[1:2]
	ds_cmpstore_rtn_b64 v[8:9], v7, v[8:9], v[5:6] offset:568
	s_waitcnt lgkmcnt(0)
	v_cmp_eq_u64_e32 vcc_lo, v[8:9], v[5:6]
	v_dual_mov_b32 v5, v8 :: v_dual_mov_b32 v6, v9
	s_or_b32 s19, vcc_lo, s19
	s_delay_alu instid0(SALU_CYCLE_1)
	s_and_not1_b32 exec_lo, exec_lo, s19
	s_cbranch_execnz .LBB69_175
; %bb.176:                              ;   in Loop: Header=BB69_167 Depth=2
	s_or_b32 exec_lo, exec_lo, s19
	s_delay_alu instid0(SALU_CYCLE_1)
	s_xor_b32 s19, exec_lo, -1
.LBB69_177:                             ;   in Loop: Header=BB69_167 Depth=2
	s_or_b32 exec_lo, exec_lo, s18
	s_delay_alu instid0(SALU_CYCLE_1) | instskip(SKIP_1) | instid1(SALU_CYCLE_1)
	s_and_not1_b32 s16, s16, exec_lo
	s_and_b32 s18, s19, exec_lo
	s_or_b32 s16, s16, s18
.LBB69_178:                             ;   in Loop: Header=BB69_167 Depth=2
	s_or_b32 exec_lo, exec_lo, s17
	s_delay_alu instid0(SALU_CYCLE_1)
	s_and_b32 s16, s16, exec_lo
                                        ; implicit-def: $vgpr5
.LBB69_179:                             ;   in Loop: Header=BB69_167 Depth=2
	s_and_not1_saveexec_b32 s15, s15
	s_cbranch_execz .LBB69_166
; %bb.180:                              ;   in Loop: Header=BB69_167 Depth=2
	v_mul_lo_u32 v6, v25, 60
	s_mov_b32 s17, 0
	s_delay_alu instid0(VALU_DEP_1)
	v_add_nc_u32_e32 v7, v5, v6
	ds_load_b64 v[5:6], v7 offset:560
.LBB69_181:                             ;   Parent Loop BB69_105 Depth=1
                                        ;     Parent Loop BB69_167 Depth=2
                                        ; =>    This Inner Loop Header: Depth=3
	s_waitcnt lgkmcnt(0)
	v_add_f64 v[8:9], v[5:6], v[3:4]
	ds_cmpstore_rtn_b64 v[8:9], v7, v[8:9], v[5:6] offset:560
	s_waitcnt lgkmcnt(0)
	v_cmp_eq_u64_e32 vcc_lo, v[8:9], v[5:6]
	v_dual_mov_b32 v5, v8 :: v_dual_mov_b32 v6, v9
	s_or_b32 s17, vcc_lo, s17
	s_delay_alu instid0(SALU_CYCLE_1)
	s_and_not1_b32 exec_lo, exec_lo, s17
	s_cbranch_execnz .LBB69_181
; %bb.182:                              ;   in Loop: Header=BB69_167 Depth=2
	s_or_b32 exec_lo, exec_lo, s17
	ds_load_b64 v[5:6], v7 offset:568
	s_mov_b32 s17, 0
.LBB69_183:                             ;   Parent Loop BB69_105 Depth=1
                                        ;     Parent Loop BB69_167 Depth=2
                                        ; =>    This Inner Loop Header: Depth=3
	s_waitcnt lgkmcnt(0)
	v_add_f64 v[8:9], v[5:6], v[1:2]
	ds_cmpstore_rtn_b64 v[8:9], v7, v[8:9], v[5:6] offset:568
	s_waitcnt lgkmcnt(0)
	v_cmp_eq_u64_e32 vcc_lo, v[8:9], v[5:6]
	v_dual_mov_b32 v5, v8 :: v_dual_mov_b32 v6, v9
	s_or_b32 s17, vcc_lo, s17
	s_delay_alu instid0(SALU_CYCLE_1)
	s_and_not1_b32 exec_lo, exec_lo, s17
	s_cbranch_execnz .LBB69_183
; %bb.184:                              ;   in Loop: Header=BB69_167 Depth=2
	s_or_b32 exec_lo, exec_lo, s17
	s_delay_alu instid0(SALU_CYCLE_1)
	s_and_not1_b32 s16, s16, exec_lo
	s_branch .LBB69_166
.LBB69_185:
	s_or_b32 exec_lo, exec_lo, s4
.LBB69_186:
	s_barrier
	buffer_gl0_inv
	s_and_saveexec_b32 s1, s2
	s_cbranch_execz .LBB69_189
; %bb.187:
	ds_load_b32 v1, v50
	s_waitcnt lgkmcnt(0)
	v_cmp_gt_i32_e32 vcc_lo, s3, v1
	s_and_b32 exec_lo, exec_lo, vcc_lo
	s_cbranch_execz .LBB69_189
; %bb.188:
	s_lshl_b64 s[2:3], s[34:35], 2
	v_mov_b32_e32 v2, 0
	s_add_u32 s2, s10, s2
	s_addc_u32 s3, s11, s3
	s_load_b32 s1, s[2:3], 0x0
	ds_load_2addr_b32 v[3:4], v2 offset1:1
	ds_load_2addr_b32 v[5:6], v2 offset0:2 offset1:3
	ds_load_2addr_b32 v[7:8], v2 offset0:4 offset1:5
	;; [unrolled: 1-line block ×17, first 2 shown]
	s_waitcnt lgkmcnt(0)
	v_cmp_gt_i32_e32 vcc_lo, v1, v3
	v_cndmask_b32_e64 v3, 0, 1, vcc_lo
	v_cmp_gt_i32_e32 vcc_lo, v1, v5
	v_cndmask_b32_e64 v5, 0, 1, vcc_lo
	v_cmp_gt_i32_e32 vcc_lo, v1, v4
	s_sub_i32 s1, s1, s22
	s_cmp_eq_u32 s0, 0
	v_add_co_ci_u32_e32 v3, vcc_lo, s1, v3, vcc_lo
	v_cmp_gt_i32_e32 vcc_lo, v1, v7
	s_cselect_b32 s0, 1, 2
	s_cselect_b32 s1, 2, 1
	v_cndmask_b32_e64 v4, 0, 1, vcc_lo
	v_cmp_gt_i32_e32 vcc_lo, v1, v6
	v_add_co_ci_u32_e32 v3, vcc_lo, v3, v5, vcc_lo
	v_cmp_gt_i32_e32 vcc_lo, v1, v9
	v_cndmask_b32_e64 v5, 0, 1, vcc_lo
	v_cmp_gt_i32_e32 vcc_lo, v1, v8
	s_delay_alu instid0(VALU_DEP_4) | instskip(SKIP_3) | instid1(VALU_DEP_4)
	v_add_co_ci_u32_e32 v3, vcc_lo, v3, v4, vcc_lo
	v_cmp_gt_i32_e32 vcc_lo, v1, v11
	v_cndmask_b32_e64 v4, 0, 1, vcc_lo
	v_cmp_gt_i32_e32 vcc_lo, v1, v10
	v_add_co_ci_u32_e32 v3, vcc_lo, v3, v5, vcc_lo
	v_cmp_gt_i32_e32 vcc_lo, v1, v13
	v_cndmask_b32_e64 v5, 0, 1, vcc_lo
	v_cmp_gt_i32_e32 vcc_lo, v1, v12
	s_delay_alu instid0(VALU_DEP_4) | instskip(SKIP_3) | instid1(VALU_DEP_4)
	v_add_co_ci_u32_e32 v3, vcc_lo, v3, v4, vcc_lo
	v_cmp_gt_i32_e32 vcc_lo, v1, v15
	;; [unrolled: 9-line block ×3, first 2 shown]
	v_cndmask_b32_e64 v4, 0, 1, vcc_lo
	v_cmp_gt_i32_e32 vcc_lo, v1, v18
	v_add_co_ci_u32_e32 v3, vcc_lo, v3, v5, vcc_lo
	v_cmp_gt_i32_e32 vcc_lo, v1, v21
	v_cndmask_b32_e64 v5, 0, 1, vcc_lo
	v_cmp_gt_i32_e32 vcc_lo, v1, v20
	s_delay_alu instid0(VALU_DEP_4)
	v_add_co_ci_u32_e32 v3, vcc_lo, v3, v4, vcc_lo
	v_cmp_gt_i32_e32 vcc_lo, v1, v23
	v_cndmask_b32_e64 v4, 0, 1, vcc_lo
	v_cmp_gt_i32_e32 vcc_lo, v1, v22
	v_add_nc_u32_e32 v22, s22, v1
	v_add_co_ci_u32_e32 v3, vcc_lo, v3, v5, vcc_lo
	v_cmp_gt_i32_e32 vcc_lo, v1, v25
	v_cndmask_b32_e64 v5, 0, 1, vcc_lo
	v_cmp_gt_i32_e32 vcc_lo, v1, v24
	s_delay_alu instid0(VALU_DEP_4) | instskip(SKIP_3) | instid1(VALU_DEP_4)
	v_add_co_ci_u32_e32 v3, vcc_lo, v3, v4, vcc_lo
	v_cmp_gt_i32_e32 vcc_lo, v1, v27
	v_cndmask_b32_e64 v4, 0, 1, vcc_lo
	v_cmp_gt_i32_e32 vcc_lo, v1, v26
	v_add_co_ci_u32_e32 v3, vcc_lo, v3, v5, vcc_lo
	v_cmp_gt_i32_e32 vcc_lo, v1, v29
	v_cndmask_b32_e64 v5, 0, 1, vcc_lo
	v_cmp_gt_i32_e32 vcc_lo, v1, v28
	s_delay_alu instid0(VALU_DEP_4) | instskip(SKIP_3) | instid1(VALU_DEP_4)
	v_add_co_ci_u32_e32 v3, vcc_lo, v3, v4, vcc_lo
	v_cmp_gt_i32_e32 vcc_lo, v1, v31
	v_cndmask_b32_e64 v6, 0, 1, vcc_lo
	v_cmp_gt_i32_e32 vcc_lo, v1, v30
	v_add_co_ci_u32_e32 v5, vcc_lo, v3, v5, vcc_lo
	v_cmp_gt_i32_e32 vcc_lo, v1, v32
	ds_load_2addr_b32 v[3:4], v2 offset0:36 offset1:37
	v_add_co_ci_u32_e32 v7, vcc_lo, v5, v6, vcc_lo
	ds_load_2addr_b32 v[5:6], v2 offset0:38 offset1:39
	v_cmp_gt_i32_e32 vcc_lo, v1, v33
	v_cndmask_b32_e64 v8, 0, 1, vcc_lo
	v_cmp_gt_i32_e32 vcc_lo, v1, v35
	v_cndmask_b32_e64 v9, 0, 1, vcc_lo
	v_cmp_gt_i32_e32 vcc_lo, v1, v34
	s_delay_alu instid0(VALU_DEP_4) | instskip(SKIP_1) | instid1(VALU_DEP_2)
	v_add_co_ci_u32_e32 v7, vcc_lo, v7, v8, vcc_lo
	v_cmp_gt_i32_e32 vcc_lo, v1, v36
	v_add_co_ci_u32_e32 v9, vcc_lo, v7, v9, vcc_lo
	ds_load_2addr_b32 v[7:8], v2 offset0:40 offset1:41
	v_cmp_gt_i32_e32 vcc_lo, v1, v37
	v_cndmask_b32_e64 v10, 0, 1, vcc_lo
	v_cmp_gt_i32_e32 vcc_lo, v1, v38
	s_delay_alu instid0(VALU_DEP_2)
	v_add_co_ci_u32_e32 v11, vcc_lo, v9, v10, vcc_lo
	ds_load_2addr_b32 v[9:10], v2 offset0:42 offset1:43
	s_waitcnt lgkmcnt(3)
	v_cmp_gt_i32_e32 vcc_lo, v1, v3
	v_cndmask_b32_e64 v3, 0, 1, vcc_lo
	v_cmp_gt_i32_e32 vcc_lo, v1, v4
	s_delay_alu instid0(VALU_DEP_2)
	v_add_co_ci_u32_e32 v11, vcc_lo, v11, v3, vcc_lo
	s_waitcnt lgkmcnt(2)
	v_cmp_gt_i32_e32 vcc_lo, v1, v5
	ds_load_2addr_b32 v[3:4], v2 offset0:44 offset1:45
	v_cndmask_b32_e64 v5, 0, 1, vcc_lo
	v_cmp_gt_i32_e32 vcc_lo, v1, v6
	s_delay_alu instid0(VALU_DEP_2)
	v_add_co_ci_u32_e32 v11, vcc_lo, v11, v5, vcc_lo
	ds_load_2addr_b32 v[5:6], v2 offset0:46 offset1:47
	s_waitcnt lgkmcnt(3)
	v_cmp_gt_i32_e32 vcc_lo, v1, v7
	v_cndmask_b32_e64 v7, 0, 1, vcc_lo
	v_cmp_gt_i32_e32 vcc_lo, v1, v8
	s_delay_alu instid0(VALU_DEP_2)
	v_add_co_ci_u32_e32 v11, vcc_lo, v11, v7, vcc_lo
	ds_load_2addr_b32 v[7:8], v2 offset0:48 offset1:49
	s_waitcnt lgkmcnt(3)
	v_cmp_gt_i32_e32 vcc_lo, v1, v9
	v_cndmask_b32_e64 v9, 0, 1, vcc_lo
	v_cmp_gt_i32_e32 vcc_lo, v1, v10
	s_delay_alu instid0(VALU_DEP_2)
	v_add_co_ci_u32_e32 v11, vcc_lo, v11, v9, vcc_lo
	ds_load_2addr_b32 v[9:10], v2 offset0:50 offset1:51
	s_waitcnt lgkmcnt(3)
	v_cmp_gt_i32_e32 vcc_lo, v1, v3
	v_cndmask_b32_e64 v3, 0, 1, vcc_lo
	v_cmp_gt_i32_e32 vcc_lo, v1, v4
	s_delay_alu instid0(VALU_DEP_2)
	v_add_co_ci_u32_e32 v11, vcc_lo, v11, v3, vcc_lo
	s_waitcnt lgkmcnt(2)
	v_cmp_gt_i32_e32 vcc_lo, v1, v5
	ds_load_2addr_b32 v[3:4], v2 offset0:52 offset1:53
	v_cndmask_b32_e64 v5, 0, 1, vcc_lo
	v_cmp_gt_i32_e32 vcc_lo, v1, v6
	s_delay_alu instid0(VALU_DEP_2)
	v_add_co_ci_u32_e32 v11, vcc_lo, v11, v5, vcc_lo
	ds_load_2addr_b32 v[5:6], v2 offset0:54 offset1:55
	s_waitcnt lgkmcnt(3)
	v_cmp_gt_i32_e32 vcc_lo, v1, v7
	v_cndmask_b32_e64 v7, 0, 1, vcc_lo
	v_cmp_gt_i32_e32 vcc_lo, v1, v8
	s_delay_alu instid0(VALU_DEP_2)
	v_add_co_ci_u32_e32 v11, vcc_lo, v11, v7, vcc_lo
	ds_load_2addr_b32 v[7:8], v2 offset0:56 offset1:57
	s_waitcnt lgkmcnt(3)
	;; [unrolled: 28-line block ×10, first 2 shown]
	v_cmp_gt_i32_e32 vcc_lo, v1, v9
	v_cndmask_b32_e64 v9, 0, 1, vcc_lo
	v_cmp_gt_i32_e32 vcc_lo, v1, v10
	s_delay_alu instid0(VALU_DEP_2)
	v_add_co_ci_u32_e32 v11, vcc_lo, v11, v9, vcc_lo
	ds_load_2addr_b32 v[9:10], v2 offset0:122 offset1:123
	s_waitcnt lgkmcnt(3)
	v_cmp_gt_i32_e32 vcc_lo, v1, v3
	v_cndmask_b32_e64 v3, 0, 1, vcc_lo
	v_cmp_gt_i32_e32 vcc_lo, v1, v4
	s_delay_alu instid0(VALU_DEP_2)
	v_add_co_ci_u32_e32 v11, vcc_lo, v11, v3, vcc_lo
	s_waitcnt lgkmcnt(2)
	v_cmp_gt_i32_e32 vcc_lo, v1, v5
	ds_load_2addr_b32 v[3:4], v2 offset0:124 offset1:125
	v_cndmask_b32_e64 v5, 0, 1, vcc_lo
	v_cmp_gt_i32_e32 vcc_lo, v1, v6
	s_delay_alu instid0(VALU_DEP_2)
	v_add_co_ci_u32_e32 v11, vcc_lo, v11, v5, vcc_lo
	ds_load_2addr_b32 v[5:6], v2 offset0:126 offset1:127
	s_waitcnt lgkmcnt(3)
	v_cmp_gt_i32_e32 vcc_lo, v1, v7
	v_cndmask_b32_e64 v2, 0, 1, vcc_lo
	v_cmp_gt_i32_e32 vcc_lo, v1, v8
	s_delay_alu instid0(VALU_DEP_2) | instskip(SKIP_4) | instid1(VALU_DEP_2)
	v_add_co_ci_u32_e32 v2, vcc_lo, v11, v2, vcc_lo
	s_waitcnt lgkmcnt(2)
	v_cmp_gt_i32_e32 vcc_lo, v1, v9
	v_cndmask_b32_e64 v7, 0, 1, vcc_lo
	v_cmp_gt_i32_e32 vcc_lo, v1, v10
	v_add_co_ci_u32_e32 v2, vcc_lo, v2, v7, vcc_lo
	s_waitcnt lgkmcnt(1)
	v_cmp_gt_i32_e32 vcc_lo, v1, v3
	v_cndmask_b32_e64 v3, 0, 1, vcc_lo
	v_cmp_gt_i32_e32 vcc_lo, v1, v4
	v_lshlrev_b32_e32 v4, 2, v0
	v_lshlrev_b32_e32 v0, 6, v0
	s_delay_alu instid0(VALU_DEP_4)
	v_add_co_ci_u32_e32 v2, vcc_lo, v2, v3, vcc_lo
	s_waitcnt lgkmcnt(0)
	v_cmp_gt_i32_e32 vcc_lo, v1, v5
	v_or_b32_e32 v5, s0, v4
	v_or_b32_e32 v4, s1, v4
	v_cndmask_b32_e64 v3, 0, 1, vcc_lo
	v_cmp_gt_i32_e32 vcc_lo, v1, v6
	s_delay_alu instid0(VALU_DEP_4) | instskip(NEXT) | instid1(VALU_DEP_4)
	v_lshl_add_u32 v6, v5, 4, 0
	v_lshl_add_u32 v10, v4, 4, 0
	s_delay_alu instid0(VALU_DEP_4) | instskip(NEXT) | instid1(VALU_DEP_1)
	v_add_co_ci_u32_e32 v2, vcc_lo, v2, v3, vcc_lo
	v_ashrrev_i32_e32 v3, 31, v2
	v_lshlrev_b32_e32 v20, 2, v2
	s_delay_alu instid0(VALU_DEP_2)
	v_lshlrev_b64 v[18:19], 2, v[2:3]
	v_add_nc_u32_e32 v2, 0, v0
	v_add3_u32 v0, 0, 0x200, v0
	ds_load_2addr_b64 v[2:5], v2 offset0:64 offset1:65
	ds_load_2addr_b64 v[6:9], v6 offset0:64 offset1:65
	;; [unrolled: 1-line block ×4, first 2 shown]
	v_ashrrev_i32_e32 v21, 31, v20
	v_add_co_u32 v18, vcc_lo, s24, v18
	v_add_co_ci_u32_e32 v19, vcc_lo, s25, v19, vcc_lo
	s_delay_alu instid0(VALU_DEP_3) | instskip(NEXT) | instid1(VALU_DEP_1)
	v_lshlrev_b64 v[0:1], 4, v[20:21]
	v_add_co_u32 v0, vcc_lo, s26, v0
	s_delay_alu instid0(VALU_DEP_2)
	v_add_co_ci_u32_e32 v1, vcc_lo, s27, v1, vcc_lo
	global_store_b32 v[18:19], v22, off
	s_waitcnt lgkmcnt(3)
	global_store_b128 v[0:1], v[2:5], off
	s_waitcnt lgkmcnt(2)
	global_store_b128 v[0:1], v[6:9], off offset:16
	s_waitcnt lgkmcnt(1)
	global_store_b128 v[0:1], v[10:13], off offset:32
	;; [unrolled: 2-line block ×3, first 2 shown]
.LBB69_189:
	s_nop 0
	s_sendmsg sendmsg(MSG_DEALLOC_VGPRS)
	s_endpgm
	.section	.rodata,"a",@progbits
	.p2align	6, 0x0
	.amdhsa_kernel _ZN9rocsparseL30bsrgemm_fill_block_per_row_2x2ILj256ELj16ELj128ELj137Eii21rocsparse_complex_numIdEEEv20rocsparse_direction_T4_S4_PKS4_S6_NS_24const_host_device_scalarIT5_EEPKT3_S6_PKS8_SC_S6_SE_S9_SC_S6_SE_SC_PS4_PS8_21rocsparse_index_base_SH_SH_SH_bbb
		.amdhsa_group_segment_fixed_size 0
		.amdhsa_private_segment_fixed_size 24
		.amdhsa_kernarg_size 180
		.amdhsa_user_sgpr_count 15
		.amdhsa_user_sgpr_dispatch_ptr 0
		.amdhsa_user_sgpr_queue_ptr 0
		.amdhsa_user_sgpr_kernarg_segment_ptr 1
		.amdhsa_user_sgpr_dispatch_id 0
		.amdhsa_user_sgpr_private_segment_size 0
		.amdhsa_wavefront_size32 1
		.amdhsa_uses_dynamic_stack 0
		.amdhsa_enable_private_segment 1
		.amdhsa_system_sgpr_workgroup_id_x 1
		.amdhsa_system_sgpr_workgroup_id_y 0
		.amdhsa_system_sgpr_workgroup_id_z 0
		.amdhsa_system_sgpr_workgroup_info 0
		.amdhsa_system_vgpr_workitem_id 0
		.amdhsa_next_free_vgpr 58
		.amdhsa_next_free_sgpr 46
		.amdhsa_reserve_vcc 1
		.amdhsa_float_round_mode_32 0
		.amdhsa_float_round_mode_16_64 0
		.amdhsa_float_denorm_mode_32 3
		.amdhsa_float_denorm_mode_16_64 3
		.amdhsa_dx10_clamp 1
		.amdhsa_ieee_mode 1
		.amdhsa_fp16_overflow 0
		.amdhsa_workgroup_processor_mode 1
		.amdhsa_memory_ordered 1
		.amdhsa_forward_progress 0
		.amdhsa_shared_vgpr_count 0
		.amdhsa_exception_fp_ieee_invalid_op 0
		.amdhsa_exception_fp_denorm_src 0
		.amdhsa_exception_fp_ieee_div_zero 0
		.amdhsa_exception_fp_ieee_overflow 0
		.amdhsa_exception_fp_ieee_underflow 0
		.amdhsa_exception_fp_ieee_inexact 0
		.amdhsa_exception_int_div_zero 0
	.end_amdhsa_kernel
	.section	.text._ZN9rocsparseL30bsrgemm_fill_block_per_row_2x2ILj256ELj16ELj128ELj137Eii21rocsparse_complex_numIdEEEv20rocsparse_direction_T4_S4_PKS4_S6_NS_24const_host_device_scalarIT5_EEPKT3_S6_PKS8_SC_S6_SE_S9_SC_S6_SE_SC_PS4_PS8_21rocsparse_index_base_SH_SH_SH_bbb,"axG",@progbits,_ZN9rocsparseL30bsrgemm_fill_block_per_row_2x2ILj256ELj16ELj128ELj137Eii21rocsparse_complex_numIdEEEv20rocsparse_direction_T4_S4_PKS4_S6_NS_24const_host_device_scalarIT5_EEPKT3_S6_PKS8_SC_S6_SE_S9_SC_S6_SE_SC_PS4_PS8_21rocsparse_index_base_SH_SH_SH_bbb,comdat
.Lfunc_end69:
	.size	_ZN9rocsparseL30bsrgemm_fill_block_per_row_2x2ILj256ELj16ELj128ELj137Eii21rocsparse_complex_numIdEEEv20rocsparse_direction_T4_S4_PKS4_S6_NS_24const_host_device_scalarIT5_EEPKT3_S6_PKS8_SC_S6_SE_S9_SC_S6_SE_SC_PS4_PS8_21rocsparse_index_base_SH_SH_SH_bbb, .Lfunc_end69-_ZN9rocsparseL30bsrgemm_fill_block_per_row_2x2ILj256ELj16ELj128ELj137Eii21rocsparse_complex_numIdEEEv20rocsparse_direction_T4_S4_PKS4_S6_NS_24const_host_device_scalarIT5_EEPKT3_S6_PKS8_SC_S6_SE_S9_SC_S6_SE_SC_PS4_PS8_21rocsparse_index_base_SH_SH_SH_bbb
                                        ; -- End function
	.section	.AMDGPU.csdata,"",@progbits
; Kernel info:
; codeLenInByte = 8988
; NumSgprs: 48
; NumVgprs: 58
; ScratchSize: 24
; MemoryBound: 0
; FloatMode: 240
; IeeeMode: 1
; LDSByteSize: 0 bytes/workgroup (compile time only)
; SGPRBlocks: 5
; VGPRBlocks: 7
; NumSGPRsForWavesPerEU: 48
; NumVGPRsForWavesPerEU: 58
; Occupancy: 16
; WaveLimiterHint : 1
; COMPUTE_PGM_RSRC2:SCRATCH_EN: 1
; COMPUTE_PGM_RSRC2:USER_SGPR: 15
; COMPUTE_PGM_RSRC2:TRAP_HANDLER: 0
; COMPUTE_PGM_RSRC2:TGID_X_EN: 1
; COMPUTE_PGM_RSRC2:TGID_Y_EN: 0
; COMPUTE_PGM_RSRC2:TGID_Z_EN: 0
; COMPUTE_PGM_RSRC2:TIDIG_COMP_CNT: 0
	.section	.text._ZN9rocsparseL30bsrgemm_fill_block_per_row_2x2ILj256ELj16ELj256ELj137Eii21rocsparse_complex_numIdEEEv20rocsparse_direction_T4_S4_PKS4_S6_NS_24const_host_device_scalarIT5_EEPKT3_S6_PKS8_SC_S6_SE_S9_SC_S6_SE_SC_PS4_PS8_21rocsparse_index_base_SH_SH_SH_bbb,"axG",@progbits,_ZN9rocsparseL30bsrgemm_fill_block_per_row_2x2ILj256ELj16ELj256ELj137Eii21rocsparse_complex_numIdEEEv20rocsparse_direction_T4_S4_PKS4_S6_NS_24const_host_device_scalarIT5_EEPKT3_S6_PKS8_SC_S6_SE_S9_SC_S6_SE_SC_PS4_PS8_21rocsparse_index_base_SH_SH_SH_bbb,comdat
	.globl	_ZN9rocsparseL30bsrgemm_fill_block_per_row_2x2ILj256ELj16ELj256ELj137Eii21rocsparse_complex_numIdEEEv20rocsparse_direction_T4_S4_PKS4_S6_NS_24const_host_device_scalarIT5_EEPKT3_S6_PKS8_SC_S6_SE_S9_SC_S6_SE_SC_PS4_PS8_21rocsparse_index_base_SH_SH_SH_bbb ; -- Begin function _ZN9rocsparseL30bsrgemm_fill_block_per_row_2x2ILj256ELj16ELj256ELj137Eii21rocsparse_complex_numIdEEEv20rocsparse_direction_T4_S4_PKS4_S6_NS_24const_host_device_scalarIT5_EEPKT3_S6_PKS8_SC_S6_SE_S9_SC_S6_SE_SC_PS4_PS8_21rocsparse_index_base_SH_SH_SH_bbb
	.p2align	8
	.type	_ZN9rocsparseL30bsrgemm_fill_block_per_row_2x2ILj256ELj16ELj256ELj137Eii21rocsparse_complex_numIdEEEv20rocsparse_direction_T4_S4_PKS4_S6_NS_24const_host_device_scalarIT5_EEPKT3_S6_PKS8_SC_S6_SE_S9_SC_S6_SE_SC_PS4_PS8_21rocsparse_index_base_SH_SH_SH_bbb,@function
_ZN9rocsparseL30bsrgemm_fill_block_per_row_2x2ILj256ELj16ELj256ELj137Eii21rocsparse_complex_numIdEEEv20rocsparse_direction_T4_S4_PKS4_S6_NS_24const_host_device_scalarIT5_EEPKT3_S6_PKS8_SC_S6_SE_S9_SC_S6_SE_SC_PS4_PS8_21rocsparse_index_base_SH_SH_SH_bbb: ; @_ZN9rocsparseL30bsrgemm_fill_block_per_row_2x2ILj256ELj16ELj256ELj137Eii21rocsparse_complex_numIdEEEv20rocsparse_direction_T4_S4_PKS4_S6_NS_24const_host_device_scalarIT5_EEPKT3_S6_PKS8_SC_S6_SE_S9_SC_S6_SE_SC_PS4_PS8_21rocsparse_index_base_SH_SH_SH_bbb
; %bb.0:
	s_clause 0x2
	s_load_b32 s12, s[0:1], 0xb0
	s_load_b128 s[8:11], s[0:1], 0x20
	s_load_b128 s[4:7], s[0:1], 0x60
	v_mov_b32_e32 v17, 0
	v_mov_b32_e32 v18, 0
	s_mov_b32 s34, s15
	s_waitcnt lgkmcnt(0)
	s_bitcmp1_b32 s12, 0
	v_mov_b32_e32 v1, s8
	s_cselect_b32 s35, -1, 0
	s_bitcmp1_b32 s12, 16
	v_dual_mov_b32 v22, v18 :: v_dual_mov_b32 v21, v17
	s_cselect_b32 s2, -1, 0
	v_mov_b32_e32 v2, s9
	s_xor_b32 s3, s2, -1
	v_dual_mov_b32 v24, v18 :: v_dual_mov_b32 v23, v17
	v_cndmask_b32_e64 v5, 0, 1, s3
	v_dual_mov_b32 v3, s4 :: v_dual_mov_b32 v4, s5
	s_bitcmp0_b32 s12, 0
	s_clause 0x1
	scratch_store_b64 off, v[1:2], off
	scratch_store_b64 off, v[3:4], off offset:8
	v_cmp_ne_u32_e32 vcc_lo, 1, v5
	s_cbranch_scc1 .LBB70_3
; %bb.1:
	s_mov_b64 s[14:15], src_private_base
	s_and_b32 s13, s2, exec_lo
	s_cselect_b32 s13, s15, s9
	s_delay_alu instid0(SALU_CYCLE_1) | instskip(SKIP_2) | instid1(VALU_DEP_2)
	v_dual_mov_b32 v1, 0 :: v_dual_mov_b32 v2, s13
	v_dual_mov_b32 v24, s11 :: v_dual_mov_b32 v23, s10
	s_and_b32 vcc_lo, exec_lo, vcc_lo
	v_cndmask_b32_e64 v1, s8, v1, s2
	flat_load_b64 v[21:22], v[1:2]
	s_cbranch_vccnz .LBB70_3
; %bb.2:
	v_dual_mov_b32 v1, s8 :: v_dual_mov_b32 v2, s9
	flat_load_b64 v[23:24], v[1:2] offset:8
.LBB70_3:
	s_load_b128 s[20:23], s[0:1], 0xa0
	s_bitcmp1_b32 s12, 8
	v_dual_mov_b32 v20, v18 :: v_dual_mov_b32 v19, v17
	s_cselect_b32 s33, -1, 0
	s_bfe_u32 s8, s12, 0x10008
	s_delay_alu instid0(SALU_CYCLE_1)
	s_cmp_eq_u32 s8, 0
	s_cbranch_scc1 .LBB70_6
; %bb.4:
	s_mov_b64 s[8:9], src_private_base
	s_and_b32 s8, s2, exec_lo
	s_cselect_b32 s8, s9, s5
	s_delay_alu instid0(SALU_CYCLE_1) | instskip(SKIP_2) | instid1(VALU_DEP_2)
	v_dual_mov_b32 v1, 8 :: v_dual_mov_b32 v2, s8
	v_dual_mov_b32 v18, s7 :: v_dual_mov_b32 v17, s6
	s_and_not1_b32 vcc_lo, exec_lo, s3
	v_cndmask_b32_e64 v1, s4, v1, s2
	flat_load_b64 v[19:20], v[1:2]
	s_cbranch_vccnz .LBB70_6
; %bb.5:
	v_dual_mov_b32 v1, s4 :: v_dual_mov_b32 v2, s5
	flat_load_b64 v[17:18], v[1:2] offset:8
.LBB70_6:
	s_clause 0x5
	s_load_b128 s[24:27], s[0:1], 0x90
	s_load_b256 s[4:11], s[0:1], 0x70
	s_load_b128 s[28:31], s[0:1], 0x50
	s_load_b256 s[12:19], s[0:1], 0x30
	s_load_b128 s[36:39], s[0:1], 0x10
	s_load_b32 s3, s[0:1], 0x8
	v_cmp_gt_u32_e64 s2, 0x100, v0
	v_lshl_add_u32 v50, v0, 2, 0
	s_delay_alu instid0(VALU_DEP_2)
	s_and_saveexec_b32 s40, s2
	s_cbranch_execz .LBB70_8
; %bb.7:
	s_waitcnt lgkmcnt(0)
	v_mov_b32_e32 v1, s3
	ds_store_b32 v50, v1
.LBB70_8:
	s_or_b32 exec_lo, exec_lo, s40
	s_mov_b32 s40, 0
	v_or_b32_e32 v5, 0xffffff00, v0
	s_mov_b32 s41, s40
	v_lshlrev_b32_e32 v1, 4, v0
	s_mov_b32 s42, s40
	s_mov_b32 s43, s40
	s_delay_alu instid0(SALU_CYCLE_1) | instskip(NEXT) | instid1(VALU_DEP_2)
	v_dual_mov_b32 v3, s42 :: v_dual_mov_b32 v4, s43
	v_add3_u32 v6, v1, 0, 0x400
	v_dual_mov_b32 v1, s40 :: v_dual_mov_b32 v2, s41
.LBB70_9:                               ; =>This Inner Loop Header: Depth=1
	v_add_nc_u32_e32 v5, 0x100, v5
	ds_store_2addr_b64 v6, v[1:2], v[3:4] offset1:1
	v_add_nc_u32_e32 v6, 0x1000, v6
	v_cmp_lt_u32_e32 vcc_lo, 0x2ff, v5
	s_or_b32 s40, vcc_lo, s40
	s_delay_alu instid0(SALU_CYCLE_1)
	s_and_not1_b32 exec_lo, exec_lo, s40
	s_cbranch_execnz .LBB70_9
; %bb.10:
	s_or_b32 exec_lo, exec_lo, s40
	s_waitcnt lgkmcnt(0)
	s_cmp_lg_u64 s[38:39], 0
	s_waitcnt vmcnt(0)
	s_waitcnt_vscnt null, 0x0
	s_barrier
	buffer_gl0_inv
	s_cbranch_scc0 .LBB70_12
; %bb.11:
	s_load_b32 s36, s[36:37], 0x0
	s_mov_b32 s37, 0
	s_waitcnt lgkmcnt(0)
	s_add_i32 s36, s36, s34
	s_delay_alu instid0(SALU_CYCLE_1) | instskip(NEXT) | instid1(SALU_CYCLE_1)
	s_lshl_b64 s[36:37], s[36:37], 2
	s_add_u32 s36, s38, s36
	s_addc_u32 s37, s39, s37
	s_load_b32 s34, s[36:37], 0x0
.LBB70_12:
	s_load_b32 s0, s[0:1], 0x0
	s_and_not1_b32 vcc_lo, exec_lo, s35
	s_waitcnt lgkmcnt(0)
	s_ashr_i32 s35, s34, 31
	s_cbranch_vccnz .LBB70_100
; %bb.13:
	s_lshl_b64 s[36:37], s[34:35], 2
	v_lshrrev_b32_e32 v1, 4, v0
	s_add_u32 s12, s12, s36
	s_addc_u32 s13, s13, s37
	s_load_b64 s[12:13], s[12:13], 0x0
	s_delay_alu instid0(VALU_DEP_1) | instskip(SKIP_1) | instid1(VALU_DEP_1)
	v_subrev_nc_u32_e32 v1, s20, v1
	s_waitcnt lgkmcnt(0)
	v_add_nc_u32_e32 v25, s12, v1
	s_sub_i32 s1, s13, s20
	s_mov_b32 s12, exec_lo
	s_delay_alu instid0(VALU_DEP_1)
	v_cmpx_gt_i32_e64 s1, v25
	s_cbranch_execz .LBB70_99
; %bb.14:
	v_and_b32_e32 v1, 15, v0
	s_cmp_eq_u32 s0, 0
	s_mov_b32 s13, 0
	s_cselect_b32 s36, 1, 2
	s_cselect_b32 s37, 2, 1
	v_subrev_nc_u32_e32 v51, s21, v1
	s_branch .LBB70_16
.LBB70_15:                              ;   in Loop: Header=BB70_16 Depth=1
	s_or_b32 exec_lo, exec_lo, s38
	v_add_nc_u32_e32 v25, 16, v25
	s_delay_alu instid0(VALU_DEP_1) | instskip(SKIP_1) | instid1(SALU_CYCLE_1)
	v_cmp_le_i32_e32 vcc_lo, s1, v25
	s_or_b32 s13, vcc_lo, s13
	s_and_not1_b32 exec_lo, exec_lo, s13
	s_cbranch_execz .LBB70_99
.LBB70_16:                              ; =>This Loop Header: Depth=1
                                        ;     Child Loop BB70_19 Depth 2
                                        ;       Child Loop BB70_21 Depth 3
                                        ;         Child Loop BB70_27 Depth 4
                                        ;         Child Loop BB70_29 Depth 4
                                        ;         Child Loop BB70_35 Depth 4
                                        ;         Child Loop BB70_37 Depth 4
                                        ;       Child Loop BB70_41 Depth 3
                                        ;         Child Loop BB70_47 Depth 4
                                        ;         Child Loop BB70_49 Depth 4
                                        ;         Child Loop BB70_55 Depth 4
                                        ;         Child Loop BB70_57 Depth 4
	;; [unrolled: 5-line block ×4, first 2 shown]
	v_ashrrev_i32_e32 v26, 31, v25
	s_mov_b32 s38, exec_lo
	s_delay_alu instid0(VALU_DEP_1) | instskip(NEXT) | instid1(VALU_DEP_1)
	v_lshlrev_b64 v[1:2], 2, v[25:26]
	v_add_co_u32 v1, vcc_lo, s14, v1
	s_delay_alu instid0(VALU_DEP_2) | instskip(SKIP_3) | instid1(VALU_DEP_1)
	v_add_co_ci_u32_e32 v2, vcc_lo, s15, v2, vcc_lo
	global_load_b32 v1, v[1:2], off
	s_waitcnt vmcnt(0)
	v_subrev_nc_u32_e32 v1, s20, v1
	v_ashrrev_i32_e32 v2, 31, v1
	s_delay_alu instid0(VALU_DEP_1) | instskip(NEXT) | instid1(VALU_DEP_1)
	v_lshlrev_b64 v[1:2], 2, v[1:2]
	v_add_co_u32 v1, vcc_lo, s18, v1
	s_delay_alu instid0(VALU_DEP_2) | instskip(SKIP_4) | instid1(VALU_DEP_1)
	v_add_co_ci_u32_e32 v2, vcc_lo, s19, v2, vcc_lo
	global_load_b64 v[1:2], v[1:2], off
	s_waitcnt vmcnt(0)
	v_subrev_nc_u32_e32 v52, s21, v2
	v_add_nc_u32_e32 v26, v1, v51
	v_cmpx_lt_i32_e64 v26, v52
	s_cbranch_execz .LBB70_15
; %bb.17:                               ;   in Loop: Header=BB70_16 Depth=1
	v_lshlrev_b32_e32 v1, 2, v25
	s_mov_b32 s39, 0
	s_delay_alu instid0(VALU_DEP_1) | instskip(SKIP_2) | instid1(VALU_DEP_3)
	v_or_b32_e32 v3, s36, v1
	v_ashrrev_i32_e32 v2, 31, v1
	v_or_b32_e32 v5, s37, v1
	v_ashrrev_i32_e32 v4, 31, v3
	s_delay_alu instid0(VALU_DEP_3) | instskip(NEXT) | instid1(VALU_DEP_3)
	v_lshlrev_b64 v[1:2], 4, v[1:2]
	v_ashrrev_i32_e32 v6, 31, v5
	s_delay_alu instid0(VALU_DEP_3) | instskip(NEXT) | instid1(VALU_DEP_3)
	v_lshlrev_b64 v[9:10], 4, v[3:4]
	v_add_co_u32 v7, vcc_lo, s16, v1
	s_delay_alu instid0(VALU_DEP_3) | instskip(SKIP_1) | instid1(VALU_DEP_4)
	v_lshlrev_b64 v[5:6], 4, v[5:6]
	v_add_co_ci_u32_e32 v8, vcc_lo, s17, v2, vcc_lo
	v_add_co_u32 v9, vcc_lo, s16, v9
	v_add_co_ci_u32_e32 v10, vcc_lo, s17, v10, vcc_lo
	s_delay_alu instid0(VALU_DEP_4)
	v_add_co_u32 v13, vcc_lo, s16, v5
	v_add_co_ci_u32_e32 v14, vcc_lo, s17, v6, vcc_lo
	s_clause 0x3
	global_load_b128 v[1:4], v[7:8], off
	global_load_b128 v[5:8], v[7:8], off offset:48
	global_load_b128 v[9:12], v[9:10], off
	global_load_b128 v[13:16], v[13:14], off
	s_waitcnt vmcnt(2)
	v_mul_f64 v[32:33], v[7:8], -v[23:24]
	v_mul_f64 v[27:28], v[3:4], -v[23:24]
	v_mul_f64 v[3:4], v[21:22], v[3:4]
	v_mul_f64 v[7:8], v[21:22], v[7:8]
	s_waitcnt vmcnt(1)
	v_mul_f64 v[36:37], v[11:12], -v[23:24]
	v_mul_f64 v[11:12], v[21:22], v[11:12]
	s_waitcnt vmcnt(0)
	v_mul_f64 v[40:41], v[15:16], -v[23:24]
	v_mul_f64 v[15:16], v[21:22], v[15:16]
	v_fma_f64 v[32:33], v[21:22], v[5:6], v[32:33]
	v_fma_f64 v[28:29], v[21:22], v[1:2], v[27:28]
	;; [unrolled: 1-line block ×8, first 2 shown]
	s_branch .LBB70_19
.LBB70_18:                              ;   in Loop: Header=BB70_19 Depth=2
	s_or_b32 exec_lo, exec_lo, s40
	v_add_nc_u32_e32 v26, 16, v26
	s_delay_alu instid0(VALU_DEP_1) | instskip(SKIP_1) | instid1(SALU_CYCLE_1)
	v_cmp_ge_i32_e32 vcc_lo, v26, v52
	s_or_b32 s39, vcc_lo, s39
	s_and_not1_b32 exec_lo, exec_lo, s39
	s_cbranch_execz .LBB70_15
.LBB70_19:                              ;   Parent Loop BB70_16 Depth=1
                                        ; =>  This Loop Header: Depth=2
                                        ;       Child Loop BB70_21 Depth 3
                                        ;         Child Loop BB70_27 Depth 4
                                        ;         Child Loop BB70_29 Depth 4
                                        ;         Child Loop BB70_35 Depth 4
                                        ;         Child Loop BB70_37 Depth 4
                                        ;       Child Loop BB70_41 Depth 3
                                        ;         Child Loop BB70_47 Depth 4
                                        ;         Child Loop BB70_49 Depth 4
                                        ;         Child Loop BB70_55 Depth 4
                                        ;         Child Loop BB70_57 Depth 4
	;; [unrolled: 5-line block ×4, first 2 shown]
	v_lshlrev_b32_e32 v1, 2, v26
	v_ashrrev_i32_e32 v27, 31, v26
	s_mov_b32 s40, 0
	s_delay_alu instid0(VALU_DEP_2) | instskip(NEXT) | instid1(VALU_DEP_1)
	v_or_b32_e32 v2, s37, v1
	v_ashrrev_i32_e32 v3, 31, v2
	s_delay_alu instid0(VALU_DEP_1) | instskip(NEXT) | instid1(VALU_DEP_1)
	v_lshlrev_b64 v[2:3], 4, v[2:3]
	v_add_co_u32 v2, vcc_lo, s30, v2
	s_delay_alu instid0(VALU_DEP_2) | instskip(SKIP_2) | instid1(VALU_DEP_1)
	v_add_co_ci_u32_e32 v3, vcc_lo, s31, v3, vcc_lo
	global_load_b128 v[13:16], v[2:3], off
	v_ashrrev_i32_e32 v2, 31, v1
	v_lshlrev_b64 v[2:3], 4, v[1:2]
	s_delay_alu instid0(VALU_DEP_1) | instskip(NEXT) | instid1(VALU_DEP_2)
	v_add_co_u32 v5, vcc_lo, s30, v2
	v_add_co_ci_u32_e32 v6, vcc_lo, s31, v3, vcc_lo
	v_lshlrev_b64 v[2:3], 2, v[26:27]
	global_load_b128 v[9:12], v[5:6], off
	v_add_co_u32 v2, vcc_lo, s28, v2
	v_add_co_ci_u32_e32 v3, vcc_lo, s29, v3, vcc_lo
	global_load_b32 v27, v[2:3], off
	s_waitcnt vmcnt(2)
	v_mul_f64 v[44:45], v[15:16], -v[38:39]
	v_mul_f64 v[46:47], v[36:37], v[15:16]
	s_waitcnt vmcnt(0)
	v_subrev_nc_u32_e32 v27, s21, v27
	s_delay_alu instid0(VALU_DEP_1) | instskip(NEXT) | instid1(VALU_DEP_4)
	v_mul_lo_u32 v48, 0x89, v27
	v_fma_f64 v[44:45], v[36:37], v[13:14], v[44:45]
	s_delay_alu instid0(VALU_DEP_4) | instskip(NEXT) | instid1(VALU_DEP_3)
	v_fma_f64 v[46:47], v[38:39], v[13:14], v[46:47]
	v_and_b32_e32 v53, 0xff, v48
	s_delay_alu instid0(VALU_DEP_1) | instskip(SKIP_1) | instid1(VALU_DEP_1)
	v_mov_b32_e32 v54, v53
	v_or_b32_e32 v1, s36, v1
	v_ashrrev_i32_e32 v2, 31, v1
	s_delay_alu instid0(VALU_DEP_1) | instskip(NEXT) | instid1(VALU_DEP_1)
	v_lshlrev_b64 v[1:2], 4, v[1:2]
	v_add_co_u32 v1, vcc_lo, s30, v1
	s_delay_alu instid0(VALU_DEP_2)
	v_add_co_ci_u32_e32 v2, vcc_lo, s31, v2, vcc_lo
	s_clause 0x1
	global_load_b128 v[1:4], v[1:2], off
	global_load_b128 v[5:8], v[5:6], off offset:48
	v_fma_f64 v[44:45], v[28:29], v[9:10], v[44:45]
	v_fma_f64 v[46:47], v[30:31], v[9:10], v[46:47]
	s_delay_alu instid0(VALU_DEP_2) | instskip(NEXT) | instid1(VALU_DEP_2)
	v_fma_f64 v[44:45], -v[30:31], v[11:12], v[44:45]
	v_fma_f64 v[46:47], v[28:29], v[11:12], v[46:47]
	s_branch .LBB70_21
.LBB70_20:                              ;   in Loop: Header=BB70_21 Depth=3
	s_or_b32 exec_lo, exec_lo, s41
	s_xor_b32 s41, s42, -1
	s_delay_alu instid0(SALU_CYCLE_1) | instskip(NEXT) | instid1(SALU_CYCLE_1)
	s_and_b32 s41, exec_lo, s41
	s_or_b32 s40, s41, s40
	s_delay_alu instid0(SALU_CYCLE_1)
	s_and_not1_b32 exec_lo, exec_lo, s40
	s_cbranch_execz .LBB70_39
.LBB70_21:                              ;   Parent Loop BB70_16 Depth=1
                                        ;     Parent Loop BB70_19 Depth=2
                                        ; =>    This Loop Header: Depth=3
                                        ;         Child Loop BB70_27 Depth 4
                                        ;         Child Loop BB70_29 Depth 4
	;; [unrolled: 1-line block ×4, first 2 shown]
	v_lshl_add_u32 v48, v54, 2, 0
	s_mov_b32 s41, exec_lo
                                        ; implicit-def: $sgpr42
	ds_load_b32 v49, v48
	s_waitcnt lgkmcnt(0)
	v_cmpx_ne_u32_e64 v49, v27
	s_xor_b32 s41, exec_lo, s41
	s_cbranch_execz .LBB70_33
; %bb.22:                               ;   in Loop: Header=BB70_21 Depth=3
	s_mov_b32 s43, exec_lo
                                        ; implicit-def: $sgpr42
	v_cmpx_ne_u32_e64 s3, v49
	s_xor_b32 s43, exec_lo, s43
; %bb.23:                               ;   in Loop: Header=BB70_21 Depth=3
	v_add_nc_u32_e32 v48, 1, v54
	s_mov_b32 s42, -1
	s_delay_alu instid0(VALU_DEP_1)
	v_and_b32_e32 v54, 0xff, v48
                                        ; implicit-def: $vgpr48
; %bb.24:                               ;   in Loop: Header=BB70_21 Depth=3
	s_and_not1_saveexec_b32 s43, s43
	s_cbranch_execz .LBB70_32
; %bb.25:                               ;   in Loop: Header=BB70_21 Depth=3
	v_mov_b32_e32 v49, s3
	s_mov_b32 s45, -1
	s_mov_b32 s44, exec_lo
	ds_cmpstore_rtn_b32 v49, v48, v27, v49
	s_waitcnt lgkmcnt(0)
	v_cmpx_eq_u32_e64 s3, v49
	s_cbranch_execz .LBB70_31
; %bb.26:                               ;   in Loop: Header=BB70_21 Depth=3
	v_mul_lo_u32 v49, v54, 60
	s_mov_b32 s45, 0
	s_delay_alu instid0(VALU_DEP_1)
	v_add_nc_u32_e32 v55, v48, v49
	ds_load_b64 v[48:49], v55 offset:1024
.LBB70_27:                              ;   Parent Loop BB70_16 Depth=1
                                        ;     Parent Loop BB70_19 Depth=2
                                        ;       Parent Loop BB70_21 Depth=3
                                        ; =>      This Inner Loop Header: Depth=4
	s_waitcnt lgkmcnt(0)
	v_add_f64 v[56:57], v[48:49], v[44:45]
	ds_cmpstore_rtn_b64 v[56:57], v55, v[56:57], v[48:49] offset:1024
	s_waitcnt lgkmcnt(0)
	v_cmp_eq_u64_e32 vcc_lo, v[56:57], v[48:49]
	v_dual_mov_b32 v48, v56 :: v_dual_mov_b32 v49, v57
	s_or_b32 s45, vcc_lo, s45
	s_delay_alu instid0(SALU_CYCLE_1)
	s_and_not1_b32 exec_lo, exec_lo, s45
	s_cbranch_execnz .LBB70_27
; %bb.28:                               ;   in Loop: Header=BB70_21 Depth=3
	s_or_b32 exec_lo, exec_lo, s45
	ds_load_b64 v[48:49], v55 offset:1032
	s_mov_b32 s45, 0
.LBB70_29:                              ;   Parent Loop BB70_16 Depth=1
                                        ;     Parent Loop BB70_19 Depth=2
                                        ;       Parent Loop BB70_21 Depth=3
                                        ; =>      This Inner Loop Header: Depth=4
	s_waitcnt lgkmcnt(0)
	v_add_f64 v[56:57], v[48:49], v[46:47]
	ds_cmpstore_rtn_b64 v[56:57], v55, v[56:57], v[48:49] offset:1032
	s_waitcnt lgkmcnt(0)
	v_cmp_eq_u64_e32 vcc_lo, v[56:57], v[48:49]
	v_dual_mov_b32 v48, v56 :: v_dual_mov_b32 v49, v57
	s_or_b32 s45, vcc_lo, s45
	s_delay_alu instid0(SALU_CYCLE_1)
	s_and_not1_b32 exec_lo, exec_lo, s45
	s_cbranch_execnz .LBB70_29
; %bb.30:                               ;   in Loop: Header=BB70_21 Depth=3
	s_or_b32 exec_lo, exec_lo, s45
	s_delay_alu instid0(SALU_CYCLE_1)
	s_xor_b32 s45, exec_lo, -1
.LBB70_31:                              ;   in Loop: Header=BB70_21 Depth=3
	s_or_b32 exec_lo, exec_lo, s44
	s_delay_alu instid0(SALU_CYCLE_1) | instskip(SKIP_1) | instid1(SALU_CYCLE_1)
	s_and_not1_b32 s42, s42, exec_lo
	s_and_b32 s44, s45, exec_lo
	s_or_b32 s42, s42, s44
.LBB70_32:                              ;   in Loop: Header=BB70_21 Depth=3
	s_or_b32 exec_lo, exec_lo, s43
	s_delay_alu instid0(SALU_CYCLE_1)
	s_and_b32 s42, s42, exec_lo
                                        ; implicit-def: $vgpr48
.LBB70_33:                              ;   in Loop: Header=BB70_21 Depth=3
	s_and_not1_saveexec_b32 s41, s41
	s_cbranch_execz .LBB70_20
; %bb.34:                               ;   in Loop: Header=BB70_21 Depth=3
	v_mul_lo_u32 v49, v54, 60
	s_mov_b32 s43, 0
	s_delay_alu instid0(VALU_DEP_1)
	v_add_nc_u32_e32 v55, v48, v49
	ds_load_b64 v[48:49], v55 offset:1024
.LBB70_35:                              ;   Parent Loop BB70_16 Depth=1
                                        ;     Parent Loop BB70_19 Depth=2
                                        ;       Parent Loop BB70_21 Depth=3
                                        ; =>      This Inner Loop Header: Depth=4
	s_waitcnt lgkmcnt(0)
	v_add_f64 v[56:57], v[48:49], v[44:45]
	ds_cmpstore_rtn_b64 v[56:57], v55, v[56:57], v[48:49] offset:1024
	s_waitcnt lgkmcnt(0)
	v_cmp_eq_u64_e32 vcc_lo, v[56:57], v[48:49]
	v_dual_mov_b32 v48, v56 :: v_dual_mov_b32 v49, v57
	s_or_b32 s43, vcc_lo, s43
	s_delay_alu instid0(SALU_CYCLE_1)
	s_and_not1_b32 exec_lo, exec_lo, s43
	s_cbranch_execnz .LBB70_35
; %bb.36:                               ;   in Loop: Header=BB70_21 Depth=3
	s_or_b32 exec_lo, exec_lo, s43
	ds_load_b64 v[48:49], v55 offset:1032
	s_mov_b32 s43, 0
.LBB70_37:                              ;   Parent Loop BB70_16 Depth=1
                                        ;     Parent Loop BB70_19 Depth=2
                                        ;       Parent Loop BB70_21 Depth=3
                                        ; =>      This Inner Loop Header: Depth=4
	s_waitcnt lgkmcnt(0)
	v_add_f64 v[56:57], v[48:49], v[46:47]
	ds_cmpstore_rtn_b64 v[56:57], v55, v[56:57], v[48:49] offset:1032
	s_waitcnt lgkmcnt(0)
	v_cmp_eq_u64_e32 vcc_lo, v[56:57], v[48:49]
	v_dual_mov_b32 v48, v56 :: v_dual_mov_b32 v49, v57
	s_or_b32 s43, vcc_lo, s43
	s_delay_alu instid0(SALU_CYCLE_1)
	s_and_not1_b32 exec_lo, exec_lo, s43
	s_cbranch_execnz .LBB70_37
; %bb.38:                               ;   in Loop: Header=BB70_21 Depth=3
	s_or_b32 exec_lo, exec_lo, s43
	s_delay_alu instid0(SALU_CYCLE_1)
	s_and_not1_b32 s42, s42, exec_lo
	s_branch .LBB70_20
.LBB70_39:                              ;   in Loop: Header=BB70_19 Depth=2
	s_or_b32 exec_lo, exec_lo, s40
	s_waitcnt vmcnt(0)
	v_mul_f64 v[44:45], v[7:8], -v[38:39]
	v_mul_f64 v[46:47], v[36:37], v[7:8]
	v_mov_b32_e32 v54, v53
	s_mov_b32 s40, 0
	s_delay_alu instid0(VALU_DEP_3) | instskip(NEXT) | instid1(VALU_DEP_3)
	v_fma_f64 v[44:45], v[36:37], v[5:6], v[44:45]
	v_fma_f64 v[46:47], v[38:39], v[5:6], v[46:47]
	s_delay_alu instid0(VALU_DEP_2) | instskip(NEXT) | instid1(VALU_DEP_2)
	v_fma_f64 v[44:45], v[28:29], v[1:2], v[44:45]
	v_fma_f64 v[46:47], v[30:31], v[1:2], v[46:47]
	s_delay_alu instid0(VALU_DEP_2) | instskip(NEXT) | instid1(VALU_DEP_2)
	v_fma_f64 v[44:45], -v[30:31], v[3:4], v[44:45]
	v_fma_f64 v[46:47], v[28:29], v[3:4], v[46:47]
	s_branch .LBB70_41
.LBB70_40:                              ;   in Loop: Header=BB70_41 Depth=3
	s_or_b32 exec_lo, exec_lo, s41
	s_xor_b32 s41, s42, -1
	s_delay_alu instid0(SALU_CYCLE_1) | instskip(NEXT) | instid1(SALU_CYCLE_1)
	s_and_b32 s41, exec_lo, s41
	s_or_b32 s40, s41, s40
	s_delay_alu instid0(SALU_CYCLE_1)
	s_and_not1_b32 exec_lo, exec_lo, s40
	s_cbranch_execz .LBB70_59
.LBB70_41:                              ;   Parent Loop BB70_16 Depth=1
                                        ;     Parent Loop BB70_19 Depth=2
                                        ; =>    This Loop Header: Depth=3
                                        ;         Child Loop BB70_47 Depth 4
                                        ;         Child Loop BB70_49 Depth 4
	;; [unrolled: 1-line block ×4, first 2 shown]
	v_lshl_add_u32 v48, v54, 2, 0
	s_mov_b32 s41, exec_lo
                                        ; implicit-def: $sgpr42
	ds_load_b32 v49, v48
	s_waitcnt lgkmcnt(0)
	v_cmpx_ne_u32_e64 v49, v27
	s_xor_b32 s41, exec_lo, s41
	s_cbranch_execz .LBB70_53
; %bb.42:                               ;   in Loop: Header=BB70_41 Depth=3
	s_mov_b32 s43, exec_lo
                                        ; implicit-def: $sgpr42
	v_cmpx_ne_u32_e64 s3, v49
	s_xor_b32 s43, exec_lo, s43
; %bb.43:                               ;   in Loop: Header=BB70_41 Depth=3
	v_add_nc_u32_e32 v48, 1, v54
	s_mov_b32 s42, -1
	s_delay_alu instid0(VALU_DEP_1)
	v_and_b32_e32 v54, 0xff, v48
                                        ; implicit-def: $vgpr48
; %bb.44:                               ;   in Loop: Header=BB70_41 Depth=3
	s_and_not1_saveexec_b32 s43, s43
	s_cbranch_execz .LBB70_52
; %bb.45:                               ;   in Loop: Header=BB70_41 Depth=3
	v_mov_b32_e32 v49, s3
	s_mov_b32 s45, -1
	s_mov_b32 s44, exec_lo
	ds_cmpstore_rtn_b32 v49, v48, v27, v49
	s_waitcnt lgkmcnt(0)
	v_cmpx_eq_u32_e64 s3, v49
	s_cbranch_execz .LBB70_51
; %bb.46:                               ;   in Loop: Header=BB70_41 Depth=3
	v_mul_lo_u32 v49, v54, 60
	s_mov_b32 s45, 0
	s_delay_alu instid0(VALU_DEP_1)
	v_add_nc_u32_e32 v55, v48, v49
	ds_load_b64 v[48:49], v55 offset:1040
.LBB70_47:                              ;   Parent Loop BB70_16 Depth=1
                                        ;     Parent Loop BB70_19 Depth=2
                                        ;       Parent Loop BB70_41 Depth=3
                                        ; =>      This Inner Loop Header: Depth=4
	s_waitcnt lgkmcnt(0)
	v_add_f64 v[56:57], v[48:49], v[44:45]
	ds_cmpstore_rtn_b64 v[56:57], v55, v[56:57], v[48:49] offset:1040
	s_waitcnt lgkmcnt(0)
	v_cmp_eq_u64_e32 vcc_lo, v[56:57], v[48:49]
	v_dual_mov_b32 v48, v56 :: v_dual_mov_b32 v49, v57
	s_or_b32 s45, vcc_lo, s45
	s_delay_alu instid0(SALU_CYCLE_1)
	s_and_not1_b32 exec_lo, exec_lo, s45
	s_cbranch_execnz .LBB70_47
; %bb.48:                               ;   in Loop: Header=BB70_41 Depth=3
	s_or_b32 exec_lo, exec_lo, s45
	ds_load_b64 v[48:49], v55 offset:1048
	s_mov_b32 s45, 0
.LBB70_49:                              ;   Parent Loop BB70_16 Depth=1
                                        ;     Parent Loop BB70_19 Depth=2
                                        ;       Parent Loop BB70_41 Depth=3
                                        ; =>      This Inner Loop Header: Depth=4
	s_waitcnt lgkmcnt(0)
	v_add_f64 v[56:57], v[48:49], v[46:47]
	ds_cmpstore_rtn_b64 v[56:57], v55, v[56:57], v[48:49] offset:1048
	s_waitcnt lgkmcnt(0)
	v_cmp_eq_u64_e32 vcc_lo, v[56:57], v[48:49]
	v_dual_mov_b32 v48, v56 :: v_dual_mov_b32 v49, v57
	s_or_b32 s45, vcc_lo, s45
	s_delay_alu instid0(SALU_CYCLE_1)
	s_and_not1_b32 exec_lo, exec_lo, s45
	s_cbranch_execnz .LBB70_49
; %bb.50:                               ;   in Loop: Header=BB70_41 Depth=3
	s_or_b32 exec_lo, exec_lo, s45
	s_delay_alu instid0(SALU_CYCLE_1)
	s_xor_b32 s45, exec_lo, -1
.LBB70_51:                              ;   in Loop: Header=BB70_41 Depth=3
	s_or_b32 exec_lo, exec_lo, s44
	s_delay_alu instid0(SALU_CYCLE_1) | instskip(SKIP_1) | instid1(SALU_CYCLE_1)
	s_and_not1_b32 s42, s42, exec_lo
	s_and_b32 s44, s45, exec_lo
	s_or_b32 s42, s42, s44
.LBB70_52:                              ;   in Loop: Header=BB70_41 Depth=3
	s_or_b32 exec_lo, exec_lo, s43
	s_delay_alu instid0(SALU_CYCLE_1)
	s_and_b32 s42, s42, exec_lo
                                        ; implicit-def: $vgpr48
.LBB70_53:                              ;   in Loop: Header=BB70_41 Depth=3
	s_and_not1_saveexec_b32 s41, s41
	s_cbranch_execz .LBB70_40
; %bb.54:                               ;   in Loop: Header=BB70_41 Depth=3
	v_mul_lo_u32 v49, v54, 60
	s_mov_b32 s43, 0
	s_delay_alu instid0(VALU_DEP_1)
	v_add_nc_u32_e32 v55, v48, v49
	ds_load_b64 v[48:49], v55 offset:1040
.LBB70_55:                              ;   Parent Loop BB70_16 Depth=1
                                        ;     Parent Loop BB70_19 Depth=2
                                        ;       Parent Loop BB70_41 Depth=3
                                        ; =>      This Inner Loop Header: Depth=4
	s_waitcnt lgkmcnt(0)
	v_add_f64 v[56:57], v[48:49], v[44:45]
	ds_cmpstore_rtn_b64 v[56:57], v55, v[56:57], v[48:49] offset:1040
	s_waitcnt lgkmcnt(0)
	v_cmp_eq_u64_e32 vcc_lo, v[56:57], v[48:49]
	v_dual_mov_b32 v48, v56 :: v_dual_mov_b32 v49, v57
	s_or_b32 s43, vcc_lo, s43
	s_delay_alu instid0(SALU_CYCLE_1)
	s_and_not1_b32 exec_lo, exec_lo, s43
	s_cbranch_execnz .LBB70_55
; %bb.56:                               ;   in Loop: Header=BB70_41 Depth=3
	s_or_b32 exec_lo, exec_lo, s43
	ds_load_b64 v[48:49], v55 offset:1048
	s_mov_b32 s43, 0
.LBB70_57:                              ;   Parent Loop BB70_16 Depth=1
                                        ;     Parent Loop BB70_19 Depth=2
                                        ;       Parent Loop BB70_41 Depth=3
                                        ; =>      This Inner Loop Header: Depth=4
	s_waitcnt lgkmcnt(0)
	v_add_f64 v[56:57], v[48:49], v[46:47]
	ds_cmpstore_rtn_b64 v[56:57], v55, v[56:57], v[48:49] offset:1048
	s_waitcnt lgkmcnt(0)
	v_cmp_eq_u64_e32 vcc_lo, v[56:57], v[48:49]
	v_dual_mov_b32 v48, v56 :: v_dual_mov_b32 v49, v57
	s_or_b32 s43, vcc_lo, s43
	s_delay_alu instid0(SALU_CYCLE_1)
	s_and_not1_b32 exec_lo, exec_lo, s43
	s_cbranch_execnz .LBB70_57
; %bb.58:                               ;   in Loop: Header=BB70_41 Depth=3
	s_or_b32 exec_lo, exec_lo, s43
	s_delay_alu instid0(SALU_CYCLE_1)
	s_and_not1_b32 s42, s42, exec_lo
	s_branch .LBB70_40
.LBB70_59:                              ;   in Loop: Header=BB70_19 Depth=2
	s_or_b32 exec_lo, exec_lo, s40
	v_mul_f64 v[44:45], v[15:16], -v[34:35]
	v_mul_f64 v[15:16], v[32:33], v[15:16]
	s_mov_b32 s40, 0
	s_delay_alu instid0(VALU_DEP_2) | instskip(NEXT) | instid1(VALU_DEP_2)
	v_fma_f64 v[44:45], v[32:33], v[13:14], v[44:45]
	v_fma_f64 v[13:14], v[34:35], v[13:14], v[15:16]
	s_delay_alu instid0(VALU_DEP_2) | instskip(NEXT) | instid1(VALU_DEP_2)
	v_fma_f64 v[15:16], v[40:41], v[9:10], v[44:45]
	v_fma_f64 v[13:14], v[42:43], v[9:10], v[13:14]
	s_delay_alu instid0(VALU_DEP_2) | instskip(NEXT) | instid1(VALU_DEP_2)
	v_fma_f64 v[9:10], -v[42:43], v[11:12], v[15:16]
	v_fma_f64 v[11:12], v[40:41], v[11:12], v[13:14]
	v_mov_b32_e32 v15, v53
	s_branch .LBB70_61
.LBB70_60:                              ;   in Loop: Header=BB70_61 Depth=3
	s_or_b32 exec_lo, exec_lo, s41
	s_xor_b32 s41, s42, -1
	s_delay_alu instid0(SALU_CYCLE_1) | instskip(NEXT) | instid1(SALU_CYCLE_1)
	s_and_b32 s41, exec_lo, s41
	s_or_b32 s40, s41, s40
	s_delay_alu instid0(SALU_CYCLE_1)
	s_and_not1_b32 exec_lo, exec_lo, s40
	s_cbranch_execz .LBB70_79
.LBB70_61:                              ;   Parent Loop BB70_16 Depth=1
                                        ;     Parent Loop BB70_19 Depth=2
                                        ; =>    This Loop Header: Depth=3
                                        ;         Child Loop BB70_67 Depth 4
                                        ;         Child Loop BB70_69 Depth 4
	;; [unrolled: 1-line block ×4, first 2 shown]
	s_delay_alu instid0(VALU_DEP_1)
	v_lshl_add_u32 v13, v15, 2, 0
	s_mov_b32 s41, exec_lo
                                        ; implicit-def: $sgpr42
	ds_load_b32 v14, v13
	s_waitcnt lgkmcnt(0)
	v_cmpx_ne_u32_e64 v14, v27
	s_xor_b32 s41, exec_lo, s41
	s_cbranch_execz .LBB70_73
; %bb.62:                               ;   in Loop: Header=BB70_61 Depth=3
	s_mov_b32 s43, exec_lo
                                        ; implicit-def: $sgpr42
	v_cmpx_ne_u32_e64 s3, v14
	s_xor_b32 s43, exec_lo, s43
; %bb.63:                               ;   in Loop: Header=BB70_61 Depth=3
	v_add_nc_u32_e32 v13, 1, v15
	s_mov_b32 s42, -1
	s_delay_alu instid0(VALU_DEP_1)
	v_and_b32_e32 v15, 0xff, v13
                                        ; implicit-def: $vgpr13
; %bb.64:                               ;   in Loop: Header=BB70_61 Depth=3
	s_and_not1_saveexec_b32 s43, s43
	s_cbranch_execz .LBB70_72
; %bb.65:                               ;   in Loop: Header=BB70_61 Depth=3
	v_mov_b32_e32 v14, s3
	s_mov_b32 s45, -1
	s_mov_b32 s44, exec_lo
	ds_cmpstore_rtn_b32 v14, v13, v27, v14
	s_waitcnt lgkmcnt(0)
	v_cmpx_eq_u32_e64 s3, v14
	s_cbranch_execz .LBB70_71
; %bb.66:                               ;   in Loop: Header=BB70_61 Depth=3
	v_mul_lo_u32 v14, v15, 60
	s_mov_b32 s45, 0
	s_delay_alu instid0(VALU_DEP_1)
	v_add_nc_u32_e32 v16, v13, v14
	ds_load_b64 v[13:14], v16 offset:1056
.LBB70_67:                              ;   Parent Loop BB70_16 Depth=1
                                        ;     Parent Loop BB70_19 Depth=2
                                        ;       Parent Loop BB70_61 Depth=3
                                        ; =>      This Inner Loop Header: Depth=4
	s_waitcnt lgkmcnt(0)
	v_add_f64 v[44:45], v[13:14], v[9:10]
	ds_cmpstore_rtn_b64 v[44:45], v16, v[44:45], v[13:14] offset:1056
	s_waitcnt lgkmcnt(0)
	v_cmp_eq_u64_e32 vcc_lo, v[44:45], v[13:14]
	v_dual_mov_b32 v13, v44 :: v_dual_mov_b32 v14, v45
	s_or_b32 s45, vcc_lo, s45
	s_delay_alu instid0(SALU_CYCLE_1)
	s_and_not1_b32 exec_lo, exec_lo, s45
	s_cbranch_execnz .LBB70_67
; %bb.68:                               ;   in Loop: Header=BB70_61 Depth=3
	s_or_b32 exec_lo, exec_lo, s45
	ds_load_b64 v[13:14], v16 offset:1064
	s_mov_b32 s45, 0
.LBB70_69:                              ;   Parent Loop BB70_16 Depth=1
                                        ;     Parent Loop BB70_19 Depth=2
                                        ;       Parent Loop BB70_61 Depth=3
                                        ; =>      This Inner Loop Header: Depth=4
	s_waitcnt lgkmcnt(0)
	v_add_f64 v[44:45], v[13:14], v[11:12]
	ds_cmpstore_rtn_b64 v[44:45], v16, v[44:45], v[13:14] offset:1064
	s_waitcnt lgkmcnt(0)
	v_cmp_eq_u64_e32 vcc_lo, v[44:45], v[13:14]
	v_dual_mov_b32 v13, v44 :: v_dual_mov_b32 v14, v45
	s_or_b32 s45, vcc_lo, s45
	s_delay_alu instid0(SALU_CYCLE_1)
	s_and_not1_b32 exec_lo, exec_lo, s45
	s_cbranch_execnz .LBB70_69
; %bb.70:                               ;   in Loop: Header=BB70_61 Depth=3
	s_or_b32 exec_lo, exec_lo, s45
	s_delay_alu instid0(SALU_CYCLE_1)
	s_xor_b32 s45, exec_lo, -1
.LBB70_71:                              ;   in Loop: Header=BB70_61 Depth=3
	s_or_b32 exec_lo, exec_lo, s44
	s_delay_alu instid0(SALU_CYCLE_1) | instskip(SKIP_1) | instid1(SALU_CYCLE_1)
	s_and_not1_b32 s42, s42, exec_lo
	s_and_b32 s44, s45, exec_lo
	s_or_b32 s42, s42, s44
.LBB70_72:                              ;   in Loop: Header=BB70_61 Depth=3
	s_or_b32 exec_lo, exec_lo, s43
	s_delay_alu instid0(SALU_CYCLE_1)
	s_and_b32 s42, s42, exec_lo
                                        ; implicit-def: $vgpr13
.LBB70_73:                              ;   in Loop: Header=BB70_61 Depth=3
	s_and_not1_saveexec_b32 s41, s41
	s_cbranch_execz .LBB70_60
; %bb.74:                               ;   in Loop: Header=BB70_61 Depth=3
	v_mul_lo_u32 v14, v15, 60
	s_mov_b32 s43, 0
	s_delay_alu instid0(VALU_DEP_1)
	v_add_nc_u32_e32 v16, v13, v14
	ds_load_b64 v[13:14], v16 offset:1056
.LBB70_75:                              ;   Parent Loop BB70_16 Depth=1
                                        ;     Parent Loop BB70_19 Depth=2
                                        ;       Parent Loop BB70_61 Depth=3
                                        ; =>      This Inner Loop Header: Depth=4
	s_waitcnt lgkmcnt(0)
	v_add_f64 v[44:45], v[13:14], v[9:10]
	ds_cmpstore_rtn_b64 v[44:45], v16, v[44:45], v[13:14] offset:1056
	s_waitcnt lgkmcnt(0)
	v_cmp_eq_u64_e32 vcc_lo, v[44:45], v[13:14]
	v_dual_mov_b32 v13, v44 :: v_dual_mov_b32 v14, v45
	s_or_b32 s43, vcc_lo, s43
	s_delay_alu instid0(SALU_CYCLE_1)
	s_and_not1_b32 exec_lo, exec_lo, s43
	s_cbranch_execnz .LBB70_75
; %bb.76:                               ;   in Loop: Header=BB70_61 Depth=3
	s_or_b32 exec_lo, exec_lo, s43
	ds_load_b64 v[13:14], v16 offset:1064
	s_mov_b32 s43, 0
.LBB70_77:                              ;   Parent Loop BB70_16 Depth=1
                                        ;     Parent Loop BB70_19 Depth=2
                                        ;       Parent Loop BB70_61 Depth=3
                                        ; =>      This Inner Loop Header: Depth=4
	s_waitcnt lgkmcnt(0)
	v_add_f64 v[44:45], v[13:14], v[11:12]
	ds_cmpstore_rtn_b64 v[44:45], v16, v[44:45], v[13:14] offset:1064
	s_waitcnt lgkmcnt(0)
	v_cmp_eq_u64_e32 vcc_lo, v[44:45], v[13:14]
	v_dual_mov_b32 v13, v44 :: v_dual_mov_b32 v14, v45
	s_or_b32 s43, vcc_lo, s43
	s_delay_alu instid0(SALU_CYCLE_1)
	s_and_not1_b32 exec_lo, exec_lo, s43
	s_cbranch_execnz .LBB70_77
; %bb.78:                               ;   in Loop: Header=BB70_61 Depth=3
	s_or_b32 exec_lo, exec_lo, s43
	s_delay_alu instid0(SALU_CYCLE_1)
	s_and_not1_b32 s42, s42, exec_lo
	s_branch .LBB70_60
.LBB70_79:                              ;   in Loop: Header=BB70_19 Depth=2
	s_or_b32 exec_lo, exec_lo, s40
	v_mul_f64 v[9:10], v[7:8], -v[34:35]
	v_mul_f64 v[7:8], v[32:33], v[7:8]
	s_mov_b32 s40, 0
	s_delay_alu instid0(VALU_DEP_2) | instskip(NEXT) | instid1(VALU_DEP_2)
	v_fma_f64 v[9:10], v[32:33], v[5:6], v[9:10]
	v_fma_f64 v[5:6], v[34:35], v[5:6], v[7:8]
	s_delay_alu instid0(VALU_DEP_2) | instskip(NEXT) | instid1(VALU_DEP_2)
	v_fma_f64 v[7:8], v[40:41], v[1:2], v[9:10]
	v_fma_f64 v[5:6], v[42:43], v[1:2], v[5:6]
	s_delay_alu instid0(VALU_DEP_2) | instskip(NEXT) | instid1(VALU_DEP_2)
	v_fma_f64 v[1:2], -v[42:43], v[3:4], v[7:8]
	v_fma_f64 v[3:4], v[40:41], v[3:4], v[5:6]
	s_branch .LBB70_81
.LBB70_80:                              ;   in Loop: Header=BB70_81 Depth=3
	s_or_b32 exec_lo, exec_lo, s41
	s_xor_b32 s41, s42, -1
	s_delay_alu instid0(SALU_CYCLE_1) | instskip(NEXT) | instid1(SALU_CYCLE_1)
	s_and_b32 s41, exec_lo, s41
	s_or_b32 s40, s41, s40
	s_delay_alu instid0(SALU_CYCLE_1)
	s_and_not1_b32 exec_lo, exec_lo, s40
	s_cbranch_execz .LBB70_18
.LBB70_81:                              ;   Parent Loop BB70_16 Depth=1
                                        ;     Parent Loop BB70_19 Depth=2
                                        ; =>    This Loop Header: Depth=3
                                        ;         Child Loop BB70_87 Depth 4
                                        ;         Child Loop BB70_89 Depth 4
	;; [unrolled: 1-line block ×4, first 2 shown]
	v_lshl_add_u32 v5, v53, 2, 0
	s_mov_b32 s41, exec_lo
                                        ; implicit-def: $sgpr42
	ds_load_b32 v6, v5
	s_waitcnt lgkmcnt(0)
	v_cmpx_ne_u32_e64 v6, v27
	s_xor_b32 s41, exec_lo, s41
	s_cbranch_execz .LBB70_93
; %bb.82:                               ;   in Loop: Header=BB70_81 Depth=3
	s_mov_b32 s43, exec_lo
                                        ; implicit-def: $sgpr42
	v_cmpx_ne_u32_e64 s3, v6
	s_xor_b32 s43, exec_lo, s43
; %bb.83:                               ;   in Loop: Header=BB70_81 Depth=3
	v_add_nc_u32_e32 v5, 1, v53
	s_mov_b32 s42, -1
	s_delay_alu instid0(VALU_DEP_1)
	v_and_b32_e32 v53, 0xff, v5
                                        ; implicit-def: $vgpr5
; %bb.84:                               ;   in Loop: Header=BB70_81 Depth=3
	s_and_not1_saveexec_b32 s43, s43
	s_cbranch_execz .LBB70_92
; %bb.85:                               ;   in Loop: Header=BB70_81 Depth=3
	v_mov_b32_e32 v6, s3
	s_mov_b32 s45, -1
	s_mov_b32 s44, exec_lo
	ds_cmpstore_rtn_b32 v6, v5, v27, v6
	s_waitcnt lgkmcnt(0)
	v_cmpx_eq_u32_e64 s3, v6
	s_cbranch_execz .LBB70_91
; %bb.86:                               ;   in Loop: Header=BB70_81 Depth=3
	v_mul_lo_u32 v6, v53, 60
	s_mov_b32 s45, 0
	s_delay_alu instid0(VALU_DEP_1)
	v_add_nc_u32_e32 v7, v5, v6
	ds_load_b64 v[5:6], v7 offset:1072
.LBB70_87:                              ;   Parent Loop BB70_16 Depth=1
                                        ;     Parent Loop BB70_19 Depth=2
                                        ;       Parent Loop BB70_81 Depth=3
                                        ; =>      This Inner Loop Header: Depth=4
	s_waitcnt lgkmcnt(0)
	v_add_f64 v[8:9], v[5:6], v[1:2]
	ds_cmpstore_rtn_b64 v[8:9], v7, v[8:9], v[5:6] offset:1072
	s_waitcnt lgkmcnt(0)
	v_cmp_eq_u64_e32 vcc_lo, v[8:9], v[5:6]
	v_dual_mov_b32 v5, v8 :: v_dual_mov_b32 v6, v9
	s_or_b32 s45, vcc_lo, s45
	s_delay_alu instid0(SALU_CYCLE_1)
	s_and_not1_b32 exec_lo, exec_lo, s45
	s_cbranch_execnz .LBB70_87
; %bb.88:                               ;   in Loop: Header=BB70_81 Depth=3
	s_or_b32 exec_lo, exec_lo, s45
	ds_load_b64 v[5:6], v7 offset:1080
	s_mov_b32 s45, 0
.LBB70_89:                              ;   Parent Loop BB70_16 Depth=1
                                        ;     Parent Loop BB70_19 Depth=2
                                        ;       Parent Loop BB70_81 Depth=3
                                        ; =>      This Inner Loop Header: Depth=4
	s_waitcnt lgkmcnt(0)
	v_add_f64 v[8:9], v[5:6], v[3:4]
	ds_cmpstore_rtn_b64 v[8:9], v7, v[8:9], v[5:6] offset:1080
	s_waitcnt lgkmcnt(0)
	v_cmp_eq_u64_e32 vcc_lo, v[8:9], v[5:6]
	v_dual_mov_b32 v5, v8 :: v_dual_mov_b32 v6, v9
	s_or_b32 s45, vcc_lo, s45
	s_delay_alu instid0(SALU_CYCLE_1)
	s_and_not1_b32 exec_lo, exec_lo, s45
	s_cbranch_execnz .LBB70_89
; %bb.90:                               ;   in Loop: Header=BB70_81 Depth=3
	s_or_b32 exec_lo, exec_lo, s45
	s_delay_alu instid0(SALU_CYCLE_1)
	s_xor_b32 s45, exec_lo, -1
.LBB70_91:                              ;   in Loop: Header=BB70_81 Depth=3
	s_or_b32 exec_lo, exec_lo, s44
	s_delay_alu instid0(SALU_CYCLE_1) | instskip(SKIP_1) | instid1(SALU_CYCLE_1)
	s_and_not1_b32 s42, s42, exec_lo
	s_and_b32 s44, s45, exec_lo
	s_or_b32 s42, s42, s44
.LBB70_92:                              ;   in Loop: Header=BB70_81 Depth=3
	s_or_b32 exec_lo, exec_lo, s43
	s_delay_alu instid0(SALU_CYCLE_1)
	s_and_b32 s42, s42, exec_lo
                                        ; implicit-def: $vgpr5
.LBB70_93:                              ;   in Loop: Header=BB70_81 Depth=3
	s_and_not1_saveexec_b32 s41, s41
	s_cbranch_execz .LBB70_80
; %bb.94:                               ;   in Loop: Header=BB70_81 Depth=3
	v_mul_lo_u32 v6, v53, 60
	s_mov_b32 s43, 0
	s_delay_alu instid0(VALU_DEP_1)
	v_add_nc_u32_e32 v7, v5, v6
	ds_load_b64 v[5:6], v7 offset:1072
.LBB70_95:                              ;   Parent Loop BB70_16 Depth=1
                                        ;     Parent Loop BB70_19 Depth=2
                                        ;       Parent Loop BB70_81 Depth=3
                                        ; =>      This Inner Loop Header: Depth=4
	s_waitcnt lgkmcnt(0)
	v_add_f64 v[8:9], v[5:6], v[1:2]
	ds_cmpstore_rtn_b64 v[8:9], v7, v[8:9], v[5:6] offset:1072
	s_waitcnt lgkmcnt(0)
	v_cmp_eq_u64_e32 vcc_lo, v[8:9], v[5:6]
	v_dual_mov_b32 v5, v8 :: v_dual_mov_b32 v6, v9
	s_or_b32 s43, vcc_lo, s43
	s_delay_alu instid0(SALU_CYCLE_1)
	s_and_not1_b32 exec_lo, exec_lo, s43
	s_cbranch_execnz .LBB70_95
; %bb.96:                               ;   in Loop: Header=BB70_81 Depth=3
	s_or_b32 exec_lo, exec_lo, s43
	ds_load_b64 v[5:6], v7 offset:1080
	s_mov_b32 s43, 0
.LBB70_97:                              ;   Parent Loop BB70_16 Depth=1
                                        ;     Parent Loop BB70_19 Depth=2
                                        ;       Parent Loop BB70_81 Depth=3
                                        ; =>      This Inner Loop Header: Depth=4
	s_waitcnt lgkmcnt(0)
	v_add_f64 v[8:9], v[5:6], v[3:4]
	ds_cmpstore_rtn_b64 v[8:9], v7, v[8:9], v[5:6] offset:1080
	s_waitcnt lgkmcnt(0)
	v_cmp_eq_u64_e32 vcc_lo, v[8:9], v[5:6]
	v_dual_mov_b32 v5, v8 :: v_dual_mov_b32 v6, v9
	s_or_b32 s43, vcc_lo, s43
	s_delay_alu instid0(SALU_CYCLE_1)
	s_and_not1_b32 exec_lo, exec_lo, s43
	s_cbranch_execnz .LBB70_97
; %bb.98:                               ;   in Loop: Header=BB70_81 Depth=3
	s_or_b32 exec_lo, exec_lo, s43
	s_delay_alu instid0(SALU_CYCLE_1)
	s_and_not1_b32 s42, s42, exec_lo
	s_branch .LBB70_80
.LBB70_99:
	s_or_b32 exec_lo, exec_lo, s12
.LBB70_100:
	s_delay_alu instid0(SALU_CYCLE_1)
	s_and_not1_b32 vcc_lo, exec_lo, s33
	s_barrier
	buffer_gl0_inv
	s_cbranch_vccnz .LBB70_185
; %bb.101:
	s_lshl_b64 s[12:13], s[34:35], 2
	v_subrev_nc_u32_e32 v1, s23, v0
	s_add_u32 s4, s4, s12
	s_addc_u32 s5, s5, s13
	s_load_b64 s[4:5], s[4:5], 0x0
	s_waitcnt lgkmcnt(0)
	v_add_nc_u32_e32 v13, s4, v1
	s_sub_i32 s1, s5, s23
	s_mov_b32 s4, exec_lo
	s_delay_alu instid0(VALU_DEP_1)
	v_cmpx_gt_i32_e64 s1, v13
	s_cbranch_execz .LBB70_184
; %bb.102:
	s_cmp_eq_u32 s0, 0
	s_mov_b32 s5, 0
	s_cselect_b32 s12, 1, 2
	s_cselect_b32 s13, 2, 1
	s_branch .LBB70_104
.LBB70_103:                             ;   in Loop: Header=BB70_104 Depth=1
	s_or_b32 exec_lo, exec_lo, s14
	v_add_nc_u32_e32 v13, 0x100, v13
	s_delay_alu instid0(VALU_DEP_1) | instskip(SKIP_1) | instid1(SALU_CYCLE_1)
	v_cmp_le_i32_e32 vcc_lo, s1, v13
	s_or_b32 s5, vcc_lo, s5
	s_and_not1_b32 exec_lo, exec_lo, s5
	s_cbranch_execz .LBB70_184
.LBB70_104:                             ; =>This Loop Header: Depth=1
                                        ;     Child Loop BB70_106 Depth 2
                                        ;       Child Loop BB70_112 Depth 3
                                        ;       Child Loop BB70_114 Depth 3
                                        ;       Child Loop BB70_120 Depth 3
                                        ;       Child Loop BB70_122 Depth 3
                                        ;     Child Loop BB70_126 Depth 2
                                        ;       Child Loop BB70_132 Depth 3
                                        ;       Child Loop BB70_134 Depth 3
                                        ;       Child Loop BB70_140 Depth 3
                                        ;       Child Loop BB70_142 Depth 3
	;; [unrolled: 5-line block ×4, first 2 shown]
	v_lshlrev_b32_e32 v1, 2, v13
	v_ashrrev_i32_e32 v14, 31, v13
	s_mov_b32 s14, 0
	s_delay_alu instid0(VALU_DEP_2) | instskip(NEXT) | instid1(VALU_DEP_2)
	v_ashrrev_i32_e32 v2, 31, v1
	v_lshlrev_b64 v[4:5], 2, v[13:14]
	s_delay_alu instid0(VALU_DEP_2) | instskip(NEXT) | instid1(VALU_DEP_1)
	v_lshlrev_b64 v[2:3], 4, v[1:2]
	v_add_co_u32 v2, vcc_lo, s8, v2
	s_delay_alu instid0(VALU_DEP_2) | instskip(NEXT) | instid1(VALU_DEP_4)
	v_add_co_ci_u32_e32 v3, vcc_lo, s9, v3, vcc_lo
	v_add_co_u32 v4, vcc_lo, s6, v4
	v_add_co_ci_u32_e32 v5, vcc_lo, s7, v5, vcc_lo
	global_load_b128 v[21:24], v[2:3], off
	global_load_b32 v16, v[4:5], off
	s_waitcnt vmcnt(1)
	v_mul_f64 v[14:15], v[23:24], -v[17:18]
	v_mul_f64 v[23:24], v[19:20], v[23:24]
	s_waitcnt vmcnt(0)
	v_subrev_nc_u32_e32 v16, s23, v16
	s_delay_alu instid0(VALU_DEP_3) | instskip(NEXT) | instid1(VALU_DEP_3)
	v_fma_f64 v[14:15], v[19:20], v[21:22], v[14:15]
	v_fma_f64 v[21:22], v[17:18], v[21:22], v[23:24]
	s_delay_alu instid0(VALU_DEP_3) | instskip(NEXT) | instid1(VALU_DEP_1)
	v_mul_lo_u32 v23, 0x89, v16
	v_and_b32_e32 v25, 0xff, v23
	s_delay_alu instid0(VALU_DEP_1) | instskip(SKIP_2) | instid1(VALU_DEP_2)
	v_mov_b32_e32 v26, v25
	v_or_b32_e32 v6, s12, v1
	v_or_b32_e32 v8, s13, v1
	v_ashrrev_i32_e32 v7, 31, v6
	s_delay_alu instid0(VALU_DEP_2) | instskip(NEXT) | instid1(VALU_DEP_2)
	v_ashrrev_i32_e32 v9, 31, v8
	v_lshlrev_b64 v[4:5], 4, v[6:7]
	s_delay_alu instid0(VALU_DEP_2) | instskip(NEXT) | instid1(VALU_DEP_2)
	v_lshlrev_b64 v[6:7], 4, v[8:9]
	v_add_co_u32 v8, vcc_lo, s8, v4
	s_delay_alu instid0(VALU_DEP_3) | instskip(NEXT) | instid1(VALU_DEP_3)
	v_add_co_ci_u32_e32 v9, vcc_lo, s9, v5, vcc_lo
	v_add_co_u32 v5, vcc_lo, s8, v6
	s_delay_alu instid0(VALU_DEP_4)
	v_add_co_ci_u32_e32 v6, vcc_lo, s9, v7, vcc_lo
	s_clause 0x2
	global_load_b128 v[1:4], v[2:3], off offset:48
	global_load_b128 v[9:12], v[8:9], off
	global_load_b128 v[5:8], v[5:6], off
	s_branch .LBB70_106
.LBB70_105:                             ;   in Loop: Header=BB70_106 Depth=2
	s_or_b32 exec_lo, exec_lo, s15
	s_xor_b32 s15, s16, -1
	s_delay_alu instid0(SALU_CYCLE_1) | instskip(NEXT) | instid1(SALU_CYCLE_1)
	s_and_b32 s15, exec_lo, s15
	s_or_b32 s14, s15, s14
	s_delay_alu instid0(SALU_CYCLE_1)
	s_and_not1_b32 exec_lo, exec_lo, s14
	s_cbranch_execz .LBB70_124
.LBB70_106:                             ;   Parent Loop BB70_104 Depth=1
                                        ; =>  This Loop Header: Depth=2
                                        ;       Child Loop BB70_112 Depth 3
                                        ;       Child Loop BB70_114 Depth 3
	;; [unrolled: 1-line block ×4, first 2 shown]
	v_lshl_add_u32 v23, v26, 2, 0
	s_mov_b32 s15, exec_lo
                                        ; implicit-def: $sgpr16
	ds_load_b32 v24, v23
	s_waitcnt lgkmcnt(0)
	v_cmpx_ne_u32_e64 v24, v16
	s_xor_b32 s15, exec_lo, s15
	s_cbranch_execz .LBB70_118
; %bb.107:                              ;   in Loop: Header=BB70_106 Depth=2
	s_mov_b32 s17, exec_lo
                                        ; implicit-def: $sgpr16
	v_cmpx_ne_u32_e64 s3, v24
	s_xor_b32 s17, exec_lo, s17
; %bb.108:                              ;   in Loop: Header=BB70_106 Depth=2
	v_add_nc_u32_e32 v23, 1, v26
	s_mov_b32 s16, -1
	s_delay_alu instid0(VALU_DEP_1)
	v_and_b32_e32 v26, 0xff, v23
                                        ; implicit-def: $vgpr23
; %bb.109:                              ;   in Loop: Header=BB70_106 Depth=2
	s_and_not1_saveexec_b32 s17, s17
	s_cbranch_execz .LBB70_117
; %bb.110:                              ;   in Loop: Header=BB70_106 Depth=2
	v_mov_b32_e32 v24, s3
	s_mov_b32 s19, -1
	s_mov_b32 s18, exec_lo
	ds_cmpstore_rtn_b32 v24, v23, v16, v24
	s_waitcnt lgkmcnt(0)
	v_cmpx_eq_u32_e64 s3, v24
	s_cbranch_execz .LBB70_116
; %bb.111:                              ;   in Loop: Header=BB70_106 Depth=2
	v_mul_lo_u32 v24, v26, 60
	s_mov_b32 s19, 0
	s_delay_alu instid0(VALU_DEP_1)
	v_add_nc_u32_e32 v27, v23, v24
	ds_load_b64 v[23:24], v27 offset:1024
.LBB70_112:                             ;   Parent Loop BB70_104 Depth=1
                                        ;     Parent Loop BB70_106 Depth=2
                                        ; =>    This Inner Loop Header: Depth=3
	s_waitcnt lgkmcnt(0)
	v_add_f64 v[28:29], v[23:24], v[14:15]
	ds_cmpstore_rtn_b64 v[28:29], v27, v[28:29], v[23:24] offset:1024
	s_waitcnt lgkmcnt(0)
	v_cmp_eq_u64_e32 vcc_lo, v[28:29], v[23:24]
	v_dual_mov_b32 v23, v28 :: v_dual_mov_b32 v24, v29
	s_or_b32 s19, vcc_lo, s19
	s_delay_alu instid0(SALU_CYCLE_1)
	s_and_not1_b32 exec_lo, exec_lo, s19
	s_cbranch_execnz .LBB70_112
; %bb.113:                              ;   in Loop: Header=BB70_106 Depth=2
	s_or_b32 exec_lo, exec_lo, s19
	ds_load_b64 v[23:24], v27 offset:1032
	s_mov_b32 s19, 0
.LBB70_114:                             ;   Parent Loop BB70_104 Depth=1
                                        ;     Parent Loop BB70_106 Depth=2
                                        ; =>    This Inner Loop Header: Depth=3
	s_waitcnt lgkmcnt(0)
	v_add_f64 v[28:29], v[23:24], v[21:22]
	ds_cmpstore_rtn_b64 v[28:29], v27, v[28:29], v[23:24] offset:1032
	s_waitcnt lgkmcnt(0)
	v_cmp_eq_u64_e32 vcc_lo, v[28:29], v[23:24]
	v_dual_mov_b32 v23, v28 :: v_dual_mov_b32 v24, v29
	s_or_b32 s19, vcc_lo, s19
	s_delay_alu instid0(SALU_CYCLE_1)
	s_and_not1_b32 exec_lo, exec_lo, s19
	s_cbranch_execnz .LBB70_114
; %bb.115:                              ;   in Loop: Header=BB70_106 Depth=2
	s_or_b32 exec_lo, exec_lo, s19
	s_delay_alu instid0(SALU_CYCLE_1)
	s_xor_b32 s19, exec_lo, -1
.LBB70_116:                             ;   in Loop: Header=BB70_106 Depth=2
	s_or_b32 exec_lo, exec_lo, s18
	s_delay_alu instid0(SALU_CYCLE_1) | instskip(SKIP_1) | instid1(SALU_CYCLE_1)
	s_and_not1_b32 s16, s16, exec_lo
	s_and_b32 s18, s19, exec_lo
	s_or_b32 s16, s16, s18
.LBB70_117:                             ;   in Loop: Header=BB70_106 Depth=2
	s_or_b32 exec_lo, exec_lo, s17
	s_delay_alu instid0(SALU_CYCLE_1)
	s_and_b32 s16, s16, exec_lo
                                        ; implicit-def: $vgpr23
.LBB70_118:                             ;   in Loop: Header=BB70_106 Depth=2
	s_and_not1_saveexec_b32 s15, s15
	s_cbranch_execz .LBB70_105
; %bb.119:                              ;   in Loop: Header=BB70_106 Depth=2
	v_mul_lo_u32 v24, v26, 60
	s_mov_b32 s17, 0
	s_delay_alu instid0(VALU_DEP_1)
	v_add_nc_u32_e32 v27, v23, v24
	ds_load_b64 v[23:24], v27 offset:1024
.LBB70_120:                             ;   Parent Loop BB70_104 Depth=1
                                        ;     Parent Loop BB70_106 Depth=2
                                        ; =>    This Inner Loop Header: Depth=3
	s_waitcnt lgkmcnt(0)
	v_add_f64 v[28:29], v[23:24], v[14:15]
	ds_cmpstore_rtn_b64 v[28:29], v27, v[28:29], v[23:24] offset:1024
	s_waitcnt lgkmcnt(0)
	v_cmp_eq_u64_e32 vcc_lo, v[28:29], v[23:24]
	v_dual_mov_b32 v23, v28 :: v_dual_mov_b32 v24, v29
	s_or_b32 s17, vcc_lo, s17
	s_delay_alu instid0(SALU_CYCLE_1)
	s_and_not1_b32 exec_lo, exec_lo, s17
	s_cbranch_execnz .LBB70_120
; %bb.121:                              ;   in Loop: Header=BB70_106 Depth=2
	s_or_b32 exec_lo, exec_lo, s17
	ds_load_b64 v[23:24], v27 offset:1032
	s_mov_b32 s17, 0
.LBB70_122:                             ;   Parent Loop BB70_104 Depth=1
                                        ;     Parent Loop BB70_106 Depth=2
                                        ; =>    This Inner Loop Header: Depth=3
	s_waitcnt lgkmcnt(0)
	v_add_f64 v[28:29], v[23:24], v[21:22]
	ds_cmpstore_rtn_b64 v[28:29], v27, v[28:29], v[23:24] offset:1032
	s_waitcnt lgkmcnt(0)
	v_cmp_eq_u64_e32 vcc_lo, v[28:29], v[23:24]
	v_dual_mov_b32 v23, v28 :: v_dual_mov_b32 v24, v29
	s_or_b32 s17, vcc_lo, s17
	s_delay_alu instid0(SALU_CYCLE_1)
	s_and_not1_b32 exec_lo, exec_lo, s17
	s_cbranch_execnz .LBB70_122
; %bb.123:                              ;   in Loop: Header=BB70_106 Depth=2
	s_or_b32 exec_lo, exec_lo, s17
	s_delay_alu instid0(SALU_CYCLE_1)
	s_and_not1_b32 s16, s16, exec_lo
	s_branch .LBB70_105
.LBB70_124:                             ;   in Loop: Header=BB70_104 Depth=1
	s_or_b32 exec_lo, exec_lo, s14
	s_waitcnt vmcnt(1)
	v_mul_f64 v[14:15], v[11:12], -v[17:18]
	v_mul_f64 v[21:22], v[19:20], v[11:12]
	s_mov_b32 s14, 0
	s_delay_alu instid0(VALU_DEP_2) | instskip(NEXT) | instid1(VALU_DEP_2)
	v_fma_f64 v[11:12], v[19:20], v[9:10], v[14:15]
	v_fma_f64 v[9:10], v[17:18], v[9:10], v[21:22]
	v_mov_b32_e32 v21, v25
	s_branch .LBB70_126
.LBB70_125:                             ;   in Loop: Header=BB70_126 Depth=2
	s_or_b32 exec_lo, exec_lo, s15
	s_xor_b32 s15, s16, -1
	s_delay_alu instid0(SALU_CYCLE_1) | instskip(NEXT) | instid1(SALU_CYCLE_1)
	s_and_b32 s15, exec_lo, s15
	s_or_b32 s14, s15, s14
	s_delay_alu instid0(SALU_CYCLE_1)
	s_and_not1_b32 exec_lo, exec_lo, s14
	s_cbranch_execz .LBB70_144
.LBB70_126:                             ;   Parent Loop BB70_104 Depth=1
                                        ; =>  This Loop Header: Depth=2
                                        ;       Child Loop BB70_132 Depth 3
                                        ;       Child Loop BB70_134 Depth 3
	;; [unrolled: 1-line block ×4, first 2 shown]
	s_delay_alu instid0(VALU_DEP_1)
	v_lshl_add_u32 v14, v21, 2, 0
	s_mov_b32 s15, exec_lo
                                        ; implicit-def: $sgpr16
	ds_load_b32 v15, v14
	s_waitcnt lgkmcnt(0)
	v_cmpx_ne_u32_e64 v15, v16
	s_xor_b32 s15, exec_lo, s15
	s_cbranch_execz .LBB70_138
; %bb.127:                              ;   in Loop: Header=BB70_126 Depth=2
	s_mov_b32 s17, exec_lo
                                        ; implicit-def: $sgpr16
	v_cmpx_ne_u32_e64 s3, v15
	s_xor_b32 s17, exec_lo, s17
; %bb.128:                              ;   in Loop: Header=BB70_126 Depth=2
	v_add_nc_u32_e32 v14, 1, v21
	s_mov_b32 s16, -1
	s_delay_alu instid0(VALU_DEP_1)
	v_and_b32_e32 v21, 0xff, v14
                                        ; implicit-def: $vgpr14
; %bb.129:                              ;   in Loop: Header=BB70_126 Depth=2
	s_and_not1_saveexec_b32 s17, s17
	s_cbranch_execz .LBB70_137
; %bb.130:                              ;   in Loop: Header=BB70_126 Depth=2
	v_mov_b32_e32 v15, s3
	s_mov_b32 s19, -1
	s_mov_b32 s18, exec_lo
	ds_cmpstore_rtn_b32 v15, v14, v16, v15
	s_waitcnt lgkmcnt(0)
	v_cmpx_eq_u32_e64 s3, v15
	s_cbranch_execz .LBB70_136
; %bb.131:                              ;   in Loop: Header=BB70_126 Depth=2
	v_mul_lo_u32 v15, v21, 60
	s_mov_b32 s19, 0
	s_delay_alu instid0(VALU_DEP_1)
	v_add_nc_u32_e32 v22, v14, v15
	ds_load_b64 v[14:15], v22 offset:1040
.LBB70_132:                             ;   Parent Loop BB70_104 Depth=1
                                        ;     Parent Loop BB70_126 Depth=2
                                        ; =>    This Inner Loop Header: Depth=3
	s_waitcnt lgkmcnt(0)
	v_add_f64 v[23:24], v[14:15], v[11:12]
	ds_cmpstore_rtn_b64 v[23:24], v22, v[23:24], v[14:15] offset:1040
	s_waitcnt lgkmcnt(0)
	v_cmp_eq_u64_e32 vcc_lo, v[23:24], v[14:15]
	v_dual_mov_b32 v14, v23 :: v_dual_mov_b32 v15, v24
	s_or_b32 s19, vcc_lo, s19
	s_delay_alu instid0(SALU_CYCLE_1)
	s_and_not1_b32 exec_lo, exec_lo, s19
	s_cbranch_execnz .LBB70_132
; %bb.133:                              ;   in Loop: Header=BB70_126 Depth=2
	s_or_b32 exec_lo, exec_lo, s19
	ds_load_b64 v[14:15], v22 offset:1048
	s_mov_b32 s19, 0
.LBB70_134:                             ;   Parent Loop BB70_104 Depth=1
                                        ;     Parent Loop BB70_126 Depth=2
                                        ; =>    This Inner Loop Header: Depth=3
	s_waitcnt lgkmcnt(0)
	v_add_f64 v[23:24], v[14:15], v[9:10]
	ds_cmpstore_rtn_b64 v[23:24], v22, v[23:24], v[14:15] offset:1048
	s_waitcnt lgkmcnt(0)
	v_cmp_eq_u64_e32 vcc_lo, v[23:24], v[14:15]
	v_dual_mov_b32 v14, v23 :: v_dual_mov_b32 v15, v24
	s_or_b32 s19, vcc_lo, s19
	s_delay_alu instid0(SALU_CYCLE_1)
	s_and_not1_b32 exec_lo, exec_lo, s19
	s_cbranch_execnz .LBB70_134
; %bb.135:                              ;   in Loop: Header=BB70_126 Depth=2
	s_or_b32 exec_lo, exec_lo, s19
	s_delay_alu instid0(SALU_CYCLE_1)
	s_xor_b32 s19, exec_lo, -1
.LBB70_136:                             ;   in Loop: Header=BB70_126 Depth=2
	s_or_b32 exec_lo, exec_lo, s18
	s_delay_alu instid0(SALU_CYCLE_1) | instskip(SKIP_1) | instid1(SALU_CYCLE_1)
	s_and_not1_b32 s16, s16, exec_lo
	s_and_b32 s18, s19, exec_lo
	s_or_b32 s16, s16, s18
.LBB70_137:                             ;   in Loop: Header=BB70_126 Depth=2
	s_or_b32 exec_lo, exec_lo, s17
	s_delay_alu instid0(SALU_CYCLE_1)
	s_and_b32 s16, s16, exec_lo
                                        ; implicit-def: $vgpr14
.LBB70_138:                             ;   in Loop: Header=BB70_126 Depth=2
	s_and_not1_saveexec_b32 s15, s15
	s_cbranch_execz .LBB70_125
; %bb.139:                              ;   in Loop: Header=BB70_126 Depth=2
	v_mul_lo_u32 v15, v21, 60
	s_mov_b32 s17, 0
	s_delay_alu instid0(VALU_DEP_1)
	v_add_nc_u32_e32 v22, v14, v15
	ds_load_b64 v[14:15], v22 offset:1040
.LBB70_140:                             ;   Parent Loop BB70_104 Depth=1
                                        ;     Parent Loop BB70_126 Depth=2
                                        ; =>    This Inner Loop Header: Depth=3
	s_waitcnt lgkmcnt(0)
	v_add_f64 v[23:24], v[14:15], v[11:12]
	ds_cmpstore_rtn_b64 v[23:24], v22, v[23:24], v[14:15] offset:1040
	s_waitcnt lgkmcnt(0)
	v_cmp_eq_u64_e32 vcc_lo, v[23:24], v[14:15]
	v_dual_mov_b32 v14, v23 :: v_dual_mov_b32 v15, v24
	s_or_b32 s17, vcc_lo, s17
	s_delay_alu instid0(SALU_CYCLE_1)
	s_and_not1_b32 exec_lo, exec_lo, s17
	s_cbranch_execnz .LBB70_140
; %bb.141:                              ;   in Loop: Header=BB70_126 Depth=2
	s_or_b32 exec_lo, exec_lo, s17
	ds_load_b64 v[14:15], v22 offset:1048
	s_mov_b32 s17, 0
.LBB70_142:                             ;   Parent Loop BB70_104 Depth=1
                                        ;     Parent Loop BB70_126 Depth=2
                                        ; =>    This Inner Loop Header: Depth=3
	s_waitcnt lgkmcnt(0)
	v_add_f64 v[23:24], v[14:15], v[9:10]
	ds_cmpstore_rtn_b64 v[23:24], v22, v[23:24], v[14:15] offset:1048
	s_waitcnt lgkmcnt(0)
	v_cmp_eq_u64_e32 vcc_lo, v[23:24], v[14:15]
	v_dual_mov_b32 v14, v23 :: v_dual_mov_b32 v15, v24
	s_or_b32 s17, vcc_lo, s17
	s_delay_alu instid0(SALU_CYCLE_1)
	s_and_not1_b32 exec_lo, exec_lo, s17
	s_cbranch_execnz .LBB70_142
; %bb.143:                              ;   in Loop: Header=BB70_126 Depth=2
	s_or_b32 exec_lo, exec_lo, s17
	s_delay_alu instid0(SALU_CYCLE_1)
	s_and_not1_b32 s16, s16, exec_lo
	s_branch .LBB70_125
.LBB70_144:                             ;   in Loop: Header=BB70_104 Depth=1
	s_or_b32 exec_lo, exec_lo, s14
	s_waitcnt vmcnt(0)
	v_mul_f64 v[9:10], v[7:8], -v[17:18]
	v_mul_f64 v[11:12], v[19:20], v[7:8]
	s_mov_b32 s14, 0
	s_delay_alu instid0(VALU_DEP_2) | instskip(NEXT) | instid1(VALU_DEP_2)
	v_fma_f64 v[7:8], v[19:20], v[5:6], v[9:10]
	v_fma_f64 v[5:6], v[17:18], v[5:6], v[11:12]
	v_mov_b32_e32 v11, v25
	s_branch .LBB70_146
.LBB70_145:                             ;   in Loop: Header=BB70_146 Depth=2
	s_or_b32 exec_lo, exec_lo, s15
	s_xor_b32 s15, s16, -1
	s_delay_alu instid0(SALU_CYCLE_1) | instskip(NEXT) | instid1(SALU_CYCLE_1)
	s_and_b32 s15, exec_lo, s15
	s_or_b32 s14, s15, s14
	s_delay_alu instid0(SALU_CYCLE_1)
	s_and_not1_b32 exec_lo, exec_lo, s14
	s_cbranch_execz .LBB70_164
.LBB70_146:                             ;   Parent Loop BB70_104 Depth=1
                                        ; =>  This Loop Header: Depth=2
                                        ;       Child Loop BB70_152 Depth 3
                                        ;       Child Loop BB70_154 Depth 3
	;; [unrolled: 1-line block ×4, first 2 shown]
	s_delay_alu instid0(VALU_DEP_1)
	v_lshl_add_u32 v9, v11, 2, 0
	s_mov_b32 s15, exec_lo
                                        ; implicit-def: $sgpr16
	ds_load_b32 v10, v9
	s_waitcnt lgkmcnt(0)
	v_cmpx_ne_u32_e64 v10, v16
	s_xor_b32 s15, exec_lo, s15
	s_cbranch_execz .LBB70_158
; %bb.147:                              ;   in Loop: Header=BB70_146 Depth=2
	s_mov_b32 s17, exec_lo
                                        ; implicit-def: $sgpr16
	v_cmpx_ne_u32_e64 s3, v10
	s_xor_b32 s17, exec_lo, s17
; %bb.148:                              ;   in Loop: Header=BB70_146 Depth=2
	v_add_nc_u32_e32 v9, 1, v11
	s_mov_b32 s16, -1
	s_delay_alu instid0(VALU_DEP_1)
	v_and_b32_e32 v11, 0xff, v9
                                        ; implicit-def: $vgpr9
; %bb.149:                              ;   in Loop: Header=BB70_146 Depth=2
	s_and_not1_saveexec_b32 s17, s17
	s_cbranch_execz .LBB70_157
; %bb.150:                              ;   in Loop: Header=BB70_146 Depth=2
	v_mov_b32_e32 v10, s3
	s_mov_b32 s19, -1
	s_mov_b32 s18, exec_lo
	ds_cmpstore_rtn_b32 v10, v9, v16, v10
	s_waitcnt lgkmcnt(0)
	v_cmpx_eq_u32_e64 s3, v10
	s_cbranch_execz .LBB70_156
; %bb.151:                              ;   in Loop: Header=BB70_146 Depth=2
	v_mul_lo_u32 v10, v11, 60
	s_mov_b32 s19, 0
	s_delay_alu instid0(VALU_DEP_1)
	v_add_nc_u32_e32 v12, v9, v10
	ds_load_b64 v[9:10], v12 offset:1056
.LBB70_152:                             ;   Parent Loop BB70_104 Depth=1
                                        ;     Parent Loop BB70_146 Depth=2
                                        ; =>    This Inner Loop Header: Depth=3
	s_waitcnt lgkmcnt(0)
	v_add_f64 v[14:15], v[9:10], v[7:8]
	ds_cmpstore_rtn_b64 v[14:15], v12, v[14:15], v[9:10] offset:1056
	s_waitcnt lgkmcnt(0)
	v_cmp_eq_u64_e32 vcc_lo, v[14:15], v[9:10]
	v_dual_mov_b32 v9, v14 :: v_dual_mov_b32 v10, v15
	s_or_b32 s19, vcc_lo, s19
	s_delay_alu instid0(SALU_CYCLE_1)
	s_and_not1_b32 exec_lo, exec_lo, s19
	s_cbranch_execnz .LBB70_152
; %bb.153:                              ;   in Loop: Header=BB70_146 Depth=2
	s_or_b32 exec_lo, exec_lo, s19
	ds_load_b64 v[9:10], v12 offset:1064
	s_mov_b32 s19, 0
.LBB70_154:                             ;   Parent Loop BB70_104 Depth=1
                                        ;     Parent Loop BB70_146 Depth=2
                                        ; =>    This Inner Loop Header: Depth=3
	s_waitcnt lgkmcnt(0)
	v_add_f64 v[14:15], v[9:10], v[5:6]
	ds_cmpstore_rtn_b64 v[14:15], v12, v[14:15], v[9:10] offset:1064
	s_waitcnt lgkmcnt(0)
	v_cmp_eq_u64_e32 vcc_lo, v[14:15], v[9:10]
	v_dual_mov_b32 v9, v14 :: v_dual_mov_b32 v10, v15
	s_or_b32 s19, vcc_lo, s19
	s_delay_alu instid0(SALU_CYCLE_1)
	s_and_not1_b32 exec_lo, exec_lo, s19
	s_cbranch_execnz .LBB70_154
; %bb.155:                              ;   in Loop: Header=BB70_146 Depth=2
	s_or_b32 exec_lo, exec_lo, s19
	s_delay_alu instid0(SALU_CYCLE_1)
	s_xor_b32 s19, exec_lo, -1
.LBB70_156:                             ;   in Loop: Header=BB70_146 Depth=2
	s_or_b32 exec_lo, exec_lo, s18
	s_delay_alu instid0(SALU_CYCLE_1) | instskip(SKIP_1) | instid1(SALU_CYCLE_1)
	s_and_not1_b32 s16, s16, exec_lo
	s_and_b32 s18, s19, exec_lo
	s_or_b32 s16, s16, s18
.LBB70_157:                             ;   in Loop: Header=BB70_146 Depth=2
	s_or_b32 exec_lo, exec_lo, s17
	s_delay_alu instid0(SALU_CYCLE_1)
	s_and_b32 s16, s16, exec_lo
                                        ; implicit-def: $vgpr9
.LBB70_158:                             ;   in Loop: Header=BB70_146 Depth=2
	s_and_not1_saveexec_b32 s15, s15
	s_cbranch_execz .LBB70_145
; %bb.159:                              ;   in Loop: Header=BB70_146 Depth=2
	v_mul_lo_u32 v10, v11, 60
	s_mov_b32 s17, 0
	s_delay_alu instid0(VALU_DEP_1)
	v_add_nc_u32_e32 v12, v9, v10
	ds_load_b64 v[9:10], v12 offset:1056
.LBB70_160:                             ;   Parent Loop BB70_104 Depth=1
                                        ;     Parent Loop BB70_146 Depth=2
                                        ; =>    This Inner Loop Header: Depth=3
	s_waitcnt lgkmcnt(0)
	v_add_f64 v[14:15], v[9:10], v[7:8]
	ds_cmpstore_rtn_b64 v[14:15], v12, v[14:15], v[9:10] offset:1056
	s_waitcnt lgkmcnt(0)
	v_cmp_eq_u64_e32 vcc_lo, v[14:15], v[9:10]
	v_dual_mov_b32 v9, v14 :: v_dual_mov_b32 v10, v15
	s_or_b32 s17, vcc_lo, s17
	s_delay_alu instid0(SALU_CYCLE_1)
	s_and_not1_b32 exec_lo, exec_lo, s17
	s_cbranch_execnz .LBB70_160
; %bb.161:                              ;   in Loop: Header=BB70_146 Depth=2
	s_or_b32 exec_lo, exec_lo, s17
	ds_load_b64 v[9:10], v12 offset:1064
	s_mov_b32 s17, 0
.LBB70_162:                             ;   Parent Loop BB70_104 Depth=1
                                        ;     Parent Loop BB70_146 Depth=2
                                        ; =>    This Inner Loop Header: Depth=3
	s_waitcnt lgkmcnt(0)
	v_add_f64 v[14:15], v[9:10], v[5:6]
	ds_cmpstore_rtn_b64 v[14:15], v12, v[14:15], v[9:10] offset:1064
	s_waitcnt lgkmcnt(0)
	v_cmp_eq_u64_e32 vcc_lo, v[14:15], v[9:10]
	v_dual_mov_b32 v9, v14 :: v_dual_mov_b32 v10, v15
	s_or_b32 s17, vcc_lo, s17
	s_delay_alu instid0(SALU_CYCLE_1)
	s_and_not1_b32 exec_lo, exec_lo, s17
	s_cbranch_execnz .LBB70_162
; %bb.163:                              ;   in Loop: Header=BB70_146 Depth=2
	s_or_b32 exec_lo, exec_lo, s17
	s_delay_alu instid0(SALU_CYCLE_1)
	s_and_not1_b32 s16, s16, exec_lo
	s_branch .LBB70_145
.LBB70_164:                             ;   in Loop: Header=BB70_104 Depth=1
	s_or_b32 exec_lo, exec_lo, s14
	v_mul_f64 v[5:6], v[3:4], -v[17:18]
	v_mul_f64 v[7:8], v[19:20], v[3:4]
	s_mov_b32 s14, 0
	s_delay_alu instid0(VALU_DEP_2) | instskip(NEXT) | instid1(VALU_DEP_2)
	v_fma_f64 v[3:4], v[19:20], v[1:2], v[5:6]
	v_fma_f64 v[1:2], v[17:18], v[1:2], v[7:8]
	s_branch .LBB70_166
.LBB70_165:                             ;   in Loop: Header=BB70_166 Depth=2
	s_or_b32 exec_lo, exec_lo, s15
	s_xor_b32 s15, s16, -1
	s_delay_alu instid0(SALU_CYCLE_1) | instskip(NEXT) | instid1(SALU_CYCLE_1)
	s_and_b32 s15, exec_lo, s15
	s_or_b32 s14, s15, s14
	s_delay_alu instid0(SALU_CYCLE_1)
	s_and_not1_b32 exec_lo, exec_lo, s14
	s_cbranch_execz .LBB70_103
.LBB70_166:                             ;   Parent Loop BB70_104 Depth=1
                                        ; =>  This Loop Header: Depth=2
                                        ;       Child Loop BB70_172 Depth 3
                                        ;       Child Loop BB70_174 Depth 3
	;; [unrolled: 1-line block ×4, first 2 shown]
	v_lshl_add_u32 v5, v25, 2, 0
	s_mov_b32 s15, exec_lo
                                        ; implicit-def: $sgpr16
	ds_load_b32 v6, v5
	s_waitcnt lgkmcnt(0)
	v_cmpx_ne_u32_e64 v6, v16
	s_xor_b32 s15, exec_lo, s15
	s_cbranch_execz .LBB70_178
; %bb.167:                              ;   in Loop: Header=BB70_166 Depth=2
	s_mov_b32 s17, exec_lo
                                        ; implicit-def: $sgpr16
	v_cmpx_ne_u32_e64 s3, v6
	s_xor_b32 s17, exec_lo, s17
; %bb.168:                              ;   in Loop: Header=BB70_166 Depth=2
	v_add_nc_u32_e32 v5, 1, v25
	s_mov_b32 s16, -1
	s_delay_alu instid0(VALU_DEP_1)
	v_and_b32_e32 v25, 0xff, v5
                                        ; implicit-def: $vgpr5
; %bb.169:                              ;   in Loop: Header=BB70_166 Depth=2
	s_and_not1_saveexec_b32 s17, s17
	s_cbranch_execz .LBB70_177
; %bb.170:                              ;   in Loop: Header=BB70_166 Depth=2
	v_mov_b32_e32 v6, s3
	s_mov_b32 s19, -1
	s_mov_b32 s18, exec_lo
	ds_cmpstore_rtn_b32 v6, v5, v16, v6
	s_waitcnt lgkmcnt(0)
	v_cmpx_eq_u32_e64 s3, v6
	s_cbranch_execz .LBB70_176
; %bb.171:                              ;   in Loop: Header=BB70_166 Depth=2
	v_mul_lo_u32 v6, v25, 60
	s_mov_b32 s19, 0
	s_delay_alu instid0(VALU_DEP_1)
	v_add_nc_u32_e32 v7, v5, v6
	ds_load_b64 v[5:6], v7 offset:1072
.LBB70_172:                             ;   Parent Loop BB70_104 Depth=1
                                        ;     Parent Loop BB70_166 Depth=2
                                        ; =>    This Inner Loop Header: Depth=3
	s_waitcnt lgkmcnt(0)
	v_add_f64 v[8:9], v[5:6], v[3:4]
	ds_cmpstore_rtn_b64 v[8:9], v7, v[8:9], v[5:6] offset:1072
	s_waitcnt lgkmcnt(0)
	v_cmp_eq_u64_e32 vcc_lo, v[8:9], v[5:6]
	v_dual_mov_b32 v5, v8 :: v_dual_mov_b32 v6, v9
	s_or_b32 s19, vcc_lo, s19
	s_delay_alu instid0(SALU_CYCLE_1)
	s_and_not1_b32 exec_lo, exec_lo, s19
	s_cbranch_execnz .LBB70_172
; %bb.173:                              ;   in Loop: Header=BB70_166 Depth=2
	s_or_b32 exec_lo, exec_lo, s19
	ds_load_b64 v[5:6], v7 offset:1080
	s_mov_b32 s19, 0
.LBB70_174:                             ;   Parent Loop BB70_104 Depth=1
                                        ;     Parent Loop BB70_166 Depth=2
                                        ; =>    This Inner Loop Header: Depth=3
	s_waitcnt lgkmcnt(0)
	v_add_f64 v[8:9], v[5:6], v[1:2]
	ds_cmpstore_rtn_b64 v[8:9], v7, v[8:9], v[5:6] offset:1080
	s_waitcnt lgkmcnt(0)
	v_cmp_eq_u64_e32 vcc_lo, v[8:9], v[5:6]
	v_dual_mov_b32 v5, v8 :: v_dual_mov_b32 v6, v9
	s_or_b32 s19, vcc_lo, s19
	s_delay_alu instid0(SALU_CYCLE_1)
	s_and_not1_b32 exec_lo, exec_lo, s19
	s_cbranch_execnz .LBB70_174
; %bb.175:                              ;   in Loop: Header=BB70_166 Depth=2
	s_or_b32 exec_lo, exec_lo, s19
	s_delay_alu instid0(SALU_CYCLE_1)
	s_xor_b32 s19, exec_lo, -1
.LBB70_176:                             ;   in Loop: Header=BB70_166 Depth=2
	s_or_b32 exec_lo, exec_lo, s18
	s_delay_alu instid0(SALU_CYCLE_1) | instskip(SKIP_1) | instid1(SALU_CYCLE_1)
	s_and_not1_b32 s16, s16, exec_lo
	s_and_b32 s18, s19, exec_lo
	s_or_b32 s16, s16, s18
.LBB70_177:                             ;   in Loop: Header=BB70_166 Depth=2
	s_or_b32 exec_lo, exec_lo, s17
	s_delay_alu instid0(SALU_CYCLE_1)
	s_and_b32 s16, s16, exec_lo
                                        ; implicit-def: $vgpr5
.LBB70_178:                             ;   in Loop: Header=BB70_166 Depth=2
	s_and_not1_saveexec_b32 s15, s15
	s_cbranch_execz .LBB70_165
; %bb.179:                              ;   in Loop: Header=BB70_166 Depth=2
	v_mul_lo_u32 v6, v25, 60
	s_mov_b32 s17, 0
	s_delay_alu instid0(VALU_DEP_1)
	v_add_nc_u32_e32 v7, v5, v6
	ds_load_b64 v[5:6], v7 offset:1072
.LBB70_180:                             ;   Parent Loop BB70_104 Depth=1
                                        ;     Parent Loop BB70_166 Depth=2
                                        ; =>    This Inner Loop Header: Depth=3
	s_waitcnt lgkmcnt(0)
	v_add_f64 v[8:9], v[5:6], v[3:4]
	ds_cmpstore_rtn_b64 v[8:9], v7, v[8:9], v[5:6] offset:1072
	s_waitcnt lgkmcnt(0)
	v_cmp_eq_u64_e32 vcc_lo, v[8:9], v[5:6]
	v_dual_mov_b32 v5, v8 :: v_dual_mov_b32 v6, v9
	s_or_b32 s17, vcc_lo, s17
	s_delay_alu instid0(SALU_CYCLE_1)
	s_and_not1_b32 exec_lo, exec_lo, s17
	s_cbranch_execnz .LBB70_180
; %bb.181:                              ;   in Loop: Header=BB70_166 Depth=2
	s_or_b32 exec_lo, exec_lo, s17
	ds_load_b64 v[5:6], v7 offset:1080
	s_mov_b32 s17, 0
.LBB70_182:                             ;   Parent Loop BB70_104 Depth=1
                                        ;     Parent Loop BB70_166 Depth=2
                                        ; =>    This Inner Loop Header: Depth=3
	s_waitcnt lgkmcnt(0)
	v_add_f64 v[8:9], v[5:6], v[1:2]
	ds_cmpstore_rtn_b64 v[8:9], v7, v[8:9], v[5:6] offset:1080
	s_waitcnt lgkmcnt(0)
	v_cmp_eq_u64_e32 vcc_lo, v[8:9], v[5:6]
	v_dual_mov_b32 v5, v8 :: v_dual_mov_b32 v6, v9
	s_or_b32 s17, vcc_lo, s17
	s_delay_alu instid0(SALU_CYCLE_1)
	s_and_not1_b32 exec_lo, exec_lo, s17
	s_cbranch_execnz .LBB70_182
; %bb.183:                              ;   in Loop: Header=BB70_166 Depth=2
	s_or_b32 exec_lo, exec_lo, s17
	s_delay_alu instid0(SALU_CYCLE_1)
	s_and_not1_b32 s16, s16, exec_lo
	s_branch .LBB70_165
.LBB70_184:
	s_or_b32 exec_lo, exec_lo, s4
.LBB70_185:
	s_barrier
	buffer_gl0_inv
	s_and_saveexec_b32 s1, s2
	s_cbranch_execz .LBB70_190
; %bb.186:
	ds_load_b32 v3, v50
	s_mov_b32 s1, 0
	s_waitcnt lgkmcnt(0)
	v_cmp_gt_i32_e32 vcc_lo, s3, v3
	s_and_b32 exec_lo, exec_lo, vcc_lo
	s_cbranch_execz .LBB70_190
; %bb.187:
	s_lshl_b64 s[2:3], s[34:35], 2
	s_delay_alu instid0(SALU_CYCLE_1) | instskip(SKIP_4) | instid1(SALU_CYCLE_1)
	s_add_u32 s2, s10, s2
	s_addc_u32 s3, s11, s3
	s_load_b32 s2, s[2:3], 0x0
	s_waitcnt lgkmcnt(0)
	s_sub_i32 s2, s2, s22
	v_mov_b32_e32 v1, s2
.LBB70_188:                             ; =>This Inner Loop Header: Depth=1
	s_add_i32 s2, s1, 0
	s_add_i32 s1, s1, 64
	v_mov_b32_e32 v2, s2
	s_cmpk_lg_i32 s1, 0x400
	ds_load_2addr_b32 v[4:5], v2 offset1:1
	ds_load_2addr_b32 v[6:7], v2 offset0:2 offset1:3
	ds_load_2addr_b32 v[8:9], v2 offset0:4 offset1:5
	ds_load_2addr_b32 v[10:11], v2 offset0:6 offset1:7
	ds_load_2addr_b32 v[12:13], v2 offset0:8 offset1:9
	ds_load_2addr_b32 v[14:15], v2 offset0:10 offset1:11
	ds_load_2addr_b32 v[16:17], v2 offset0:12 offset1:13
	ds_load_2addr_b32 v[18:19], v2 offset0:14 offset1:15
	s_waitcnt lgkmcnt(7)
	v_cmp_gt_i32_e32 vcc_lo, v3, v4
	v_cndmask_b32_e64 v2, 0, 1, vcc_lo
	s_waitcnt lgkmcnt(6)
	v_cmp_gt_i32_e32 vcc_lo, v3, v6
	v_cndmask_b32_e64 v4, 0, 1, vcc_lo
	v_cmp_gt_i32_e32 vcc_lo, v3, v5
	v_add_co_ci_u32_e32 v1, vcc_lo, v1, v2, vcc_lo
	s_waitcnt lgkmcnt(5)
	v_cmp_gt_i32_e32 vcc_lo, v3, v8
	v_cndmask_b32_e64 v2, 0, 1, vcc_lo
	v_cmp_gt_i32_e32 vcc_lo, v3, v7
	v_add_co_ci_u32_e32 v1, vcc_lo, v1, v4, vcc_lo
	;; [unrolled: 5-line block ×7, first 2 shown]
	v_cmp_gt_i32_e32 vcc_lo, v3, v19
	s_delay_alu instid0(VALU_DEP_2)
	v_add_co_ci_u32_e32 v1, vcc_lo, v1, v4, vcc_lo
	s_cbranch_scc1 .LBB70_188
; %bb.189:
	v_lshlrev_b32_e32 v2, 2, v0
	s_cmp_eq_u32 s0, 0
	v_lshlrev_b32_e32 v0, 6, v0
	s_cselect_b32 s0, 1, 2
	s_cselect_b32 s1, 2, 1
	v_or_b32_e32 v4, s0, v2
	v_or_b32_e32 v5, s1, v2
	v_add_nc_u32_e32 v6, 0, v0
	v_lshlrev_b32_e32 v20, 2, v1
	v_add3_u32 v0, 0, 0x400, v0
	v_lshl_add_u32 v8, v4, 4, 0
	v_lshl_add_u32 v12, v5, 4, 0
	v_ashrrev_i32_e32 v2, 31, v1
	v_ashrrev_i32_e32 v21, 31, v20
	ds_load_2addr_b64 v[4:7], v6 offset0:128 offset1:129
	ds_load_2addr_b64 v[8:11], v8 offset0:128 offset1:129
	;; [unrolled: 1-line block ×4, first 2 shown]
	v_add_nc_u32_e32 v22, s22, v3
	v_lshlrev_b64 v[0:1], 2, v[1:2]
	v_lshlrev_b64 v[2:3], 4, v[20:21]
	s_delay_alu instid0(VALU_DEP_2) | instskip(NEXT) | instid1(VALU_DEP_3)
	v_add_co_u32 v0, vcc_lo, s24, v0
	v_add_co_ci_u32_e32 v1, vcc_lo, s25, v1, vcc_lo
	s_delay_alu instid0(VALU_DEP_3) | instskip(NEXT) | instid1(VALU_DEP_4)
	v_add_co_u32 v2, vcc_lo, s26, v2
	v_add_co_ci_u32_e32 v3, vcc_lo, s27, v3, vcc_lo
	global_store_b32 v[0:1], v22, off
	s_waitcnt lgkmcnt(3)
	global_store_b128 v[2:3], v[4:7], off
	s_waitcnt lgkmcnt(2)
	global_store_b128 v[2:3], v[8:11], off offset:16
	s_waitcnt lgkmcnt(1)
	global_store_b128 v[2:3], v[12:15], off offset:32
	;; [unrolled: 2-line block ×3, first 2 shown]
.LBB70_190:
	s_nop 0
	s_sendmsg sendmsg(MSG_DEALLOC_VGPRS)
	s_endpgm
	.section	.rodata,"a",@progbits
	.p2align	6, 0x0
	.amdhsa_kernel _ZN9rocsparseL30bsrgemm_fill_block_per_row_2x2ILj256ELj16ELj256ELj137Eii21rocsparse_complex_numIdEEEv20rocsparse_direction_T4_S4_PKS4_S6_NS_24const_host_device_scalarIT5_EEPKT3_S6_PKS8_SC_S6_SE_S9_SC_S6_SE_SC_PS4_PS8_21rocsparse_index_base_SH_SH_SH_bbb
		.amdhsa_group_segment_fixed_size 0
		.amdhsa_private_segment_fixed_size 24
		.amdhsa_kernarg_size 180
		.amdhsa_user_sgpr_count 15
		.amdhsa_user_sgpr_dispatch_ptr 0
		.amdhsa_user_sgpr_queue_ptr 0
		.amdhsa_user_sgpr_kernarg_segment_ptr 1
		.amdhsa_user_sgpr_dispatch_id 0
		.amdhsa_user_sgpr_private_segment_size 0
		.amdhsa_wavefront_size32 1
		.amdhsa_uses_dynamic_stack 0
		.amdhsa_enable_private_segment 1
		.amdhsa_system_sgpr_workgroup_id_x 1
		.amdhsa_system_sgpr_workgroup_id_y 0
		.amdhsa_system_sgpr_workgroup_id_z 0
		.amdhsa_system_sgpr_workgroup_info 0
		.amdhsa_system_vgpr_workitem_id 0
		.amdhsa_next_free_vgpr 58
		.amdhsa_next_free_sgpr 46
		.amdhsa_reserve_vcc 1
		.amdhsa_float_round_mode_32 0
		.amdhsa_float_round_mode_16_64 0
		.amdhsa_float_denorm_mode_32 3
		.amdhsa_float_denorm_mode_16_64 3
		.amdhsa_dx10_clamp 1
		.amdhsa_ieee_mode 1
		.amdhsa_fp16_overflow 0
		.amdhsa_workgroup_processor_mode 1
		.amdhsa_memory_ordered 1
		.amdhsa_forward_progress 0
		.amdhsa_shared_vgpr_count 0
		.amdhsa_exception_fp_ieee_invalid_op 0
		.amdhsa_exception_fp_denorm_src 0
		.amdhsa_exception_fp_ieee_div_zero 0
		.amdhsa_exception_fp_ieee_overflow 0
		.amdhsa_exception_fp_ieee_underflow 0
		.amdhsa_exception_fp_ieee_inexact 0
		.amdhsa_exception_int_div_zero 0
	.end_amdhsa_kernel
	.section	.text._ZN9rocsparseL30bsrgemm_fill_block_per_row_2x2ILj256ELj16ELj256ELj137Eii21rocsparse_complex_numIdEEEv20rocsparse_direction_T4_S4_PKS4_S6_NS_24const_host_device_scalarIT5_EEPKT3_S6_PKS8_SC_S6_SE_S9_SC_S6_SE_SC_PS4_PS8_21rocsparse_index_base_SH_SH_SH_bbb,"axG",@progbits,_ZN9rocsparseL30bsrgemm_fill_block_per_row_2x2ILj256ELj16ELj256ELj137Eii21rocsparse_complex_numIdEEEv20rocsparse_direction_T4_S4_PKS4_S6_NS_24const_host_device_scalarIT5_EEPKT3_S6_PKS8_SC_S6_SE_S9_SC_S6_SE_SC_PS4_PS8_21rocsparse_index_base_SH_SH_SH_bbb,comdat
.Lfunc_end70:
	.size	_ZN9rocsparseL30bsrgemm_fill_block_per_row_2x2ILj256ELj16ELj256ELj137Eii21rocsparse_complex_numIdEEEv20rocsparse_direction_T4_S4_PKS4_S6_NS_24const_host_device_scalarIT5_EEPKT3_S6_PKS8_SC_S6_SE_S9_SC_S6_SE_SC_PS4_PS8_21rocsparse_index_base_SH_SH_SH_bbb, .Lfunc_end70-_ZN9rocsparseL30bsrgemm_fill_block_per_row_2x2ILj256ELj16ELj256ELj137Eii21rocsparse_complex_numIdEEEv20rocsparse_direction_T4_S4_PKS4_S6_NS_24const_host_device_scalarIT5_EEPKT3_S6_PKS8_SC_S6_SE_S9_SC_S6_SE_SC_PS4_PS8_21rocsparse_index_base_SH_SH_SH_bbb
                                        ; -- End function
	.section	.AMDGPU.csdata,"",@progbits
; Kernel info:
; codeLenInByte = 7064
; NumSgprs: 48
; NumVgprs: 58
; ScratchSize: 24
; MemoryBound: 0
; FloatMode: 240
; IeeeMode: 1
; LDSByteSize: 0 bytes/workgroup (compile time only)
; SGPRBlocks: 5
; VGPRBlocks: 7
; NumSGPRsForWavesPerEU: 48
; NumVGPRsForWavesPerEU: 58
; Occupancy: 16
; WaveLimiterHint : 1
; COMPUTE_PGM_RSRC2:SCRATCH_EN: 1
; COMPUTE_PGM_RSRC2:USER_SGPR: 15
; COMPUTE_PGM_RSRC2:TRAP_HANDLER: 0
; COMPUTE_PGM_RSRC2:TGID_X_EN: 1
; COMPUTE_PGM_RSRC2:TGID_Y_EN: 0
; COMPUTE_PGM_RSRC2:TGID_Z_EN: 0
; COMPUTE_PGM_RSRC2:TIDIG_COMP_CNT: 0
	.section	.text._ZN9rocsparseL38bsrgemm_block_per_row_atomic_multipassILj256ELj256ELj2Eii21rocsparse_complex_numIdEEEv20rocsparse_direction_T3_S4_PKS4_S6_NS_24const_host_device_scalarIT4_EEPKT2_S6_PKS8_SC_S6_SE_S9_SC_S6_SE_SC_PS4_PS8_PSA_21rocsparse_index_base_SI_SI_SI_bbb,"axG",@progbits,_ZN9rocsparseL38bsrgemm_block_per_row_atomic_multipassILj256ELj256ELj2Eii21rocsparse_complex_numIdEEEv20rocsparse_direction_T3_S4_PKS4_S6_NS_24const_host_device_scalarIT4_EEPKT2_S6_PKS8_SC_S6_SE_S9_SC_S6_SE_SC_PS4_PS8_PSA_21rocsparse_index_base_SI_SI_SI_bbb,comdat
	.globl	_ZN9rocsparseL38bsrgemm_block_per_row_atomic_multipassILj256ELj256ELj2Eii21rocsparse_complex_numIdEEEv20rocsparse_direction_T3_S4_PKS4_S6_NS_24const_host_device_scalarIT4_EEPKT2_S6_PKS8_SC_S6_SE_S9_SC_S6_SE_SC_PS4_PS8_PSA_21rocsparse_index_base_SI_SI_SI_bbb ; -- Begin function _ZN9rocsparseL38bsrgemm_block_per_row_atomic_multipassILj256ELj256ELj2Eii21rocsparse_complex_numIdEEEv20rocsparse_direction_T3_S4_PKS4_S6_NS_24const_host_device_scalarIT4_EEPKT2_S6_PKS8_SC_S6_SE_S9_SC_S6_SE_SC_PS4_PS8_PSA_21rocsparse_index_base_SI_SI_SI_bbb
	.p2align	8
	.type	_ZN9rocsparseL38bsrgemm_block_per_row_atomic_multipassILj256ELj256ELj2Eii21rocsparse_complex_numIdEEEv20rocsparse_direction_T3_S4_PKS4_S6_NS_24const_host_device_scalarIT4_EEPKT2_S6_PKS8_SC_S6_SE_S9_SC_S6_SE_SC_PS4_PS8_PSA_21rocsparse_index_base_SI_SI_SI_bbb,@function
_ZN9rocsparseL38bsrgemm_block_per_row_atomic_multipassILj256ELj256ELj2Eii21rocsparse_complex_numIdEEEv20rocsparse_direction_T3_S4_PKS4_S6_NS_24const_host_device_scalarIT4_EEPKT2_S6_PKS8_SC_S6_SE_S9_SC_S6_SE_SC_PS4_PS8_PSA_21rocsparse_index_base_SI_SI_SI_bbb: ; @_ZN9rocsparseL38bsrgemm_block_per_row_atomic_multipassILj256ELj256ELj2Eii21rocsparse_complex_numIdEEEv20rocsparse_direction_T3_S4_PKS4_S6_NS_24const_host_device_scalarIT4_EEPKT2_S6_PKS8_SC_S6_SE_S9_SC_S6_SE_SC_PS4_PS8_PSA_21rocsparse_index_base_SI_SI_SI_bbb
; %bb.0:
	s_clause 0x3
	s_load_b32 s13, s[0:1], 0xb8
	s_load_b128 s[8:11], s[0:1], 0x20
	s_load_b128 s[4:7], s[0:1], 0x60
	;; [unrolled: 1-line block ×3, first 2 shown]
	v_mov_b32_e32 v10, 0
	v_mov_b32_e32 v11, 0
	s_mov_b32 s12, s15
	s_waitcnt lgkmcnt(0)
	s_bitcmp1_b32 s13, 0
	v_dual_mov_b32 v1, s8 :: v_dual_mov_b32 v2, s9
	s_cselect_b32 s14, -1, 0
	s_bitcmp1_b32 s13, 16
	v_dual_mov_b32 v8, v10 :: v_dual_mov_b32 v9, v11
	s_cselect_b32 s2, -1, 0
	v_dual_mov_b32 v13, v11 :: v_dual_mov_b32 v12, v10
	s_xor_b32 s3, s2, -1
	v_dual_mov_b32 v3, s4 :: v_dual_mov_b32 v4, s5
	v_cndmask_b32_e64 v5, 0, 1, s3
	s_bitcmp0_b32 s13, 0
	s_clause 0x1
	scratch_store_b64 off, v[1:2], off
	scratch_store_b64 off, v[3:4], off offset:8
	v_cmp_ne_u32_e32 vcc_lo, 1, v5
	s_cbranch_scc1 .LBB71_3
; %bb.1:
	s_mov_b64 s[16:17], src_private_base
	s_and_b32 s15, s2, exec_lo
	s_cselect_b32 s15, s17, s9
	s_delay_alu instid0(SALU_CYCLE_1) | instskip(SKIP_2) | instid1(VALU_DEP_2)
	v_dual_mov_b32 v1, 0 :: v_dual_mov_b32 v2, s15
	v_dual_mov_b32 v13, s11 :: v_dual_mov_b32 v12, s10
	s_and_b32 vcc_lo, exec_lo, vcc_lo
	v_cndmask_b32_e64 v1, s8, v1, s2
	flat_load_b64 v[8:9], v[1:2]
	s_cbranch_vccnz .LBB71_3
; %bb.2:
	v_dual_mov_b32 v1, s8 :: v_dual_mov_b32 v2, s9
	flat_load_b64 v[12:13], v[1:2] offset:8
.LBB71_3:
	s_load_b64 s[8:9], s[0:1], 0x18
	s_bitcmp1_b32 s13, 8
	v_dual_mov_b32 v15, v11 :: v_dual_mov_b32 v14, v10
	s_cselect_b32 s33, -1, 0
	s_bfe_u32 s10, s13, 0x10008
	s_delay_alu instid0(SALU_CYCLE_1)
	s_cmp_eq_u32 s10, 0
	s_cbranch_scc1 .LBB71_6
; %bb.4:
	s_mov_b64 s[10:11], src_private_base
	s_and_b32 s10, s2, exec_lo
	s_cselect_b32 s10, s11, s5
	s_delay_alu instid0(SALU_CYCLE_1) | instskip(SKIP_2) | instid1(VALU_DEP_2)
	v_dual_mov_b32 v1, 8 :: v_dual_mov_b32 v2, s10
	v_dual_mov_b32 v11, s7 :: v_dual_mov_b32 v10, s6
	s_and_not1_b32 vcc_lo, exec_lo, s3
	v_cndmask_b32_e64 v1, s4, v1, s2
	flat_load_b64 v[14:15], v[1:2]
	s_cbranch_vccnz .LBB71_6
; %bb.5:
	v_dual_mov_b32 v1, s4 :: v_dual_mov_b32 v2, s5
	flat_load_b64 v[10:11], v[1:2] offset:8
.LBB71_6:
	s_load_b64 s[2:3], s[0:1], 0x30
	s_waitcnt lgkmcnt(0)
	s_cmp_eq_u64 s[8:9], 0
	s_cbranch_scc1 .LBB71_8
; %bb.7:
	s_load_b64 s[4:5], s[0:1], 0x10
	s_waitcnt lgkmcnt(0)
	s_load_b32 s4, s[4:5], 0x0
	s_mov_b32 s5, 0
	s_waitcnt lgkmcnt(0)
	s_add_i32 s4, s4, s12
	s_delay_alu instid0(SALU_CYCLE_1) | instskip(NEXT) | instid1(SALU_CYCLE_1)
	s_lshl_b64 s[4:5], s[4:5], 2
	s_add_u32 s4, s8, s4
	s_addc_u32 s5, s9, s5
	s_load_b32 s12, s[4:5], 0x0
.LBB71_8:
	s_mov_b32 s50, 0
	s_and_not1_b32 vcc_lo, exec_lo, s14
	s_mov_b32 s51, 0
	s_cbranch_vccz .LBB71_11
; %bb.9:
	s_and_not1_b32 vcc_lo, exec_lo, s14
	s_cbranch_vccz .LBB71_12
.LBB71_10:
	s_load_b128 s[40:43], s[0:1], 0x0
	s_waitcnt lgkmcnt(0)
	s_cmp_lt_i32 s41, 1
	s_cbranch_scc0 .LBB71_13
	s_branch .LBB71_106
.LBB71_11:
	s_waitcnt lgkmcnt(0)
	s_ashr_i32 s13, s12, 31
	s_delay_alu instid0(SALU_CYCLE_1) | instskip(NEXT) | instid1(SALU_CYCLE_1)
	s_lshl_b64 s[4:5], s[12:13], 2
	s_add_u32 s4, s2, s4
	s_addc_u32 s5, s3, s5
	s_load_b32 s4, s[4:5], 0x0
	s_waitcnt lgkmcnt(0)
	s_sub_i32 s51, s4, s36
	s_and_not1_b32 vcc_lo, exec_lo, s14
	s_cbranch_vccnz .LBB71_10
.LBB71_12:
	s_waitcnt lgkmcnt(0)
	s_ashr_i32 s13, s12, 31
	s_delay_alu instid0(SALU_CYCLE_1) | instskip(NEXT) | instid1(SALU_CYCLE_1)
	s_lshl_b64 s[4:5], s[12:13], 2
	s_add_u32 s2, s2, s4
	s_addc_u32 s3, s3, s5
	s_load_b32 s2, s[2:3], 0x4
	s_waitcnt lgkmcnt(0)
	s_sub_i32 s50, s2, s36
	s_load_b128 s[40:43], s[0:1], 0x0
	s_waitcnt lgkmcnt(0)
	s_cmp_lt_i32 s41, 1
	s_cbranch_scc1 .LBB71_106
.LBB71_13:
	s_clause 0x4
	s_load_b256 s[16:23], s[0:1], 0x70
	s_load_b64 s[34:35], s[0:1], 0xa0
	s_load_b128 s[44:47], s[0:1], 0x90
	s_load_b64 s[48:49], s[0:1], 0x58
	s_load_b256 s[24:31], s[0:1], 0x38
	s_ashr_i32 s13, s12, 31
	v_and_b32_e32 v16, 1, v0
	s_lshl_b64 s[52:53], s[12:13], 2
	v_bfe_u32 v17, v0, 1, 1
	v_lshrrev_b32_e32 v29, 2, v0
	v_cmp_gt_u32_e64 s0, 0x100, v0
	v_cmp_eq_u32_e64 s1, 0, v0
	v_lshlrev_b32_e32 v30, 4, v0
	v_and_b32_e32 v31, 2, v0
	v_dual_mov_b32 v49, 1 :: v_dual_lshlrev_b32 v2, 2, v0
	v_cmp_lt_u32_e64 s4, 3, v0
	v_cmp_lt_u32_e64 s5, 7, v0
	;; [unrolled: 1-line block ×4, first 2 shown]
	s_waitcnt lgkmcnt(0)
	s_add_u32 s2, s22, s52
	s_addc_u32 s3, s23, s53
	v_add_co_u32 v3, s22, v0, -1
	s_load_b32 s11, s[2:3], 0x0
	v_cmp_ne_u32_e64 s2, 0, v0
	v_cmp_lt_u32_e64 s3, 1, v0
	v_cmp_lt_u32_e64 s8, 63, v0
	;; [unrolled: 1-line block ×3, first 2 shown]
	v_max_i32_e32 v4, v16, v17
	v_or_b32_e32 v43, 0xffffff00, v0
	v_or_b32_e32 v34, 0x5000, v2
	v_lshl_add_u32 v35, v3, 2, 0x5000
	v_add_nc_u32_e32 v40, 0x4f80, v2
	v_add_nc_u32_e32 v41, 0x4f00, v2
	v_cmp_le_i32_e64 s12, s42, v4
	v_add_nc_u32_e32 v42, 0x4e00, v2
	v_dual_mov_b32 v52, 0x100 :: v_dual_lshlrev_b32 v3, 4, v17
	s_movk_i32 s43, 0xfe0
	v_subrev_nc_u32_e32 v33, s39, v29
	s_mul_i32 s54, s42, s42
	s_waitcnt lgkmcnt(0)
	s_sub_i32 s13, s11, s38
	s_cmp_lt_i32 s51, s50
	v_dual_mov_b32 v48, s13 :: v_dual_add_nc_u32 v37, 0x4ff0, v2
	s_cselect_b32 s15, -1, 0
	s_cmp_eq_u32 s40, 0
	v_cmp_gt_i32_e64 s11, s42, v4
	s_cselect_b32 vcc_lo, -1, 0
	v_dual_cndmask_b32 v18, v16, v17 :: v_dual_and_b32 v1, 3, v0
	s_cmp_lg_u32 s40, 0
	s_cselect_b32 s23, -1, 0
	s_delay_alu instid0(VALU_DEP_1) | instskip(SKIP_4) | instid1(VALU_DEP_3)
	v_cmp_eq_u32_e64 s10, 3, v1
	v_dual_mov_b32 v0, 0 :: v_dual_and_b32 v1, 0xfc, v0
	v_add_nc_u32_e32 v38, 0x4fe0, v2
	v_add_nc_u32_e32 v39, 0x4fc0, v2
	s_cmp_gt_i32 s42, 0
	v_or3_b32 v4, v1, v31, v16
	v_or_b32_e32 v47, 0x5000, v1
	v_dual_mov_b32 v1, v0 :: v_dual_add_nc_u32 v36, 0x4ff8, v2
	v_dual_cndmask_b32 v19, v17, v16 :: v_dual_lshlrev_b32 v2, 6, v29
	s_cselect_b32 s40, -1, 0
	s_add_u32 s16, s16, s52
	v_lshlrev_b32_e32 v46, 4, v4
	v_cndmask_b32_e64 v50, 0, 1, s40
	v_or3_b32 v44, v2, v3, 0x4000
	v_mov_b32_e32 v2, v0
	v_mov_b32_e32 v3, v0
	v_or_b32_e32 v32, 0x4000, v30
	v_and_or_b32 v45, v30, s43, 0x4000
	v_mov_b32_e32 v51, v0
	s_addc_u32 s17, s17, s53
	s_and_b32 s43, s14, s15
	s_add_u32 s52, s28, 4
	s_addc_u32 s53, s29, 0
	s_branch .LBB71_15
.LBB71_14:                              ;   in Loop: Header=BB71_15 Depth=1
	s_set_inst_prefetch_distance 0x2
	s_or_b32 exec_lo, exec_lo, s13
	s_waitcnt_vscnt null, 0x0
	s_barrier
	buffer_gl0_inv
	ds_load_b32 v51, v0 offset:21504
	v_add_nc_u32_e32 v48, v6, v48
	s_waitcnt lgkmcnt(0)
	s_barrier
	buffer_gl0_inv
	v_cmp_le_i32_e32 vcc_lo, s41, v51
	v_add_nc_u32_e32 v52, 0x100, v51
	s_cbranch_vccnz .LBB71_106
.LBB71_15:                              ; =>This Loop Header: Depth=1
                                        ;     Child Loop BB71_18 Depth 2
                                        ;     Child Loop BB71_24 Depth 2
                                        ;       Child Loop BB71_37 Depth 3
                                        ;         Child Loop BB71_46 Depth 4
                                        ;         Child Loop BB71_51 Depth 4
	;; [unrolled: 1-line block ×4, first 2 shown]
                                        ;     Child Loop BB71_66 Depth 2
                                        ;       Child Loop BB71_71 Depth 3
                                        ;       Child Loop BB71_73 Depth 3
                                        ;     Child Loop BB71_78 Depth 2
                                        ;     Child Loop BB71_103 Depth 2
	s_and_saveexec_b32 s13, s0
	s_cbranch_execz .LBB71_17
; %bb.16:                               ;   in Loop: Header=BB71_15 Depth=1
	ds_store_b32 v34, v0
.LBB71_17:                              ;   in Loop: Header=BB71_15 Depth=1
	s_or_b32 exec_lo, exec_lo, s13
	v_dual_mov_b32 v4, v30 :: v_dual_mov_b32 v5, v43
	s_mov_b32 s13, 0
.LBB71_18:                              ;   Parent Loop BB71_15 Depth=1
                                        ; =>  This Inner Loop Header: Depth=2
	s_delay_alu instid0(VALU_DEP_1) | instskip(SKIP_4) | instid1(SALU_CYCLE_1)
	v_add_nc_u32_e32 v5, 0x100, v5
	ds_store_b128 v4, v[0:3]
	v_add_nc_u32_e32 v4, 0x1000, v4
	v_cmp_lt_u32_e32 vcc_lo, 0x2ff, v5
	s_or_b32 s13, vcc_lo, s13
	s_and_not1_b32 exec_lo, exec_lo, s13
	s_cbranch_execnz .LBB71_18
; %bb.19:                               ;   in Loop: Header=BB71_15 Depth=1
	s_or_b32 exec_lo, exec_lo, s13
	s_and_saveexec_b32 s13, s1
	s_cbranch_execz .LBB71_21
; %bb.20:                               ;   in Loop: Header=BB71_15 Depth=1
	v_mov_b32_e32 v4, s41
	ds_store_b32 v0, v4 offset:21504
.LBB71_21:                              ;   in Loop: Header=BB71_15 Depth=1
	s_or_b32 exec_lo, exec_lo, s13
	v_mov_b32_e32 v53, s41
	s_and_not1_b32 vcc_lo, exec_lo, s43
	s_waitcnt vmcnt(0) lgkmcnt(0)
	s_waitcnt_vscnt null, 0x0
	s_barrier
	buffer_gl0_inv
	s_cbranch_vccnz .LBB71_61
; %bb.22:                               ;   in Loop: Header=BB71_15 Depth=1
	v_cmp_ne_u32_e64 s13, 0, v51
	v_mov_b32_e32 v53, s41
	s_mov_b32 s55, s51
	s_branch .LBB71_24
.LBB71_23:                              ;   in Loop: Header=BB71_24 Depth=2
	s_or_b32 exec_lo, exec_lo, s15
	s_add_i32 s55, s55, 64
	s_delay_alu instid0(SALU_CYCLE_1)
	s_cmp_lt_i32 s55, s50
	s_cbranch_scc0 .LBB71_61
.LBB71_24:                              ;   Parent Loop BB71_15 Depth=1
                                        ; =>  This Loop Header: Depth=2
                                        ;       Child Loop BB71_37 Depth 3
                                        ;         Child Loop BB71_46 Depth 4
                                        ;         Child Loop BB71_51 Depth 4
	;; [unrolled: 1-line block ×4, first 2 shown]
	v_add_nc_u32_e32 v4, s55, v29
	s_waitcnt_vscnt null, 0x0
	s_barrier
	buffer_gl0_inv
	v_cmp_gt_i32_e64 s14, s50, v4
	s_delay_alu instid0(VALU_DEP_1)
	s_and_saveexec_b32 s15, s14
	s_cbranch_execz .LBB71_29
; %bb.25:                               ;   in Loop: Header=BB71_24 Depth=2
	s_and_saveexec_b32 s56, s12
	s_delay_alu instid0(SALU_CYCLE_1)
	s_xor_b32 s56, exec_lo, s56
	s_cbranch_execz .LBB71_27
; %bb.26:                               ;   in Loop: Header=BB71_24 Depth=2
	ds_store_b128 v32, v[0:3]
.LBB71_27:                              ;   in Loop: Header=BB71_24 Depth=2
	s_and_not1_saveexec_b32 s56, s56
	s_cbranch_execz .LBB71_29
; %bb.28:                               ;   in Loop: Header=BB71_24 Depth=2
	v_mad_u64_u32 v[5:6], null, v4, s42, v[17:18]
	s_delay_alu instid0(VALU_DEP_1) | instskip(NEXT) | instid1(VALU_DEP_1)
	v_mad_u64_u32 v[6:7], null, v5, s42, v[16:17]
	v_ashrrev_i32_e32 v7, 31, v6
	s_delay_alu instid0(VALU_DEP_1) | instskip(NEXT) | instid1(VALU_DEP_1)
	v_lshlrev_b64 v[5:6], 4, v[6:7]
	v_add_co_u32 v5, vcc_lo, s26, v5
	s_delay_alu instid0(VALU_DEP_2)
	v_add_co_ci_u32_e32 v6, vcc_lo, s27, v6, vcc_lo
	global_load_b128 v[20:23], v[5:6], off
	s_waitcnt vmcnt(0)
	ds_store_2addr_b64 v32, v[20:21], v[22:23] offset1:1
.LBB71_29:                              ;   in Loop: Header=BB71_24 Depth=2
	s_or_b32 exec_lo, exec_lo, s15
	v_mov_b32_e32 v54, 0
	v_ashrrev_i32_e32 v5, 31, v4
	s_waitcnt lgkmcnt(0)
	s_barrier
	buffer_gl0_inv
	s_and_saveexec_b32 s56, s14
	s_cbranch_execz .LBB71_58
; %bb.30:                               ;   in Loop: Header=BB71_24 Depth=2
	v_lshlrev_b64 v[20:21], 2, v[4:5]
	s_delay_alu instid0(VALU_DEP_1) | instskip(NEXT) | instid1(VALU_DEP_2)
	v_add_co_u32 v6, vcc_lo, s24, v20
	v_add_co_ci_u32_e32 v7, vcc_lo, s25, v21, vcc_lo
	s_and_b32 vcc_lo, exec_lo, s13
	global_load_b32 v6, v[6:7], off
	s_waitcnt vmcnt(0)
	v_subrev_nc_u32_e32 v6, s36, v6
	s_delay_alu instid0(VALU_DEP_1)
	v_ashrrev_i32_e32 v7, 31, v6
	s_cbranch_vccz .LBB71_60
; %bb.31:                               ;   in Loop: Header=BB71_24 Depth=2
	v_add_co_u32 v20, vcc_lo, s34, v20
	v_add_co_ci_u32_e32 v21, vcc_lo, s35, v21, vcc_lo
	global_load_b32 v54, v[20:21], off
	s_cbranch_execnz .LBB71_33
.LBB71_32:                              ;   in Loop: Header=BB71_24 Depth=2
	s_delay_alu instid0(VALU_DEP_1) | instskip(NEXT) | instid1(VALU_DEP_1)
	v_lshlrev_b64 v[20:21], 2, v[6:7]
	v_add_co_u32 v20, vcc_lo, s28, v20
	s_delay_alu instid0(VALU_DEP_2)
	v_add_co_ci_u32_e32 v21, vcc_lo, s29, v21, vcc_lo
	global_load_b32 v20, v[20:21], off
	s_waitcnt vmcnt(0)
	v_subrev_nc_u32_e32 v54, s37, v20
.LBB71_33:                              ;   in Loop: Header=BB71_24 Depth=2
	v_lshlrev_b64 v[6:7], 2, v[6:7]
	s_mov_b32 s57, exec_lo
	s_delay_alu instid0(VALU_DEP_1) | instskip(NEXT) | instid1(VALU_DEP_2)
	v_add_co_u32 v6, vcc_lo, s52, v6
	v_add_co_ci_u32_e32 v7, vcc_lo, s53, v7, vcc_lo
	global_load_b32 v6, v[6:7], off
	s_waitcnt vmcnt(0)
	v_subrev_nc_u32_e32 v55, s37, v6
	s_delay_alu instid0(VALU_DEP_1)
	v_cmpx_lt_i32_e64 v54, v55
	s_cbranch_execz .LBB71_57
; %bb.34:                               ;   in Loop: Header=BB71_24 Depth=2
	v_mad_u64_u32 v[6:7], null, s42, v54, v[16:17]
	v_mov_b32_e32 v20, v54
	s_mov_b32 s58, 0
	s_delay_alu instid0(VALU_DEP_2)
	v_mul_lo_u32 v56, s42, v6
	v_mad_u64_u32 v[6:7], null, s54, v54, v[16:17]
	s_branch .LBB71_37
.LBB71_35:                              ;   in Loop: Header=BB71_37 Depth=3
	s_or_b32 exec_lo, exec_lo, s61
	s_delay_alu instid0(SALU_CYCLE_1)
	s_or_b32 s59, s59, exec_lo
.LBB71_36:                              ;   in Loop: Header=BB71_37 Depth=3
	s_or_b32 exec_lo, exec_lo, s60
	v_add_nc_u32_e32 v20, 1, v20
	s_xor_b32 s15, s59, -1
	v_add_nc_u32_e32 v56, s54, v56
	v_add_nc_u32_e32 v6, s54, v6
	s_delay_alu instid0(VALU_DEP_3) | instskip(SKIP_1) | instid1(SALU_CYCLE_1)
	v_cmp_ge_i32_e32 vcc_lo, v20, v55
	s_or_b32 s15, s15, vcc_lo
	s_and_b32 s15, exec_lo, s15
	s_delay_alu instid0(SALU_CYCLE_1) | instskip(NEXT) | instid1(SALU_CYCLE_1)
	s_or_b32 s58, s15, s58
	s_and_not1_b32 exec_lo, exec_lo, s58
	s_cbranch_execz .LBB71_56
.LBB71_37:                              ;   Parent Loop BB71_15 Depth=1
                                        ;     Parent Loop BB71_24 Depth=2
                                        ; =>    This Loop Header: Depth=3
                                        ;         Child Loop BB71_46 Depth 4
                                        ;         Child Loop BB71_51 Depth 4
	;; [unrolled: 1-line block ×4, first 2 shown]
	v_ashrrev_i32_e32 v21, 31, v20
                                        ; implicit-def: $sgpr59
	s_delay_alu instid0(VALU_DEP_1) | instskip(NEXT) | instid1(VALU_DEP_1)
	v_lshlrev_b64 v[21:22], 2, v[20:21]
	v_add_co_u32 v21, vcc_lo, s30, v21
	s_delay_alu instid0(VALU_DEP_2) | instskip(SKIP_3) | instid1(VALU_DEP_1)
	v_add_co_ci_u32_e32 v22, vcc_lo, s31, v22, vcc_lo
	global_load_b32 v7, v[21:22], off
	s_waitcnt vmcnt(0)
	v_subrev_nc_u32_e32 v7, s37, v7
	v_cmp_lt_i32_e64 s15, v7, v51
	v_cmp_ge_i32_e32 vcc_lo, v7, v52
	s_delay_alu instid0(VALU_DEP_2) | instskip(NEXT) | instid1(SALU_CYCLE_1)
	s_or_b32 s15, s15, vcc_lo
	s_and_saveexec_b32 s60, s15
	s_delay_alu instid0(SALU_CYCLE_1)
	s_xor_b32 s15, exec_lo, s60
	s_cbranch_execz .LBB71_41
; %bb.38:                               ;   in Loop: Header=BB71_37 Depth=3
	s_mov_b32 s59, -1
	s_and_saveexec_b32 s60, vcc_lo
; %bb.39:                               ;   in Loop: Header=BB71_37 Depth=3
	v_min_i32_e32 v53, v7, v53
	v_mov_b32_e32 v54, v20
	s_xor_b32 s59, exec_lo, -1
; %bb.40:                               ;   in Loop: Header=BB71_37 Depth=3
	s_or_b32 exec_lo, exec_lo, s60
	s_delay_alu instid0(SALU_CYCLE_1)
	s_and_b32 s59, s59, exec_lo
                                        ; implicit-def: $vgpr7
.LBB71_41:                              ;   in Loop: Header=BB71_37 Depth=3
	s_and_not1_saveexec_b32 s60, s15
	s_cbranch_execz .LBB71_36
; %bb.42:                               ;   in Loop: Header=BB71_37 Depth=3
	v_sub_nc_u32_e32 v7, v7, v51
	s_delay_alu instid0(VALU_DEP_1)
	v_lshlrev_b32_e32 v7, 2, v7
	ds_store_b32 v7, v49 offset:20480
	s_and_saveexec_b32 s61, s11
	s_cbranch_execz .LBB71_35
; %bb.43:                               ;   in Loop: Header=BB71_37 Depth=3
	v_cmp_ne_u32_e64 s15, 1, v50
	s_and_not1_b32 vcc_lo, exec_lo, s23
	s_cbranch_vccnz .LBB71_48
; %bb.44:                               ;   in Loop: Header=BB71_37 Depth=3
	v_mov_b32_e32 v21, 0
	v_mov_b32_e32 v22, 0
	s_and_b32 vcc_lo, exec_lo, s15
	s_delay_alu instid0(VALU_DEP_1)
	v_dual_mov_b32 v24, v22 :: v_dual_mov_b32 v23, v21
	s_cbranch_vccnz .LBB71_47
; %bb.45:                               ;   in Loop: Header=BB71_37 Depth=3
	v_mov_b32_e32 v21, 0
	v_dual_mov_b32 v22, 0 :: v_dual_mov_b32 v25, v56
	v_mov_b32_e32 v27, v44
	s_mov_b32 s15, s42
	s_delay_alu instid0(VALU_DEP_2)
	v_dual_mov_b32 v24, v22 :: v_dual_mov_b32 v23, v21
	.p2align	6
.LBB71_46:                              ;   Parent Loop BB71_15 Depth=1
                                        ;     Parent Loop BB71_24 Depth=2
                                        ;       Parent Loop BB71_37 Depth=3
                                        ; =>      This Inner Loop Header: Depth=4
	s_delay_alu instid0(VALU_DEP_3) | instskip(SKIP_3) | instid1(SALU_CYCLE_1)
	v_ashrrev_i32_e32 v26, 31, v25
	ds_load_b128 v[61:64], v27
	v_add_nc_u32_e32 v27, 32, v27
	s_add_i32 s15, s15, -1
	s_cmp_lg_u32 s15, 0
	v_lshlrev_b64 v[57:58], 4, v[25:26]
	v_add_nc_u32_e32 v25, 1, v25
	s_delay_alu instid0(VALU_DEP_2) | instskip(NEXT) | instid1(VALU_DEP_3)
	v_add_co_u32 v57, vcc_lo, s48, v57
	v_add_co_ci_u32_e32 v58, vcc_lo, s49, v58, vcc_lo
	global_load_b128 v[57:60], v[57:58], off
	s_waitcnt vmcnt(0) lgkmcnt(0)
	v_fma_f64 v[21:22], v[61:62], v[57:58], v[21:22]
	v_fma_f64 v[23:24], v[63:64], v[57:58], v[23:24]
	s_delay_alu instid0(VALU_DEP_2) | instskip(NEXT) | instid1(VALU_DEP_2)
	v_fma_f64 v[21:22], -v[63:64], v[59:60], v[21:22]
	v_fma_f64 v[23:24], v[61:62], v[59:60], v[23:24]
	s_cbranch_scc1 .LBB71_46
.LBB71_47:                              ;   in Loop: Header=BB71_37 Depth=3
	s_cbranch_execz .LBB71_49
	s_branch .LBB71_52
.LBB71_48:                              ;   in Loop: Header=BB71_37 Depth=3
                                        ; implicit-def: $vgpr21_vgpr22
                                        ; implicit-def: $vgpr23_vgpr24
.LBB71_49:                              ;   in Loop: Header=BB71_37 Depth=3
	v_mov_b32_e32 v21, 0
	v_mov_b32_e32 v22, 0
	s_and_not1_b32 vcc_lo, exec_lo, s40
	s_delay_alu instid0(VALU_DEP_1)
	v_dual_mov_b32 v24, v22 :: v_dual_mov_b32 v23, v21
	s_cbranch_vccnz .LBB71_52
; %bb.50:                               ;   in Loop: Header=BB71_37 Depth=3
	v_mov_b32_e32 v21, 0
	v_dual_mov_b32 v22, 0 :: v_dual_mov_b32 v27, v45
	v_mov_b32_e32 v25, v6
	s_mov_b32 s15, s42
	s_delay_alu instid0(VALU_DEP_2)
	v_dual_mov_b32 v24, v22 :: v_dual_mov_b32 v23, v21
	.p2align	6
.LBB71_51:                              ;   Parent Loop BB71_15 Depth=1
                                        ;     Parent Loop BB71_24 Depth=2
                                        ;       Parent Loop BB71_37 Depth=3
                                        ; =>      This Inner Loop Header: Depth=4
	s_delay_alu instid0(VALU_DEP_2) | instskip(SKIP_3) | instid1(SALU_CYCLE_1)
	v_ashrrev_i32_e32 v26, 31, v25
	ds_load_b128 v[61:64], v27
	v_add_nc_u32_e32 v27, 16, v27
	s_add_i32 s15, s15, -1
	s_cmp_eq_u32 s15, 0
	v_lshlrev_b64 v[57:58], 4, v[25:26]
	v_add_nc_u32_e32 v25, s42, v25
	s_delay_alu instid0(VALU_DEP_2) | instskip(NEXT) | instid1(VALU_DEP_3)
	v_add_co_u32 v57, vcc_lo, s48, v57
	v_add_co_ci_u32_e32 v58, vcc_lo, s49, v58, vcc_lo
	global_load_b128 v[57:60], v[57:58], off
	s_waitcnt vmcnt(0) lgkmcnt(0)
	v_fma_f64 v[21:22], v[61:62], v[57:58], v[21:22]
	v_fma_f64 v[23:24], v[63:64], v[57:58], v[23:24]
	s_delay_alu instid0(VALU_DEP_2) | instskip(NEXT) | instid1(VALU_DEP_2)
	v_fma_f64 v[21:22], -v[63:64], v[59:60], v[21:22]
	v_fma_f64 v[23:24], v[61:62], v[59:60], v[23:24]
	s_cbranch_scc0 .LBB71_51
.LBB71_52:                              ;   in Loop: Header=BB71_37 Depth=3
	s_delay_alu instid0(VALU_DEP_1) | instskip(SKIP_2) | instid1(VALU_DEP_1)
	v_mul_f64 v[25:26], v[23:24], -v[12:13]
	v_or3_b32 v7, v7, v31, v16
	s_mov_b32 s15, 0
	v_lshlrev_b32_e32 v7, 4, v7
	ds_load_b64 v[27:28], v7
	v_fma_f64 v[25:26], v[8:9], v[21:22], v[25:26]
.LBB71_53:                              ;   Parent Loop BB71_15 Depth=1
                                        ;     Parent Loop BB71_24 Depth=2
                                        ;       Parent Loop BB71_37 Depth=3
                                        ; =>      This Inner Loop Header: Depth=4
	s_waitcnt lgkmcnt(0)
	s_delay_alu instid0(VALU_DEP_1)
	v_add_f64 v[57:58], v[27:28], v[25:26]
	ds_cmpstore_rtn_b64 v[57:58], v7, v[57:58], v[27:28]
	s_waitcnt lgkmcnt(0)
	v_cmp_eq_u64_e32 vcc_lo, v[57:58], v[27:28]
	v_dual_mov_b32 v27, v57 :: v_dual_mov_b32 v28, v58
	s_or_b32 s15, vcc_lo, s15
	s_delay_alu instid0(SALU_CYCLE_1)
	s_and_not1_b32 exec_lo, exec_lo, s15
	s_cbranch_execnz .LBB71_53
; %bb.54:                               ;   in Loop: Header=BB71_37 Depth=3
	s_or_b32 exec_lo, exec_lo, s15
	v_mul_f64 v[23:24], v[8:9], v[23:24]
	s_mov_b32 s15, 0
	s_delay_alu instid0(VALU_DEP_1)
	v_fma_f64 v[21:22], v[12:13], v[21:22], v[23:24]
	ds_load_b64 v[23:24], v7 offset:8
.LBB71_55:                              ;   Parent Loop BB71_15 Depth=1
                                        ;     Parent Loop BB71_24 Depth=2
                                        ;       Parent Loop BB71_37 Depth=3
                                        ; =>      This Inner Loop Header: Depth=4
	s_waitcnt lgkmcnt(0)
	v_add_f64 v[25:26], v[23:24], v[21:22]
	ds_cmpstore_rtn_b64 v[25:26], v7, v[25:26], v[23:24] offset:8
	s_waitcnt lgkmcnt(0)
	v_cmp_eq_u64_e32 vcc_lo, v[25:26], v[23:24]
	v_dual_mov_b32 v23, v25 :: v_dual_mov_b32 v24, v26
	s_or_b32 s15, vcc_lo, s15
	s_delay_alu instid0(SALU_CYCLE_1)
	s_and_not1_b32 exec_lo, exec_lo, s15
	s_cbranch_execnz .LBB71_55
	s_branch .LBB71_35
.LBB71_56:                              ;   in Loop: Header=BB71_24 Depth=2
	s_or_b32 exec_lo, exec_lo, s58
.LBB71_57:                              ;   in Loop: Header=BB71_24 Depth=2
	s_delay_alu instid0(SALU_CYCLE_1)
	s_or_b32 exec_lo, exec_lo, s57
.LBB71_58:                              ;   in Loop: Header=BB71_24 Depth=2
	s_delay_alu instid0(SALU_CYCLE_1)
	s_or_b32 exec_lo, exec_lo, s56
	s_waitcnt lgkmcnt(0)
	s_barrier
	buffer_gl0_inv
	s_and_saveexec_b32 s15, s14
	s_cbranch_execz .LBB71_23
; %bb.59:                               ;   in Loop: Header=BB71_24 Depth=2
	v_lshlrev_b64 v[4:5], 2, v[4:5]
	s_delay_alu instid0(VALU_DEP_1) | instskip(NEXT) | instid1(VALU_DEP_2)
	v_add_co_u32 v4, vcc_lo, s34, v4
	v_add_co_ci_u32_e32 v5, vcc_lo, s35, v5, vcc_lo
	global_store_b32 v[4:5], v54, off
	s_branch .LBB71_23
.LBB71_60:                              ;   in Loop: Header=BB71_24 Depth=2
                                        ; implicit-def: $vgpr54
	s_branch .LBB71_32
.LBB71_61:                              ;   in Loop: Header=BB71_15 Depth=1
	s_and_not1_b32 vcc_lo, exec_lo, s33
	s_cbranch_vccnz .LBB71_76
; %bb.62:                               ;   in Loop: Header=BB71_15 Depth=1
	s_load_b64 s[14:15], s[16:17], 0x0
	s_waitcnt lgkmcnt(0)
	v_add_nc_u32_e32 v20, s14, v33
	s_sub_i32 s55, s15, s39
	s_mov_b32 s15, exec_lo
	s_delay_alu instid0(VALU_DEP_1)
	v_cmpx_gt_i32_e64 s55, v20
	s_cbranch_execz .LBB71_75
; %bb.63:                               ;   in Loop: Header=BB71_15 Depth=1
	s_mov_b32 s56, 0
	s_branch .LBB71_66
.LBB71_64:                              ;   in Loop: Header=BB71_66 Depth=2
	s_or_b32 exec_lo, exec_lo, s57
	s_delay_alu instid0(SALU_CYCLE_1)
	s_or_b32 s13, s13, exec_lo
.LBB71_65:                              ;   in Loop: Header=BB71_66 Depth=2
	s_or_b32 exec_lo, exec_lo, s14
	v_add_nc_u32_e32 v20, 64, v20
	s_xor_b32 s13, s13, -1
	s_delay_alu instid0(VALU_DEP_1) | instskip(SKIP_1) | instid1(SALU_CYCLE_1)
	v_cmp_le_i32_e32 vcc_lo, s55, v20
	s_or_b32 s13, vcc_lo, s13
	s_and_b32 s13, exec_lo, s13
	s_delay_alu instid0(SALU_CYCLE_1) | instskip(NEXT) | instid1(SALU_CYCLE_1)
	s_or_b32 s56, s13, s56
	s_and_not1_b32 exec_lo, exec_lo, s56
	s_cbranch_execz .LBB71_74
.LBB71_66:                              ;   Parent Loop BB71_15 Depth=1
                                        ; =>  This Loop Header: Depth=2
                                        ;       Child Loop BB71_71 Depth 3
                                        ;       Child Loop BB71_73 Depth 3
	v_ashrrev_i32_e32 v21, 31, v20
	s_delay_alu instid0(VALU_DEP_1) | instskip(NEXT) | instid1(VALU_DEP_1)
	v_lshlrev_b64 v[4:5], 2, v[20:21]
	v_add_co_u32 v4, vcc_lo, s18, v4
	s_delay_alu instid0(VALU_DEP_2) | instskip(SKIP_3) | instid1(VALU_DEP_1)
	v_add_co_ci_u32_e32 v5, vcc_lo, s19, v5, vcc_lo
	global_load_b32 v4, v[4:5], off
	s_waitcnt vmcnt(0)
	v_subrev_nc_u32_e32 v4, s39, v4
	v_cmp_lt_i32_e64 s13, v4, v51
	v_cmp_ge_i32_e64 s14, v4, v52
	v_cmp_lt_i32_e32 vcc_lo, v4, v52
	s_delay_alu instid0(VALU_DEP_2) | instskip(NEXT) | instid1(SALU_CYCLE_1)
	s_or_b32 s14, s13, s14
                                        ; implicit-def: $sgpr13
	s_and_saveexec_b32 s57, s14
	s_delay_alu instid0(SALU_CYCLE_1)
	s_xor_b32 s14, exec_lo, s57
; %bb.67:                               ;   in Loop: Header=BB71_66 Depth=2
	v_min_i32_e32 v4, v4, v53
	s_and_b32 s13, vcc_lo, exec_lo
	s_delay_alu instid0(VALU_DEP_1)
	v_cndmask_b32_e32 v53, v4, v53, vcc_lo
                                        ; implicit-def: $vgpr4
; %bb.68:                               ;   in Loop: Header=BB71_66 Depth=2
	s_and_not1_saveexec_b32 s14, s14
	s_cbranch_execz .LBB71_65
; %bb.69:                               ;   in Loop: Header=BB71_66 Depth=2
	v_sub_nc_u32_e32 v4, v4, v51
	s_delay_alu instid0(VALU_DEP_1)
	v_lshlrev_b32_e32 v23, 2, v4
	ds_store_b32 v23, v49 offset:20480
	s_and_saveexec_b32 s57, s11
	s_cbranch_execz .LBB71_64
; %bb.70:                               ;   in Loop: Header=BB71_66 Depth=2
	v_mad_u64_u32 v[4:5], null, v20, s42, v[18:19]
	v_or3_b32 v23, v23, v31, v16
	s_mov_b32 s58, 0
	s_delay_alu instid0(VALU_DEP_1) | instskip(NEXT) | instid1(VALU_DEP_3)
	v_lshlrev_b32_e32 v25, 4, v23
	v_mad_u64_u32 v[5:6], null, v4, s42, v[19:20]
	ds_load_b64 v[23:24], v25
	v_ashrrev_i32_e32 v6, 31, v5
	s_delay_alu instid0(VALU_DEP_1) | instskip(NEXT) | instid1(VALU_DEP_1)
	v_lshlrev_b64 v[4:5], 4, v[5:6]
	v_add_co_u32 v4, vcc_lo, s20, v4
	s_delay_alu instid0(VALU_DEP_2) | instskip(SKIP_3) | instid1(VALU_DEP_1)
	v_add_co_ci_u32_e32 v5, vcc_lo, s21, v5, vcc_lo
	global_load_b128 v[4:7], v[4:5], off
	s_waitcnt vmcnt(0)
	v_mul_f64 v[21:22], v[6:7], -v[10:11]
	v_fma_f64 v[21:22], v[14:15], v[4:5], v[21:22]
.LBB71_71:                              ;   Parent Loop BB71_15 Depth=1
                                        ;     Parent Loop BB71_66 Depth=2
                                        ; =>    This Inner Loop Header: Depth=3
	s_waitcnt lgkmcnt(0)
	s_delay_alu instid0(VALU_DEP_1)
	v_add_f64 v[26:27], v[23:24], v[21:22]
	ds_cmpstore_rtn_b64 v[26:27], v25, v[26:27], v[23:24]
	s_waitcnt lgkmcnt(0)
	v_cmp_eq_u64_e32 vcc_lo, v[26:27], v[23:24]
	v_dual_mov_b32 v23, v26 :: v_dual_mov_b32 v24, v27
	s_or_b32 s58, vcc_lo, s58
	s_delay_alu instid0(SALU_CYCLE_1)
	s_and_not1_b32 exec_lo, exec_lo, s58
	s_cbranch_execnz .LBB71_71
; %bb.72:                               ;   in Loop: Header=BB71_66 Depth=2
	s_or_b32 exec_lo, exec_lo, s58
	v_mul_f64 v[6:7], v[14:15], v[6:7]
	s_mov_b32 s58, 0
	s_delay_alu instid0(VALU_DEP_1)
	v_fma_f64 v[4:5], v[10:11], v[4:5], v[6:7]
	ds_load_b64 v[6:7], v25 offset:8
.LBB71_73:                              ;   Parent Loop BB71_15 Depth=1
                                        ;     Parent Loop BB71_66 Depth=2
                                        ; =>    This Inner Loop Header: Depth=3
	s_waitcnt lgkmcnt(0)
	v_add_f64 v[21:22], v[6:7], v[4:5]
	ds_cmpstore_rtn_b64 v[21:22], v25, v[21:22], v[6:7] offset:8
	s_waitcnt lgkmcnt(0)
	v_cmp_eq_u64_e32 vcc_lo, v[21:22], v[6:7]
	v_dual_mov_b32 v6, v21 :: v_dual_mov_b32 v7, v22
	s_or_b32 s58, vcc_lo, s58
	s_delay_alu instid0(SALU_CYCLE_1)
	s_and_not1_b32 exec_lo, exec_lo, s58
	s_cbranch_execnz .LBB71_73
	s_branch .LBB71_64
.LBB71_74:                              ;   in Loop: Header=BB71_15 Depth=1
	s_or_b32 exec_lo, exec_lo, s56
.LBB71_75:                              ;   in Loop: Header=BB71_15 Depth=1
	s_delay_alu instid0(SALU_CYCLE_1)
	s_or_b32 exec_lo, exec_lo, s15
.LBB71_76:                              ;   in Loop: Header=BB71_15 Depth=1
	s_and_saveexec_b32 s13, s10
	s_cbranch_execz .LBB71_81
; %bb.77:                               ;   in Loop: Header=BB71_15 Depth=1
	s_mov_b32 s15, exec_lo
	s_brev_b32 s14, -2
.LBB71_78:                              ;   Parent Loop BB71_15 Depth=1
                                        ; =>  This Inner Loop Header: Depth=2
	s_ctz_i32_b32 s55, s15
	s_delay_alu instid0(SALU_CYCLE_1) | instskip(SKIP_1) | instid1(SALU_CYCLE_1)
	v_readlane_b32 s56, v53, s55
	s_lshl_b32 s55, 1, s55
	s_and_not1_b32 s15, s15, s55
	s_delay_alu instid0(VALU_DEP_1)
	s_min_i32 s14, s14, s56
	s_cmp_lg_u32 s15, 0
	s_cbranch_scc1 .LBB71_78
; %bb.79:                               ;   in Loop: Header=BB71_15 Depth=1
	v_mbcnt_lo_u32_b32 v4, exec_lo, 0
	s_mov_b32 s15, exec_lo
	s_delay_alu instid0(VALU_DEP_1)
	v_cmpx_eq_u32_e32 0, v4
	s_xor_b32 s15, exec_lo, s15
	s_cbranch_execz .LBB71_81
; %bb.80:                               ;   in Loop: Header=BB71_15 Depth=1
	v_mov_b32_e32 v4, s14
	ds_min_i32 v0, v4 offset:21504
.LBB71_81:                              ;   in Loop: Header=BB71_15 Depth=1
	s_or_b32 exec_lo, exec_lo, s13
	s_waitcnt lgkmcnt(0)
	s_waitcnt_vscnt null, 0x0
	s_barrier
	buffer_gl0_inv
	ds_load_b32 v4, v34
	s_waitcnt lgkmcnt(0)
	s_barrier
	buffer_gl0_inv
	s_and_saveexec_b32 s13, s2
	s_cbranch_execz .LBB71_83
; %bb.82:                               ;   in Loop: Header=BB71_15 Depth=1
	ds_load_b32 v5, v35
	s_waitcnt lgkmcnt(0)
	v_add_nc_u32_e32 v4, v5, v4
.LBB71_83:                              ;   in Loop: Header=BB71_15 Depth=1
	s_or_b32 exec_lo, exec_lo, s13
	s_barrier
	buffer_gl0_inv
	ds_store_b32 v34, v4
	s_waitcnt lgkmcnt(0)
	s_barrier
	buffer_gl0_inv
	s_and_saveexec_b32 s13, s3
	s_cbranch_execz .LBB71_85
; %bb.84:                               ;   in Loop: Header=BB71_15 Depth=1
	ds_load_b32 v5, v36
	s_waitcnt lgkmcnt(0)
	v_add_nc_u32_e32 v4, v5, v4
.LBB71_85:                              ;   in Loop: Header=BB71_15 Depth=1
	s_or_b32 exec_lo, exec_lo, s13
	s_barrier
	buffer_gl0_inv
	ds_store_b32 v34, v4
	;; [unrolled: 14-line block ×8, first 2 shown]
	s_waitcnt lgkmcnt(0)
	s_barrier
	buffer_gl0_inv
	ds_load_b32 v6, v0 offset:21500
	v_mov_b32_e32 v5, 0
	s_and_saveexec_b32 s13, s22
	s_cbranch_execz .LBB71_99
; %bb.98:                               ;   in Loop: Header=BB71_15 Depth=1
	ds_load_b32 v5, v35
.LBB71_99:                              ;   in Loop: Header=BB71_15 Depth=1
	s_or_b32 exec_lo, exec_lo, s13
	s_waitcnt lgkmcnt(0)
	v_cmp_eq_u32_e32 vcc_lo, v4, v5
	s_barrier
	buffer_gl0_inv
	s_and_b32 s14, s22, vcc_lo
	s_delay_alu instid0(SALU_CYCLE_1)
	s_and_saveexec_b32 s13, s14
	s_cbranch_execz .LBB71_101
; %bb.100:                              ;   in Loop: Header=BB71_15 Depth=1
	ds_store_b32 v34, v0
.LBB71_101:                             ;   in Loop: Header=BB71_15 Depth=1
	s_or_b32 exec_lo, exec_lo, s13
	v_dual_mov_b32 v22, v46 :: v_dual_add_nc_u32 v7, -1, v48
	v_dual_mov_b32 v21, v47 :: v_dual_add_nc_u32 v20, s38, v51
	v_mov_b32_e32 v23, v29
	s_mov_b32 s13, 0
	s_waitcnt lgkmcnt(0)
	s_barrier
	buffer_gl0_inv
	s_set_inst_prefetch_distance 0x1
	s_branch .LBB71_103
	.p2align	6
.LBB71_102:                             ;   in Loop: Header=BB71_103 Depth=2
	s_or_b32 exec_lo, exec_lo, s14
	v_add_nc_u32_e32 v4, 64, v23
	v_cmp_lt_u32_e32 vcc_lo, 0xbf, v23
	v_add_nc_u32_e32 v22, 0x1000, v22
	v_add_nc_u32_e32 v21, 0x100, v21
	s_delay_alu instid0(VALU_DEP_4) | instskip(SKIP_1) | instid1(SALU_CYCLE_1)
	v_mov_b32_e32 v23, v4
	s_or_b32 s13, vcc_lo, s13
	s_and_not1_b32 exec_lo, exec_lo, s13
	s_cbranch_execz .LBB71_14
.LBB71_103:                             ;   Parent Loop BB71_15 Depth=1
                                        ; =>  This Inner Loop Header: Depth=2
	ds_load_b32 v4, v21
	s_mov_b32 s14, exec_lo
	s_waitcnt lgkmcnt(0)
	v_cmpx_ne_u32_e32 0, v4
	s_cbranch_execz .LBB71_102
; %bb.104:                              ;   in Loop: Header=BB71_103 Depth=2
	v_add_nc_u32_e32 v4, v7, v4
	s_delay_alu instid0(VALU_DEP_1) | instskip(NEXT) | instid1(VALU_DEP_1)
	v_ashrrev_i32_e32 v5, 31, v4
	v_lshlrev_b64 v[24:25], 2, v[4:5]
	v_add_nc_u32_e32 v5, v20, v23
	s_delay_alu instid0(VALU_DEP_2) | instskip(NEXT) | instid1(VALU_DEP_3)
	v_add_co_u32 v24, vcc_lo, s44, v24
	v_add_co_ci_u32_e32 v25, vcc_lo, s45, v25, vcc_lo
	global_store_b32 v[24:25], v5, off
	s_and_b32 exec_lo, exec_lo, s11
	s_cbranch_execz .LBB71_102
; %bb.105:                              ;   in Loop: Header=BB71_103 Depth=2
	v_mad_u64_u32 v[24:25], null, v4, s42, v[18:19]
	s_delay_alu instid0(VALU_DEP_1) | instskip(SKIP_2) | instid1(VALU_DEP_1)
	v_mad_u64_u32 v[4:5], null, v24, s42, v[19:20]
	ds_load_2addr_b64 v[24:27], v22 offset1:1
	v_ashrrev_i32_e32 v5, 31, v4
	v_lshlrev_b64 v[4:5], 4, v[4:5]
	s_delay_alu instid0(VALU_DEP_1) | instskip(NEXT) | instid1(VALU_DEP_2)
	v_add_co_u32 v4, vcc_lo, s46, v4
	v_add_co_ci_u32_e32 v5, vcc_lo, s47, v5, vcc_lo
	s_waitcnt lgkmcnt(0)
	global_store_b128 v[4:5], v[24:27], off
	s_branch .LBB71_102
.LBB71_106:
	s_endpgm
	.section	.rodata,"a",@progbits
	.p2align	6, 0x0
	.amdhsa_kernel _ZN9rocsparseL38bsrgemm_block_per_row_atomic_multipassILj256ELj256ELj2Eii21rocsparse_complex_numIdEEEv20rocsparse_direction_T3_S4_PKS4_S6_NS_24const_host_device_scalarIT4_EEPKT2_S6_PKS8_SC_S6_SE_S9_SC_S6_SE_SC_PS4_PS8_PSA_21rocsparse_index_base_SI_SI_SI_bbb
		.amdhsa_group_segment_fixed_size 21512
		.amdhsa_private_segment_fixed_size 24
		.amdhsa_kernarg_size 188
		.amdhsa_user_sgpr_count 15
		.amdhsa_user_sgpr_dispatch_ptr 0
		.amdhsa_user_sgpr_queue_ptr 0
		.amdhsa_user_sgpr_kernarg_segment_ptr 1
		.amdhsa_user_sgpr_dispatch_id 0
		.amdhsa_user_sgpr_private_segment_size 0
		.amdhsa_wavefront_size32 1
		.amdhsa_uses_dynamic_stack 0
		.amdhsa_enable_private_segment 1
		.amdhsa_system_sgpr_workgroup_id_x 1
		.amdhsa_system_sgpr_workgroup_id_y 0
		.amdhsa_system_sgpr_workgroup_id_z 0
		.amdhsa_system_sgpr_workgroup_info 0
		.amdhsa_system_vgpr_workitem_id 0
		.amdhsa_next_free_vgpr 65
		.amdhsa_next_free_sgpr 62
		.amdhsa_reserve_vcc 1
		.amdhsa_float_round_mode_32 0
		.amdhsa_float_round_mode_16_64 0
		.amdhsa_float_denorm_mode_32 3
		.amdhsa_float_denorm_mode_16_64 3
		.amdhsa_dx10_clamp 1
		.amdhsa_ieee_mode 1
		.amdhsa_fp16_overflow 0
		.amdhsa_workgroup_processor_mode 1
		.amdhsa_memory_ordered 1
		.amdhsa_forward_progress 0
		.amdhsa_shared_vgpr_count 0
		.amdhsa_exception_fp_ieee_invalid_op 0
		.amdhsa_exception_fp_denorm_src 0
		.amdhsa_exception_fp_ieee_div_zero 0
		.amdhsa_exception_fp_ieee_overflow 0
		.amdhsa_exception_fp_ieee_underflow 0
		.amdhsa_exception_fp_ieee_inexact 0
		.amdhsa_exception_int_div_zero 0
	.end_amdhsa_kernel
	.section	.text._ZN9rocsparseL38bsrgemm_block_per_row_atomic_multipassILj256ELj256ELj2Eii21rocsparse_complex_numIdEEEv20rocsparse_direction_T3_S4_PKS4_S6_NS_24const_host_device_scalarIT4_EEPKT2_S6_PKS8_SC_S6_SE_S9_SC_S6_SE_SC_PS4_PS8_PSA_21rocsparse_index_base_SI_SI_SI_bbb,"axG",@progbits,_ZN9rocsparseL38bsrgemm_block_per_row_atomic_multipassILj256ELj256ELj2Eii21rocsparse_complex_numIdEEEv20rocsparse_direction_T3_S4_PKS4_S6_NS_24const_host_device_scalarIT4_EEPKT2_S6_PKS8_SC_S6_SE_S9_SC_S6_SE_SC_PS4_PS8_PSA_21rocsparse_index_base_SI_SI_SI_bbb,comdat
.Lfunc_end71:
	.size	_ZN9rocsparseL38bsrgemm_block_per_row_atomic_multipassILj256ELj256ELj2Eii21rocsparse_complex_numIdEEEv20rocsparse_direction_T3_S4_PKS4_S6_NS_24const_host_device_scalarIT4_EEPKT2_S6_PKS8_SC_S6_SE_S9_SC_S6_SE_SC_PS4_PS8_PSA_21rocsparse_index_base_SI_SI_SI_bbb, .Lfunc_end71-_ZN9rocsparseL38bsrgemm_block_per_row_atomic_multipassILj256ELj256ELj2Eii21rocsparse_complex_numIdEEEv20rocsparse_direction_T3_S4_PKS4_S6_NS_24const_host_device_scalarIT4_EEPKT2_S6_PKS8_SC_S6_SE_S9_SC_S6_SE_SC_PS4_PS8_PSA_21rocsparse_index_base_SI_SI_SI_bbb
                                        ; -- End function
	.section	.AMDGPU.csdata,"",@progbits
; Kernel info:
; codeLenInByte = 4088
; NumSgprs: 64
; NumVgprs: 65
; ScratchSize: 24
; MemoryBound: 0
; FloatMode: 240
; IeeeMode: 1
; LDSByteSize: 21512 bytes/workgroup (compile time only)
; SGPRBlocks: 7
; VGPRBlocks: 8
; NumSGPRsForWavesPerEU: 64
; NumVGPRsForWavesPerEU: 65
; Occupancy: 12
; WaveLimiterHint : 1
; COMPUTE_PGM_RSRC2:SCRATCH_EN: 1
; COMPUTE_PGM_RSRC2:USER_SGPR: 15
; COMPUTE_PGM_RSRC2:TRAP_HANDLER: 0
; COMPUTE_PGM_RSRC2:TGID_X_EN: 1
; COMPUTE_PGM_RSRC2:TGID_Y_EN: 0
; COMPUTE_PGM_RSRC2:TGID_Z_EN: 0
; COMPUTE_PGM_RSRC2:TIDIG_COMP_CNT: 0
	.section	.text._ZN9rocsparseL23bsrgemm_fill_wf_per_rowILj256ELj64ELj8ELj137ELj4Eii21rocsparse_complex_numIdEEEv20rocsparse_direction_T5_S4_S4_PKS4_S6_NS_24const_host_device_scalarIT6_EEPKT4_S6_PKS8_SC_S6_SE_S9_SC_S6_SE_SC_PS4_PS8_21rocsparse_index_base_SH_SH_SH_bbb,"axG",@progbits,_ZN9rocsparseL23bsrgemm_fill_wf_per_rowILj256ELj64ELj8ELj137ELj4Eii21rocsparse_complex_numIdEEEv20rocsparse_direction_T5_S4_S4_PKS4_S6_NS_24const_host_device_scalarIT6_EEPKT4_S6_PKS8_SC_S6_SE_S9_SC_S6_SE_SC_PS4_PS8_21rocsparse_index_base_SH_SH_SH_bbb,comdat
	.globl	_ZN9rocsparseL23bsrgemm_fill_wf_per_rowILj256ELj64ELj8ELj137ELj4Eii21rocsparse_complex_numIdEEEv20rocsparse_direction_T5_S4_S4_PKS4_S6_NS_24const_host_device_scalarIT6_EEPKT4_S6_PKS8_SC_S6_SE_S9_SC_S6_SE_SC_PS4_PS8_21rocsparse_index_base_SH_SH_SH_bbb ; -- Begin function _ZN9rocsparseL23bsrgemm_fill_wf_per_rowILj256ELj64ELj8ELj137ELj4Eii21rocsparse_complex_numIdEEEv20rocsparse_direction_T5_S4_S4_PKS4_S6_NS_24const_host_device_scalarIT6_EEPKT4_S6_PKS8_SC_S6_SE_S9_SC_S6_SE_SC_PS4_PS8_21rocsparse_index_base_SH_SH_SH_bbb
	.p2align	8
	.type	_ZN9rocsparseL23bsrgemm_fill_wf_per_rowILj256ELj64ELj8ELj137ELj4Eii21rocsparse_complex_numIdEEEv20rocsparse_direction_T5_S4_S4_PKS4_S6_NS_24const_host_device_scalarIT6_EEPKT4_S6_PKS8_SC_S6_SE_S9_SC_S6_SE_SC_PS4_PS8_21rocsparse_index_base_SH_SH_SH_bbb,@function
_ZN9rocsparseL23bsrgemm_fill_wf_per_rowILj256ELj64ELj8ELj137ELj4Eii21rocsparse_complex_numIdEEEv20rocsparse_direction_T5_S4_S4_PKS4_S6_NS_24const_host_device_scalarIT6_EEPKT4_S6_PKS8_SC_S6_SE_S9_SC_S6_SE_SC_PS4_PS8_21rocsparse_index_base_SH_SH_SH_bbb: ; @_ZN9rocsparseL23bsrgemm_fill_wf_per_rowILj256ELj64ELj8ELj137ELj4Eii21rocsparse_complex_numIdEEEv20rocsparse_direction_T5_S4_S4_PKS4_S6_NS_24const_host_device_scalarIT6_EEPKT4_S6_PKS8_SC_S6_SE_S9_SC_S6_SE_SC_PS4_PS8_21rocsparse_index_base_SH_SH_SH_bbb
; %bb.0:
	s_load_b32 s13, s[2:3], 0xb0
	s_load_b64 s[16:17], s[0:1], 0x4
	v_and_b32_e32 v36, 0x3ff, v0
	s_clause 0x1
	s_load_b128 s[8:11], s[2:3], 0x20
	s_load_b128 s[4:7], s[2:3], 0x60
	v_mov_b32_e32 v4, 0
	v_mov_b32_e32 v5, 0
	v_bfe_u32 v2, v0, 10, 10
	v_bfe_u32 v0, v0, 20, 10
	s_delay_alu instid0(VALU_DEP_3)
	v_dual_mov_b32 v9, v5 :: v_dual_mov_b32 v8, v4
	v_dual_mov_b32 v11, v5 :: v_dual_mov_b32 v10, v4
	s_waitcnt lgkmcnt(0)
	s_bitcmp1_b32 s13, 0
	s_cselect_b32 s1, -1, 0
	s_bitcmp1_b32 s13, 16
	v_mov_b32_e32 v7, s5
	s_cselect_b32 s0, -1, 0
	s_lshr_b32 s12, s16, 16
	s_xor_b32 s14, s0, -1
	s_mul_i32 s12, s12, s17
	v_cndmask_b32_e64 v3, 0, 1, s14
	v_mul_lo_u32 v1, s12, v36
	s_bitcmp0_b32 s13, 0
	s_delay_alu instid0(VALU_DEP_2) | instskip(NEXT) | instid1(VALU_DEP_2)
	v_cmp_ne_u32_e32 vcc_lo, 1, v3
	v_mad_u32_u24 v1, v2, s17, v1
	s_delay_alu instid0(VALU_DEP_1) | instskip(SKIP_1) | instid1(VALU_DEP_2)
	v_add_lshl_u32 v0, v1, v0, 3
	v_dual_mov_b32 v1, s8 :: v_dual_mov_b32 v2, s9
	v_dual_mov_b32 v6, s4 :: v_dual_add_nc_u32 v3, 0x80, v0
	ds_store_2addr_stride64_b64 v3, v[6:7], v[1:2] offset0:16 offset1:20
	s_cbranch_scc1 .LBB72_3
; %bb.1:
	s_mov_b64 s[16:17], src_shared_base
	s_and_b32 s12, s0, exec_lo
	s_cselect_b32 s12, s17, s9
	s_delay_alu instid0(SALU_CYCLE_1) | instskip(SKIP_2) | instid1(VALU_DEP_2)
	v_dual_mov_b32 v2, s12 :: v_dual_add_nc_u32 v1, 0x2880, v0
	v_dual_mov_b32 v10, s10 :: v_dual_mov_b32 v11, s11
	s_and_b32 vcc_lo, exec_lo, vcc_lo
	v_cndmask_b32_e64 v1, s8, v1, s0
	flat_load_b64 v[8:9], v[1:2]
	s_cbranch_vccnz .LBB72_3
; %bb.2:
	v_dual_mov_b32 v1, s8 :: v_dual_mov_b32 v2, s9
	flat_load_b64 v[10:11], v[1:2] offset:8
.LBB72_3:
	s_load_b128 s[36:39], s[2:3], 0xa0
	s_bitcmp1_b32 s13, 8
	v_dual_mov_b32 v7, v5 :: v_dual_mov_b32 v6, v4
	s_cselect_b32 s12, -1, 0
	s_bfe_u32 s8, s13, 0x10008
	s_delay_alu instid0(SALU_CYCLE_1)
	s_cmp_eq_u32 s8, 0
	s_cbranch_scc1 .LBB72_6
; %bb.4:
	s_mov_b64 s[8:9], src_shared_base
	s_and_b32 s8, s0, exec_lo
	s_cselect_b32 s8, s9, s5
	s_delay_alu instid0(SALU_CYCLE_1) | instskip(SKIP_2) | instid1(VALU_DEP_2)
	v_dual_mov_b32 v1, s8 :: v_dual_add_nc_u32 v0, 0x2080, v0
	v_dual_mov_b32 v4, s6 :: v_dual_mov_b32 v5, s7
	s_and_not1_b32 vcc_lo, exec_lo, s14
	v_cndmask_b32_e64 v0, s4, v0, s0
	flat_load_b64 v[6:7], v[0:1]
	s_cbranch_vccnz .LBB72_6
; %bb.5:
	v_dual_mov_b32 v0, s4 :: v_dual_mov_b32 v1, s5
	flat_load_b64 v[4:5], v[0:1] offset:8
.LBB72_6:
	s_clause 0x4
	s_load_b128 s[40:43], s[2:3], 0x90
	s_load_b256 s[16:23], s[2:3], 0x70
	s_load_b128 s[44:47], s[2:3], 0x50
	s_load_b256 s[4:11], s[2:3], 0x0
	s_load_b256 s[24:31], s[2:3], 0x30
	v_lshrrev_b32_e32 v33, 6, v36
	v_and_b32_e32 v12, 63, v36
	s_mov_b32 s0, exec_lo
	s_delay_alu instid0(VALU_DEP_2) | instskip(NEXT) | instid1(VALU_DEP_2)
	v_lshl_or_b32 v32, v33, 5, 0x2000
	v_cmpx_gt_u32_e32 8, v12
	s_cbranch_execz .LBB72_8
; %bb.7:
	s_delay_alu instid0(VALU_DEP_2)
	v_lshl_add_u32 v0, v12, 2, v32
	s_waitcnt lgkmcnt(0)
	v_mov_b32_e32 v1, s6
	ds_store_b32 v0, v1
.LBB72_8:
	s_or_b32 exec_lo, exec_lo, s0
	v_mov_b32_e32 v0, 0
	v_lshlrev_b32_e32 v34, 11, v33
	v_or_b32_e32 v13, 0xffffffc0, v12
	s_mov_b32 s0, 0
	s_delay_alu instid0(VALU_DEP_3) | instskip(NEXT) | instid1(VALU_DEP_3)
	v_mov_b32_e32 v1, v0
	v_lshl_or_b32 v14, v12, 4, v34
	v_mov_b32_e32 v2, v0
	v_mov_b32_e32 v3, v0
.LBB72_9:                               ; =>This Inner Loop Header: Depth=1
	v_add_co_u32 v13, s2, v13, 64
	s_delay_alu instid0(VALU_DEP_1) | instskip(SKIP_3) | instid1(SALU_CYCLE_1)
	s_xor_b32 s2, s2, -1
	ds_store_b128 v14, v[0:3]
	v_add_nc_u32_e32 v14, 0x400, v14
	s_and_b32 s2, exec_lo, s2
	s_or_b32 s0, s2, s0
	s_delay_alu instid0(SALU_CYCLE_1)
	s_and_not1_b32 exec_lo, exec_lo, s0
	s_cbranch_execnz .LBB72_9
; %bb.10:
	s_or_b32 exec_lo, exec_lo, s0
	v_lshl_or_b32 v1, s15, 2, v33
	s_waitcnt vmcnt(0) lgkmcnt(0)
	s_barrier
	buffer_gl0_inv
	s_mov_b32 s0, exec_lo
	v_cmpx_gt_i32_e64 s5, v1
	s_cbranch_execz .LBB72_82
; %bb.11:
	s_cmp_eq_u64 s[10:11], 0
	s_cbranch_scc1 .LBB72_13
; %bb.12:
	s_load_b32 s0, s[8:9], 0x0
	s_waitcnt lgkmcnt(0)
	v_add_nc_u32_e32 v0, s0, v1
	s_delay_alu instid0(VALU_DEP_1) | instskip(NEXT) | instid1(VALU_DEP_1)
	v_ashrrev_i32_e32 v1, 31, v0
	v_lshlrev_b64 v[0:1], 2, v[0:1]
	s_delay_alu instid0(VALU_DEP_1) | instskip(NEXT) | instid1(VALU_DEP_2)
	v_add_co_u32 v0, vcc_lo, s10, v0
	v_add_co_ci_u32_e32 v1, vcc_lo, s11, v1, vcc_lo
	global_load_b32 v1, v[0:1], off
.LBB72_13:
	s_waitcnt vmcnt(0)
	v_ashrrev_i32_e32 v2, 31, v1
	v_lshrrev_b32_e32 v35, 4, v12
	v_and_b32_e32 v0, 3, v36
	s_and_not1_b32 vcc_lo, exec_lo, s1
	s_delay_alu instid0(VALU_DEP_3)
	v_lshlrev_b64 v[2:3], 2, v[1:2]
	v_bfe_u32 v1, v36, 2, 2
	s_cbranch_vccnz .LBB72_51
; %bb.14:
	s_delay_alu instid0(VALU_DEP_2) | instskip(NEXT) | instid1(VALU_DEP_3)
	v_add_co_u32 v12, vcc_lo, s24, v2
	v_add_co_ci_u32_e32 v13, vcc_lo, s25, v3, vcc_lo
	v_subrev_nc_u32_e32 v14, s36, v35
	s_mov_b32 s2, exec_lo
	global_load_b64 v[12:13], v[12:13], off
	s_waitcnt vmcnt(0)
	v_subrev_nc_u32_e32 v37, s36, v13
	v_add_nc_u32_e32 v12, v12, v14
	s_delay_alu instid0(VALU_DEP_1)
	v_cmpx_lt_i32_e64 v12, v37
	s_cbranch_execz .LBB72_50
; %bb.15:
	v_max_i32_e32 v13, v0, v1
	s_cmp_lg_u32 s4, 0
	s_mul_i32 s9, s7, s7
	s_cselect_b32 s3, -1, 0
	s_cmp_gt_i32 s7, 0
	v_cmp_gt_i32_e64 s0, s7, v13
	v_mad_u64_u32 v[13:14], null, s7, v12, v[1:2]
	v_mad_u64_u32 v[14:15], null, s9, v12, v[1:2]
	s_cselect_b32 s8, -1, 0
	v_and_b32_e32 v38, 15, v36
	s_add_u32 s10, s46, 8
	v_cndmask_b32_e64 v39, 0, 1, s8
	s_delay_alu instid0(VALU_DEP_4)
	v_mul_lo_u32 v15, s7, v13
	s_addc_u32 s11, s47, 0
	s_lshl_b32 s13, s9, 2
	s_add_u32 s14, s28, 8
	s_mov_b32 s5, 0
	s_addc_u32 s15, s29, 0
	s_branch .LBB72_17
.LBB72_16:                              ;   in Loop: Header=BB72_17 Depth=1
	s_or_b32 exec_lo, exec_lo, s24
	v_add_nc_u32_e32 v12, 4, v12
	v_add_nc_u32_e32 v14, s13, v14
	;; [unrolled: 1-line block ×3, first 2 shown]
	s_delay_alu instid0(VALU_DEP_3) | instskip(SKIP_1) | instid1(SALU_CYCLE_1)
	v_cmp_ge_i32_e32 vcc_lo, v12, v37
	s_or_b32 s5, vcc_lo, s5
	s_and_not1_b32 exec_lo, exec_lo, s5
	s_cbranch_execz .LBB72_50
.LBB72_17:                              ; =>This Loop Header: Depth=1
                                        ;     Child Loop BB72_20 Depth 2
                                        ;       Child Loop BB72_24 Depth 3
                                        ;       Child Loop BB72_29 Depth 3
                                        ;       Child Loop BB72_32 Depth 3
                                        ;         Child Loop BB72_38 Depth 4
                                        ;         Child Loop BB72_40 Depth 4
	;; [unrolled: 1-line block ×4, first 2 shown]
	v_ashrrev_i32_e32 v13, 31, v12
	s_mov_b32 s24, exec_lo
	s_delay_alu instid0(VALU_DEP_1) | instskip(NEXT) | instid1(VALU_DEP_1)
	v_lshlrev_b64 v[16:17], 2, v[12:13]
	v_add_co_u32 v16, vcc_lo, s26, v16
	s_delay_alu instid0(VALU_DEP_2) | instskip(SKIP_3) | instid1(VALU_DEP_1)
	v_add_co_ci_u32_e32 v17, vcc_lo, s27, v17, vcc_lo
	global_load_b32 v13, v[16:17], off
	s_waitcnt vmcnt(0)
	v_subrev_nc_u32_e32 v16, s36, v13
	v_ashrrev_i32_e32 v17, 31, v16
	s_delay_alu instid0(VALU_DEP_1) | instskip(NEXT) | instid1(VALU_DEP_1)
	v_lshlrev_b64 v[16:17], 2, v[16:17]
	v_add_co_u32 v16, vcc_lo, s30, v16
	s_delay_alu instid0(VALU_DEP_2)
	v_add_co_ci_u32_e32 v17, vcc_lo, s31, v17, vcc_lo
	global_load_b64 v[17:18], v[16:17], off
	s_waitcnt vmcnt(0)
	v_cmpx_lt_i32_e64 v17, v18
	s_cbranch_execz .LBB72_16
; %bb.18:                               ;   in Loop: Header=BB72_17 Depth=1
	v_subrev_nc_u32_e32 v17, s37, v17
	v_ashrrev_i32_e32 v16, 31, v15
	v_subrev_nc_u32_e32 v13, s37, v18
	s_mov_b32 s25, 0
	s_delay_alu instid0(VALU_DEP_3) | instskip(NEXT) | instid1(VALU_DEP_3)
	v_mad_u64_u32 v[21:22], null, s7, v17, v[0:1]
	v_lshlrev_b64 v[22:23], 4, v[15:16]
	v_mad_u64_u32 v[19:20], null, s9, v17, v[0:1]
	s_delay_alu instid0(VALU_DEP_2) | instskip(NEXT) | instid1(VALU_DEP_4)
	v_add_co_u32 v22, vcc_lo, s14, v22
	v_mul_lo_u32 v20, s7, v21
	s_delay_alu instid0(VALU_DEP_4)
	v_add_co_ci_u32_e32 v23, vcc_lo, s15, v23, vcc_lo
	s_branch .LBB72_20
.LBB72_19:                              ;   in Loop: Header=BB72_20 Depth=2
	s_or_b32 exec_lo, exec_lo, s33
	v_add_nc_u32_e32 v17, 1, v17
	s_delay_alu instid0(VALU_DEP_3) | instskip(SKIP_1) | instid1(VALU_DEP_3)
	v_add_nc_u32_e32 v20, s9, v20
	v_add_nc_u32_e32 v19, s9, v19
	v_cmp_ge_i32_e32 vcc_lo, v17, v13
	s_or_b32 s25, vcc_lo, s25
	s_delay_alu instid0(SALU_CYCLE_1)
	s_and_not1_b32 exec_lo, exec_lo, s25
	s_cbranch_execz .LBB72_16
.LBB72_20:                              ;   Parent Loop BB72_17 Depth=1
                                        ; =>  This Loop Header: Depth=2
                                        ;       Child Loop BB72_24 Depth 3
                                        ;       Child Loop BB72_29 Depth 3
	;; [unrolled: 1-line block ×3, first 2 shown]
                                        ;         Child Loop BB72_38 Depth 4
                                        ;         Child Loop BB72_40 Depth 4
	;; [unrolled: 1-line block ×4, first 2 shown]
	s_and_saveexec_b32 s33, s0
	s_cbranch_execz .LBB72_19
; %bb.21:                               ;   in Loop: Header=BB72_20 Depth=2
	v_ashrrev_i32_e32 v18, 31, v17
	v_cmp_ne_u32_e64 s1, 1, v39
	s_delay_alu instid0(VALU_DEP_2) | instskip(NEXT) | instid1(VALU_DEP_1)
	v_lshlrev_b64 v[24:25], 2, v[17:18]
	v_add_co_u32 v24, vcc_lo, s44, v24
	s_delay_alu instid0(VALU_DEP_2)
	v_add_co_ci_u32_e32 v25, vcc_lo, s45, v25, vcc_lo
	s_and_not1_b32 vcc_lo, exec_lo, s3
	global_load_b32 v16, v[24:25], off
	s_cbranch_vccnz .LBB72_26
; %bb.22:                               ;   in Loop: Header=BB72_20 Depth=2
	v_mov_b32_e32 v26, 0
	v_mov_b32_e32 v27, 0
	s_delay_alu instid0(VALU_DEP_2) | instskip(SKIP_1) | instid1(VALU_DEP_2)
	v_mov_b32_e32 v24, v26
	s_and_b32 vcc_lo, exec_lo, s1
	v_mov_b32_e32 v25, v27
	s_cbranch_vccnz .LBB72_25
; %bb.23:                               ;   in Loop: Header=BB72_20 Depth=2
	v_ashrrev_i32_e32 v21, 31, v20
	v_mov_b32_e32 v26, 0
	v_dual_mov_b32 v27, 0 :: v_dual_mov_b32 v28, v14
	s_mov_b32 s1, s7
	s_delay_alu instid0(VALU_DEP_3) | instskip(NEXT) | instid1(VALU_DEP_1)
	v_lshlrev_b64 v[24:25], 4, v[20:21]
	v_add_co_u32 v30, vcc_lo, s10, v24
	s_delay_alu instid0(VALU_DEP_2)
	v_add_co_ci_u32_e32 v31, vcc_lo, s11, v25, vcc_lo
	v_dual_mov_b32 v24, v26 :: v_dual_mov_b32 v25, v27
	.p2align	6
.LBB72_24:                              ;   Parent Loop BB72_17 Depth=1
                                        ;     Parent Loop BB72_20 Depth=2
                                        ; =>    This Inner Loop Header: Depth=3
	v_ashrrev_i32_e32 v29, 31, v28
	s_add_i32 s1, s1, -1
	s_delay_alu instid0(SALU_CYCLE_1) | instskip(NEXT) | instid1(VALU_DEP_1)
	s_cmp_lg_u32 s1, 0
	v_lshlrev_b64 v[40:41], 4, v[28:29]
	v_add_nc_u32_e32 v28, s7, v28
	s_delay_alu instid0(VALU_DEP_2) | instskip(NEXT) | instid1(VALU_DEP_3)
	v_add_co_u32 v44, vcc_lo, s28, v40
	v_add_co_ci_u32_e32 v45, vcc_lo, s29, v41, vcc_lo
	global_load_b128 v[40:43], v[30:31], off offset:-8
	global_load_b128 v[44:47], v[44:45], off
	v_add_co_u32 v30, vcc_lo, v30, 16
	v_add_co_ci_u32_e32 v31, vcc_lo, 0, v31, vcc_lo
	s_waitcnt vmcnt(0)
	v_fma_f64 v[26:27], v[44:45], v[40:41], v[26:27]
	v_fma_f64 v[24:25], v[46:47], v[40:41], v[24:25]
	s_delay_alu instid0(VALU_DEP_2) | instskip(NEXT) | instid1(VALU_DEP_2)
	v_fma_f64 v[26:27], -v[46:47], v[42:43], v[26:27]
	v_fma_f64 v[24:25], v[44:45], v[42:43], v[24:25]
	s_cbranch_scc1 .LBB72_24
.LBB72_25:                              ;   in Loop: Header=BB72_20 Depth=2
	s_cbranch_execz .LBB72_27
	s_branch .LBB72_30
.LBB72_26:                              ;   in Loop: Header=BB72_20 Depth=2
                                        ; implicit-def: $vgpr26_vgpr27
                                        ; implicit-def: $vgpr24_vgpr25
.LBB72_27:                              ;   in Loop: Header=BB72_20 Depth=2
	v_mov_b32_e32 v26, 0
	v_mov_b32_e32 v27, 0
	s_delay_alu instid0(VALU_DEP_2) | instskip(SKIP_1) | instid1(VALU_DEP_2)
	v_mov_b32_e32 v24, v26
	s_and_not1_b32 vcc_lo, exec_lo, s8
	v_mov_b32_e32 v25, v27
	s_cbranch_vccnz .LBB72_30
; %bb.28:                               ;   in Loop: Header=BB72_20 Depth=2
	v_dual_mov_b32 v26, 0 :: v_dual_mov_b32 v29, v23
	v_dual_mov_b32 v27, 0 :: v_dual_mov_b32 v28, v22
	v_mov_b32_e32 v30, v19
	s_delay_alu instid0(VALU_DEP_3) | instskip(SKIP_1) | instid1(VALU_DEP_3)
	v_mov_b32_e32 v24, v26
	s_mov_b32 s1, s7
	v_mov_b32_e32 v25, v27
	.p2align	6
.LBB72_29:                              ;   Parent Loop BB72_17 Depth=1
                                        ;     Parent Loop BB72_20 Depth=2
                                        ; =>    This Inner Loop Header: Depth=3
	s_delay_alu instid0(VALU_DEP_3) | instskip(SKIP_1) | instid1(SALU_CYCLE_1)
	v_ashrrev_i32_e32 v31, 31, v30
	s_add_i32 s1, s1, -1
	s_cmp_eq_u32 s1, 0
	s_delay_alu instid0(VALU_DEP_1) | instskip(SKIP_1) | instid1(VALU_DEP_2)
	v_lshlrev_b64 v[40:41], 4, v[30:31]
	v_add_nc_u32_e32 v30, s7, v30
	v_add_co_u32 v44, vcc_lo, s46, v40
	s_delay_alu instid0(VALU_DEP_3)
	v_add_co_ci_u32_e32 v45, vcc_lo, s47, v41, vcc_lo
	global_load_b128 v[40:43], v[28:29], off offset:-8
	global_load_b128 v[44:47], v[44:45], off
	v_add_co_u32 v28, vcc_lo, v28, 16
	v_add_co_ci_u32_e32 v29, vcc_lo, 0, v29, vcc_lo
	s_waitcnt vmcnt(0)
	v_fma_f64 v[26:27], v[40:41], v[44:45], v[26:27]
	v_fma_f64 v[24:25], v[42:43], v[44:45], v[24:25]
	s_delay_alu instid0(VALU_DEP_2) | instskip(NEXT) | instid1(VALU_DEP_2)
	v_fma_f64 v[26:27], -v[42:43], v[46:47], v[26:27]
	v_fma_f64 v[24:25], v[40:41], v[46:47], v[24:25]
	s_cbranch_scc0 .LBB72_29
.LBB72_30:                              ;   in Loop: Header=BB72_20 Depth=2
	s_delay_alu instid0(VALU_DEP_1) | instskip(SKIP_4) | instid1(VALU_DEP_1)
	v_mul_f64 v[28:29], v[24:25], -v[10:11]
	v_mul_f64 v[30:31], v[8:9], v[24:25]
	s_waitcnt vmcnt(0)
	v_subrev_nc_u32_e32 v16, s37, v16
	s_mov_b32 s1, 0
	v_and_b32_e32 v18, 7, v16
	s_delay_alu instid0(VALU_DEP_4) | instskip(NEXT) | instid1(VALU_DEP_4)
	v_fma_f64 v[24:25], v[8:9], v[26:27], v[28:29]
	v_fma_f64 v[26:27], v[10:11], v[26:27], v[30:31]
	s_branch .LBB72_32
.LBB72_31:                              ;   in Loop: Header=BB72_32 Depth=3
	s_or_b32 exec_lo, exec_lo, s34
	s_xor_b32 s34, s35, -1
	s_delay_alu instid0(SALU_CYCLE_1) | instskip(NEXT) | instid1(SALU_CYCLE_1)
	s_and_b32 s34, exec_lo, s34
	s_or_b32 s1, s34, s1
	s_delay_alu instid0(SALU_CYCLE_1)
	s_and_not1_b32 exec_lo, exec_lo, s1
	s_cbranch_execz .LBB72_19
.LBB72_32:                              ;   Parent Loop BB72_17 Depth=1
                                        ;     Parent Loop BB72_20 Depth=2
                                        ; =>    This Loop Header: Depth=3
                                        ;         Child Loop BB72_38 Depth 4
                                        ;         Child Loop BB72_40 Depth 4
	;; [unrolled: 1-line block ×4, first 2 shown]
	s_delay_alu instid0(VALU_DEP_3)
	v_lshl_add_u32 v21, v18, 2, v32
	s_mov_b32 s34, exec_lo
                                        ; implicit-def: $sgpr35
	ds_load_b32 v28, v21
	s_waitcnt lgkmcnt(0)
	v_cmpx_ne_u32_e64 v28, v16
	s_xor_b32 s34, exec_lo, s34
	s_cbranch_execz .LBB72_44
; %bb.33:                               ;   in Loop: Header=BB72_32 Depth=3
	s_mov_b32 s48, exec_lo
                                        ; implicit-def: $sgpr35
	v_cmpx_ne_u32_e64 s6, v28
	s_xor_b32 s48, exec_lo, s48
; %bb.34:                               ;   in Loop: Header=BB72_32 Depth=3
	v_add_nc_u32_e32 v18, 1, v18
	s_mov_b32 s35, -1
                                        ; implicit-def: $vgpr21
	s_delay_alu instid0(VALU_DEP_1)
	v_and_b32_e32 v18, 7, v18
; %bb.35:                               ;   in Loop: Header=BB72_32 Depth=3
	s_and_not1_saveexec_b32 s48, s48
	s_cbranch_execz .LBB72_43
; %bb.36:                               ;   in Loop: Header=BB72_32 Depth=3
	v_mov_b32_e32 v28, s6
	s_mov_b32 s50, -1
	s_mov_b32 s49, exec_lo
	ds_cmpstore_rtn_b32 v21, v21, v16, v28
	s_waitcnt lgkmcnt(0)
	v_cmpx_eq_u32_e64 s6, v21
	s_cbranch_execz .LBB72_42
; %bb.37:                               ;   in Loop: Header=BB72_32 Depth=3
	v_lshlrev_b32_e32 v21, 4, v38
	s_mov_b32 s50, 0
	s_delay_alu instid0(VALU_DEP_1) | instskip(NEXT) | instid1(VALU_DEP_1)
	v_lshl_or_b32 v21, v18, 8, v21
	v_add_nc_u32_e32 v21, v34, v21
	ds_load_b64 v[28:29], v21
.LBB72_38:                              ;   Parent Loop BB72_17 Depth=1
                                        ;     Parent Loop BB72_20 Depth=2
                                        ;       Parent Loop BB72_32 Depth=3
                                        ; =>      This Inner Loop Header: Depth=4
	s_waitcnt lgkmcnt(0)
	v_add_f64 v[30:31], v[28:29], v[24:25]
	ds_cmpstore_rtn_b64 v[30:31], v21, v[30:31], v[28:29]
	s_waitcnt lgkmcnt(0)
	v_cmp_eq_u64_e32 vcc_lo, v[30:31], v[28:29]
	v_dual_mov_b32 v28, v30 :: v_dual_mov_b32 v29, v31
	s_or_b32 s50, vcc_lo, s50
	s_delay_alu instid0(SALU_CYCLE_1)
	s_and_not1_b32 exec_lo, exec_lo, s50
	s_cbranch_execnz .LBB72_38
; %bb.39:                               ;   in Loop: Header=BB72_32 Depth=3
	s_or_b32 exec_lo, exec_lo, s50
	ds_load_b64 v[28:29], v21 offset:8
	s_mov_b32 s50, 0
.LBB72_40:                              ;   Parent Loop BB72_17 Depth=1
                                        ;     Parent Loop BB72_20 Depth=2
                                        ;       Parent Loop BB72_32 Depth=3
                                        ; =>      This Inner Loop Header: Depth=4
	s_waitcnt lgkmcnt(0)
	v_add_f64 v[30:31], v[28:29], v[26:27]
	ds_cmpstore_rtn_b64 v[30:31], v21, v[30:31], v[28:29] offset:8
	s_waitcnt lgkmcnt(0)
	v_cmp_eq_u64_e32 vcc_lo, v[30:31], v[28:29]
	v_dual_mov_b32 v28, v30 :: v_dual_mov_b32 v29, v31
	s_or_b32 s50, vcc_lo, s50
	s_delay_alu instid0(SALU_CYCLE_1)
	s_and_not1_b32 exec_lo, exec_lo, s50
	s_cbranch_execnz .LBB72_40
; %bb.41:                               ;   in Loop: Header=BB72_32 Depth=3
	s_or_b32 exec_lo, exec_lo, s50
	s_delay_alu instid0(SALU_CYCLE_1)
	s_xor_b32 s50, exec_lo, -1
.LBB72_42:                              ;   in Loop: Header=BB72_32 Depth=3
	s_or_b32 exec_lo, exec_lo, s49
	s_delay_alu instid0(SALU_CYCLE_1) | instskip(SKIP_1) | instid1(SALU_CYCLE_1)
	s_and_not1_b32 s35, s35, exec_lo
	s_and_b32 s49, s50, exec_lo
	s_or_b32 s35, s35, s49
.LBB72_43:                              ;   in Loop: Header=BB72_32 Depth=3
	s_or_b32 exec_lo, exec_lo, s48
	s_delay_alu instid0(SALU_CYCLE_1)
	s_and_b32 s35, s35, exec_lo
.LBB72_44:                              ;   in Loop: Header=BB72_32 Depth=3
	s_and_not1_saveexec_b32 s34, s34
	s_cbranch_execz .LBB72_31
; %bb.45:                               ;   in Loop: Header=BB72_32 Depth=3
	v_lshlrev_b32_e32 v21, 4, v38
	s_mov_b32 s48, 0
	s_delay_alu instid0(VALU_DEP_1) | instskip(NEXT) | instid1(VALU_DEP_1)
	v_lshl_or_b32 v21, v18, 8, v21
	v_add_nc_u32_e32 v21, v34, v21
	ds_load_b64 v[28:29], v21
.LBB72_46:                              ;   Parent Loop BB72_17 Depth=1
                                        ;     Parent Loop BB72_20 Depth=2
                                        ;       Parent Loop BB72_32 Depth=3
                                        ; =>      This Inner Loop Header: Depth=4
	s_waitcnt lgkmcnt(0)
	v_add_f64 v[30:31], v[28:29], v[24:25]
	ds_cmpstore_rtn_b64 v[30:31], v21, v[30:31], v[28:29]
	s_waitcnt lgkmcnt(0)
	v_cmp_eq_u64_e32 vcc_lo, v[30:31], v[28:29]
	v_dual_mov_b32 v28, v30 :: v_dual_mov_b32 v29, v31
	s_or_b32 s48, vcc_lo, s48
	s_delay_alu instid0(SALU_CYCLE_1)
	s_and_not1_b32 exec_lo, exec_lo, s48
	s_cbranch_execnz .LBB72_46
; %bb.47:                               ;   in Loop: Header=BB72_32 Depth=3
	s_or_b32 exec_lo, exec_lo, s48
	ds_load_b64 v[28:29], v21 offset:8
	s_mov_b32 s48, 0
.LBB72_48:                              ;   Parent Loop BB72_17 Depth=1
                                        ;     Parent Loop BB72_20 Depth=2
                                        ;       Parent Loop BB72_32 Depth=3
                                        ; =>      This Inner Loop Header: Depth=4
	s_waitcnt lgkmcnt(0)
	v_add_f64 v[30:31], v[28:29], v[26:27]
	ds_cmpstore_rtn_b64 v[30:31], v21, v[30:31], v[28:29] offset:8
	s_waitcnt lgkmcnt(0)
	v_cmp_eq_u64_e32 vcc_lo, v[30:31], v[28:29]
	v_dual_mov_b32 v28, v30 :: v_dual_mov_b32 v29, v31
	s_or_b32 s48, vcc_lo, s48
	s_delay_alu instid0(SALU_CYCLE_1)
	s_and_not1_b32 exec_lo, exec_lo, s48
	s_cbranch_execnz .LBB72_48
; %bb.49:                               ;   in Loop: Header=BB72_32 Depth=3
	s_or_b32 exec_lo, exec_lo, s48
	s_delay_alu instid0(SALU_CYCLE_1)
	s_and_not1_b32 s35, s35, exec_lo
	s_branch .LBB72_31
.LBB72_50:
	s_or_b32 exec_lo, exec_lo, s2
.LBB72_51:
	s_delay_alu instid0(SALU_CYCLE_1)
	s_and_not1_b32 vcc_lo, exec_lo, s12
	s_barrier
	buffer_gl0_inv
	s_cbranch_vccnz .LBB72_77
; %bb.52:
	v_add_co_u32 v8, vcc_lo, s16, v2
	v_add_co_ci_u32_e32 v9, vcc_lo, s17, v3, vcc_lo
	v_subrev_nc_u32_e32 v10, s39, v35
	s_mov_b32 s1, exec_lo
	global_load_b64 v[8:9], v[8:9], off
	s_waitcnt vmcnt(0)
	v_subrev_nc_u32_e32 v18, s39, v9
	v_add_nc_u32_e32 v8, v8, v10
	s_delay_alu instid0(VALU_DEP_1)
	v_cmpx_lt_i32_e64 v8, v18
	s_cbranch_execz .LBB72_76
; %bb.53:
	v_max_i32_e32 v9, v0, v1
	v_and_b32_e32 v12, 15, v36
	s_cmp_eq_u32 s4, 0
	s_mov_b32 s2, 0
	s_cselect_b32 s0, -1, 0
	v_cmp_gt_i32_e32 vcc_lo, s7, v9
	v_cndmask_b32_e64 v10, v0, v1, s0
	v_cndmask_b32_e64 v11, v1, v0, s0
	v_lshlrev_b32_e32 v19, 4, v12
	s_branch .LBB72_55
.LBB72_54:                              ;   in Loop: Header=BB72_55 Depth=1
	s_or_b32 exec_lo, exec_lo, s3
	v_add_nc_u32_e32 v8, 4, v8
	s_delay_alu instid0(VALU_DEP_1) | instskip(NEXT) | instid1(VALU_DEP_1)
	v_cmp_ge_i32_e64 s0, v8, v18
	s_or_b32 s2, s0, s2
	s_delay_alu instid0(SALU_CYCLE_1)
	s_and_not1_b32 exec_lo, exec_lo, s2
	s_cbranch_execz .LBB72_76
.LBB72_55:                              ; =>This Loop Header: Depth=1
                                        ;     Child Loop BB72_58 Depth 2
                                        ;       Child Loop BB72_64 Depth 3
                                        ;       Child Loop BB72_66 Depth 3
	;; [unrolled: 1-line block ×4, first 2 shown]
	s_and_saveexec_b32 s3, vcc_lo
	s_cbranch_execz .LBB72_54
; %bb.56:                               ;   in Loop: Header=BB72_55 Depth=1
	v_mad_u64_u32 v[12:13], null, v8, s7, v[10:11]
	v_ashrrev_i32_e32 v9, 31, v8
	s_mov_b32 s5, 0
	s_delay_alu instid0(VALU_DEP_2) | instskip(NEXT) | instid1(VALU_DEP_1)
	v_mad_u64_u32 v[13:14], null, v12, s7, v[11:12]
	v_ashrrev_i32_e32 v14, 31, v13
	s_delay_alu instid0(VALU_DEP_1) | instskip(NEXT) | instid1(VALU_DEP_1)
	v_lshlrev_b64 v[12:13], 4, v[13:14]
	v_add_co_u32 v12, s0, s20, v12
	s_delay_alu instid0(VALU_DEP_1) | instskip(SKIP_2) | instid1(VALU_DEP_1)
	v_add_co_ci_u32_e64 v13, s0, s21, v13, s0
	global_load_b128 v[14:17], v[12:13], off
	v_lshlrev_b64 v[12:13], 2, v[8:9]
	v_add_co_u32 v12, s0, s18, v12
	s_delay_alu instid0(VALU_DEP_1)
	v_add_co_ci_u32_e64 v13, s0, s19, v13, s0
	global_load_b32 v9, v[12:13], off
	s_waitcnt vmcnt(1)
	v_mul_f64 v[12:13], v[16:17], -v[4:5]
	v_mul_f64 v[16:17], v[6:7], v[16:17]
	s_waitcnt vmcnt(0)
	v_subrev_nc_u32_e32 v9, s39, v9
	s_delay_alu instid0(VALU_DEP_1) | instskip(NEXT) | instid1(VALU_DEP_4)
	v_and_b32_e32 v20, 7, v9
	v_fma_f64 v[12:13], v[6:7], v[14:15], v[12:13]
	s_delay_alu instid0(VALU_DEP_4)
	v_fma_f64 v[14:15], v[4:5], v[14:15], v[16:17]
	s_branch .LBB72_58
.LBB72_57:                              ;   in Loop: Header=BB72_58 Depth=2
	s_or_b32 exec_lo, exec_lo, s8
	s_xor_b32 s0, s9, -1
	s_delay_alu instid0(SALU_CYCLE_1) | instskip(NEXT) | instid1(SALU_CYCLE_1)
	s_and_b32 s0, exec_lo, s0
	s_or_b32 s5, s0, s5
	s_delay_alu instid0(SALU_CYCLE_1)
	s_and_not1_b32 exec_lo, exec_lo, s5
	s_cbranch_execz .LBB72_54
.LBB72_58:                              ;   Parent Loop BB72_55 Depth=1
                                        ; =>  This Loop Header: Depth=2
                                        ;       Child Loop BB72_64 Depth 3
                                        ;       Child Loop BB72_66 Depth 3
	;; [unrolled: 1-line block ×4, first 2 shown]
	s_delay_alu instid0(VALU_DEP_3)
	v_lshl_add_u32 v16, v20, 2, v32
	s_mov_b32 s8, exec_lo
                                        ; implicit-def: $sgpr9
	ds_load_b32 v17, v16
	s_waitcnt lgkmcnt(0)
	v_cmpx_ne_u32_e64 v17, v9
	s_xor_b32 s8, exec_lo, s8
	s_cbranch_execz .LBB72_70
; %bb.59:                               ;   in Loop: Header=BB72_58 Depth=2
	v_cmp_ne_u32_e64 s0, s6, v17
                                        ; implicit-def: $sgpr9
	s_delay_alu instid0(VALU_DEP_1) | instskip(NEXT) | instid1(SALU_CYCLE_1)
	s_and_saveexec_b32 s10, s0
	s_xor_b32 s0, exec_lo, s10
; %bb.60:                               ;   in Loop: Header=BB72_58 Depth=2
	v_add_nc_u32_e32 v16, 1, v20
	s_mov_b32 s9, -1
	s_delay_alu instid0(VALU_DEP_1)
	v_and_b32_e32 v20, 7, v16
                                        ; implicit-def: $vgpr16
; %bb.61:                               ;   in Loop: Header=BB72_58 Depth=2
	s_and_not1_saveexec_b32 s10, s0
	s_cbranch_execz .LBB72_69
; %bb.62:                               ;   in Loop: Header=BB72_58 Depth=2
	v_mov_b32_e32 v17, s6
	s_mov_b32 s12, -1
	s_mov_b32 s11, exec_lo
	ds_cmpstore_rtn_b32 v16, v16, v9, v17
	s_waitcnt lgkmcnt(0)
	v_cmpx_eq_u32_e64 s6, v16
	s_cbranch_execz .LBB72_68
; %bb.63:                               ;   in Loop: Header=BB72_58 Depth=2
	v_lshl_or_b32 v16, v20, 8, v19
	s_mov_b32 s12, 0
	s_delay_alu instid0(VALU_DEP_1)
	v_add_nc_u32_e32 v21, v34, v16
	ds_load_b64 v[16:17], v21
.LBB72_64:                              ;   Parent Loop BB72_55 Depth=1
                                        ;     Parent Loop BB72_58 Depth=2
                                        ; =>    This Inner Loop Header: Depth=3
	s_waitcnt lgkmcnt(0)
	v_add_f64 v[22:23], v[16:17], v[12:13]
	ds_cmpstore_rtn_b64 v[22:23], v21, v[22:23], v[16:17]
	s_waitcnt lgkmcnt(0)
	v_cmp_eq_u64_e64 s0, v[22:23], v[16:17]
	v_dual_mov_b32 v16, v22 :: v_dual_mov_b32 v17, v23
	s_delay_alu instid0(VALU_DEP_2) | instskip(NEXT) | instid1(SALU_CYCLE_1)
	s_or_b32 s12, s0, s12
	s_and_not1_b32 exec_lo, exec_lo, s12
	s_cbranch_execnz .LBB72_64
; %bb.65:                               ;   in Loop: Header=BB72_58 Depth=2
	s_or_b32 exec_lo, exec_lo, s12
	ds_load_b64 v[16:17], v21 offset:8
	s_mov_b32 s12, 0
.LBB72_66:                              ;   Parent Loop BB72_55 Depth=1
                                        ;     Parent Loop BB72_58 Depth=2
                                        ; =>    This Inner Loop Header: Depth=3
	s_waitcnt lgkmcnt(0)
	v_add_f64 v[22:23], v[16:17], v[14:15]
	ds_cmpstore_rtn_b64 v[22:23], v21, v[22:23], v[16:17] offset:8
	s_waitcnt lgkmcnt(0)
	v_cmp_eq_u64_e64 s0, v[22:23], v[16:17]
	v_dual_mov_b32 v16, v22 :: v_dual_mov_b32 v17, v23
	s_delay_alu instid0(VALU_DEP_2) | instskip(NEXT) | instid1(SALU_CYCLE_1)
	s_or_b32 s12, s0, s12
	s_and_not1_b32 exec_lo, exec_lo, s12
	s_cbranch_execnz .LBB72_66
; %bb.67:                               ;   in Loop: Header=BB72_58 Depth=2
	s_or_b32 exec_lo, exec_lo, s12
	s_delay_alu instid0(SALU_CYCLE_1)
	s_xor_b32 s12, exec_lo, -1
.LBB72_68:                              ;   in Loop: Header=BB72_58 Depth=2
	s_or_b32 exec_lo, exec_lo, s11
	s_delay_alu instid0(SALU_CYCLE_1) | instskip(SKIP_1) | instid1(SALU_CYCLE_1)
	s_and_not1_b32 s0, s9, exec_lo
	s_and_b32 s9, s12, exec_lo
	s_or_b32 s9, s0, s9
.LBB72_69:                              ;   in Loop: Header=BB72_58 Depth=2
	s_or_b32 exec_lo, exec_lo, s10
	s_delay_alu instid0(SALU_CYCLE_1)
	s_and_b32 s9, s9, exec_lo
.LBB72_70:                              ;   in Loop: Header=BB72_58 Depth=2
	s_and_not1_saveexec_b32 s8, s8
	s_cbranch_execz .LBB72_57
; %bb.71:                               ;   in Loop: Header=BB72_58 Depth=2
	v_lshl_or_b32 v16, v20, 8, v19
	s_mov_b32 s10, 0
	s_delay_alu instid0(VALU_DEP_1)
	v_add_nc_u32_e32 v21, v34, v16
	ds_load_b64 v[16:17], v21
.LBB72_72:                              ;   Parent Loop BB72_55 Depth=1
                                        ;     Parent Loop BB72_58 Depth=2
                                        ; =>    This Inner Loop Header: Depth=3
	s_waitcnt lgkmcnt(0)
	v_add_f64 v[22:23], v[16:17], v[12:13]
	ds_cmpstore_rtn_b64 v[22:23], v21, v[22:23], v[16:17]
	s_waitcnt lgkmcnt(0)
	v_cmp_eq_u64_e64 s0, v[22:23], v[16:17]
	v_dual_mov_b32 v16, v22 :: v_dual_mov_b32 v17, v23
	s_delay_alu instid0(VALU_DEP_2) | instskip(NEXT) | instid1(SALU_CYCLE_1)
	s_or_b32 s10, s0, s10
	s_and_not1_b32 exec_lo, exec_lo, s10
	s_cbranch_execnz .LBB72_72
; %bb.73:                               ;   in Loop: Header=BB72_58 Depth=2
	s_or_b32 exec_lo, exec_lo, s10
	ds_load_b64 v[16:17], v21 offset:8
	s_mov_b32 s10, 0
.LBB72_74:                              ;   Parent Loop BB72_55 Depth=1
                                        ;     Parent Loop BB72_58 Depth=2
                                        ; =>    This Inner Loop Header: Depth=3
	s_waitcnt lgkmcnt(0)
	v_add_f64 v[22:23], v[16:17], v[14:15]
	ds_cmpstore_rtn_b64 v[22:23], v21, v[22:23], v[16:17] offset:8
	s_waitcnt lgkmcnt(0)
	v_cmp_eq_u64_e64 s0, v[22:23], v[16:17]
	v_dual_mov_b32 v16, v22 :: v_dual_mov_b32 v17, v23
	s_delay_alu instid0(VALU_DEP_2) | instskip(NEXT) | instid1(SALU_CYCLE_1)
	s_or_b32 s10, s0, s10
	s_and_not1_b32 exec_lo, exec_lo, s10
	s_cbranch_execnz .LBB72_74
; %bb.75:                               ;   in Loop: Header=BB72_58 Depth=2
	s_or_b32 exec_lo, exec_lo, s10
	s_delay_alu instid0(SALU_CYCLE_1)
	s_and_not1_b32 s9, s9, exec_lo
	s_branch .LBB72_57
.LBB72_76:
	s_or_b32 exec_lo, exec_lo, s1
.LBB72_77:
	v_add_co_u32 v2, vcc_lo, s22, v2
	v_add_co_ci_u32_e32 v3, vcc_lo, s23, v3, vcc_lo
	s_barrier
	buffer_gl0_inv
	global_load_b32 v2, v[2:3], off
	s_cmp_eq_u32 s4, 0
	v_max_i32_e32 v5, v0, v1
	s_cselect_b32 vcc_lo, -1, 0
	v_lshlrev_b32_e32 v7, 5, v33
	v_dual_cndmask_b32 v3, v0, v1 :: v_dual_cndmask_b32 v4, v1, v0
	v_lshlrev_b32_e32 v8, 2, v35
	v_cmp_gt_i32_e32 vcc_lo, s7, v5
	s_mov_b32 s1, 0
	s_delay_alu instid0(VALU_DEP_3) | instskip(NEXT) | instid1(VALU_DEP_3)
	v_lshlrev_b32_e32 v4, 4, v4
	v_or3_b32 v7, v7, v8, 0x2000
	s_delay_alu instid0(VALU_DEP_2) | instskip(NEXT) | instid1(VALU_DEP_1)
	v_lshl_or_b32 v4, v35, 8, v4
	v_lshl_or_b32 v3, v3, 6, v4
	v_or_b32_e32 v4, -4, v35
	s_delay_alu instid0(VALU_DEP_2)
	v_add_nc_u32_e32 v5, v34, v3
	s_waitcnt vmcnt(0)
	v_subrev_nc_u32_e32 v6, s38, v2
	s_branch .LBB72_79
.LBB72_78:                              ;   in Loop: Header=BB72_79 Depth=1
	s_or_b32 exec_lo, exec_lo, s2
	v_add_co_u32 v4, s0, v4, 4
	s_delay_alu instid0(VALU_DEP_1) | instskip(SKIP_3) | instid1(SALU_CYCLE_1)
	s_xor_b32 s0, s0, -1
	v_add_nc_u32_e32 v5, 0x400, v5
	v_add_nc_u32_e32 v7, 16, v7
	s_and_b32 s0, exec_lo, s0
	s_or_b32 s1, s0, s1
	s_delay_alu instid0(SALU_CYCLE_1)
	s_and_not1_b32 exec_lo, exec_lo, s1
	s_cbranch_execz .LBB72_82
.LBB72_79:                              ; =>This Inner Loop Header: Depth=1
	ds_load_b32 v8, v7
	s_mov_b32 s2, exec_lo
	s_waitcnt lgkmcnt(0)
	v_cmpx_gt_i32_e64 s6, v8
	s_cbranch_execz .LBB72_78
; %bb.80:                               ;   in Loop: Header=BB72_79 Depth=1
	ds_load_b128 v[9:12], v32
	ds_load_b128 v[13:16], v32 offset:16
	s_waitcnt lgkmcnt(1)
	v_cmp_gt_i32_e64 s0, v8, v9
	s_delay_alu instid0(VALU_DEP_1) | instskip(SKIP_1) | instid1(VALU_DEP_1)
	v_cndmask_b32_e64 v2, 0, 1, s0
	v_cmp_gt_i32_e64 s0, v8, v11
	v_cndmask_b32_e64 v3, 0, 1, s0
	v_cmp_gt_i32_e64 s0, v8, v10
	s_delay_alu instid0(VALU_DEP_1) | instskip(SKIP_2) | instid1(VALU_DEP_1)
	v_add_co_ci_u32_e64 v2, s0, v6, v2, s0
	s_waitcnt lgkmcnt(0)
	v_cmp_gt_i32_e64 s0, v8, v13
	v_cndmask_b32_e64 v9, 0, 1, s0
	v_cmp_gt_i32_e64 s0, v8, v12
	s_delay_alu instid0(VALU_DEP_1) | instskip(SKIP_1) | instid1(VALU_DEP_1)
	v_add_co_ci_u32_e64 v2, s0, v2, v3, s0
	v_cmp_gt_i32_e64 s0, v8, v15
	v_cndmask_b32_e64 v3, 0, 1, s0
	v_cmp_gt_i32_e64 s0, v8, v14
	s_delay_alu instid0(VALU_DEP_1) | instskip(SKIP_1) | instid1(VALU_DEP_1)
	v_add_co_ci_u32_e64 v2, s0, v2, v9, s0
	v_cmp_gt_i32_e64 s0, v8, v16
	v_add_co_ci_u32_e64 v2, s0, v2, v3, s0
	s_delay_alu instid0(VALU_DEP_1) | instskip(NEXT) | instid1(VALU_DEP_1)
	v_ashrrev_i32_e32 v3, 31, v2
	v_lshlrev_b64 v[9:10], 2, v[2:3]
	v_add_nc_u32_e32 v3, s38, v8
	s_delay_alu instid0(VALU_DEP_2) | instskip(NEXT) | instid1(VALU_DEP_1)
	v_add_co_u32 v8, s0, s40, v9
	v_add_co_ci_u32_e64 v9, s0, s41, v10, s0
	global_store_b32 v[8:9], v3, off
	s_and_b32 exec_lo, exec_lo, vcc_lo
	s_cbranch_execz .LBB72_78
; %bb.81:                               ;   in Loop: Header=BB72_79 Depth=1
	v_mad_u64_u32 v[8:9], null, v2, s7, v[1:2]
	s_delay_alu instid0(VALU_DEP_1) | instskip(SKIP_2) | instid1(VALU_DEP_1)
	v_mad_u64_u32 v[2:3], null, v8, s7, v[0:1]
	ds_load_2addr_b64 v[8:11], v5 offset1:1
	v_ashrrev_i32_e32 v3, 31, v2
	v_lshlrev_b64 v[2:3], 4, v[2:3]
	s_delay_alu instid0(VALU_DEP_1) | instskip(NEXT) | instid1(VALU_DEP_1)
	v_add_co_u32 v2, s0, s42, v2
	v_add_co_ci_u32_e64 v3, s0, s43, v3, s0
	s_waitcnt lgkmcnt(0)
	global_store_b128 v[2:3], v[8:11], off
	s_branch .LBB72_78
.LBB72_82:
	s_nop 0
	s_sendmsg sendmsg(MSG_DEALLOC_VGPRS)
	s_endpgm
	.section	.rodata,"a",@progbits
	.p2align	6, 0x0
	.amdhsa_kernel _ZN9rocsparseL23bsrgemm_fill_wf_per_rowILj256ELj64ELj8ELj137ELj4Eii21rocsparse_complex_numIdEEEv20rocsparse_direction_T5_S4_S4_PKS4_S6_NS_24const_host_device_scalarIT6_EEPKT4_S6_PKS8_SC_S6_SE_S9_SC_S6_SE_SC_PS4_PS8_21rocsparse_index_base_SH_SH_SH_bbb
		.amdhsa_group_segment_fixed_size 12416
		.amdhsa_private_segment_fixed_size 0
		.amdhsa_kernarg_size 180
		.amdhsa_user_sgpr_count 15
		.amdhsa_user_sgpr_dispatch_ptr 1
		.amdhsa_user_sgpr_queue_ptr 0
		.amdhsa_user_sgpr_kernarg_segment_ptr 1
		.amdhsa_user_sgpr_dispatch_id 0
		.amdhsa_user_sgpr_private_segment_size 0
		.amdhsa_wavefront_size32 1
		.amdhsa_uses_dynamic_stack 0
		.amdhsa_enable_private_segment 0
		.amdhsa_system_sgpr_workgroup_id_x 1
		.amdhsa_system_sgpr_workgroup_id_y 0
		.amdhsa_system_sgpr_workgroup_id_z 0
		.amdhsa_system_sgpr_workgroup_info 0
		.amdhsa_system_vgpr_workitem_id 2
		.amdhsa_next_free_vgpr 48
		.amdhsa_next_free_sgpr 51
		.amdhsa_reserve_vcc 1
		.amdhsa_float_round_mode_32 0
		.amdhsa_float_round_mode_16_64 0
		.amdhsa_float_denorm_mode_32 3
		.amdhsa_float_denorm_mode_16_64 3
		.amdhsa_dx10_clamp 1
		.amdhsa_ieee_mode 1
		.amdhsa_fp16_overflow 0
		.amdhsa_workgroup_processor_mode 1
		.amdhsa_memory_ordered 1
		.amdhsa_forward_progress 0
		.amdhsa_shared_vgpr_count 0
		.amdhsa_exception_fp_ieee_invalid_op 0
		.amdhsa_exception_fp_denorm_src 0
		.amdhsa_exception_fp_ieee_div_zero 0
		.amdhsa_exception_fp_ieee_overflow 0
		.amdhsa_exception_fp_ieee_underflow 0
		.amdhsa_exception_fp_ieee_inexact 0
		.amdhsa_exception_int_div_zero 0
	.end_amdhsa_kernel
	.section	.text._ZN9rocsparseL23bsrgemm_fill_wf_per_rowILj256ELj64ELj8ELj137ELj4Eii21rocsparse_complex_numIdEEEv20rocsparse_direction_T5_S4_S4_PKS4_S6_NS_24const_host_device_scalarIT6_EEPKT4_S6_PKS8_SC_S6_SE_S9_SC_S6_SE_SC_PS4_PS8_21rocsparse_index_base_SH_SH_SH_bbb,"axG",@progbits,_ZN9rocsparseL23bsrgemm_fill_wf_per_rowILj256ELj64ELj8ELj137ELj4Eii21rocsparse_complex_numIdEEEv20rocsparse_direction_T5_S4_S4_PKS4_S6_NS_24const_host_device_scalarIT6_EEPKT4_S6_PKS8_SC_S6_SE_S9_SC_S6_SE_SC_PS4_PS8_21rocsparse_index_base_SH_SH_SH_bbb,comdat
.Lfunc_end72:
	.size	_ZN9rocsparseL23bsrgemm_fill_wf_per_rowILj256ELj64ELj8ELj137ELj4Eii21rocsparse_complex_numIdEEEv20rocsparse_direction_T5_S4_S4_PKS4_S6_NS_24const_host_device_scalarIT6_EEPKT4_S6_PKS8_SC_S6_SE_S9_SC_S6_SE_SC_PS4_PS8_21rocsparse_index_base_SH_SH_SH_bbb, .Lfunc_end72-_ZN9rocsparseL23bsrgemm_fill_wf_per_rowILj256ELj64ELj8ELj137ELj4Eii21rocsparse_complex_numIdEEEv20rocsparse_direction_T5_S4_S4_PKS4_S6_NS_24const_host_device_scalarIT6_EEPKT4_S6_PKS8_SC_S6_SE_S9_SC_S6_SE_SC_PS4_PS8_21rocsparse_index_base_SH_SH_SH_bbb
                                        ; -- End function
	.section	.AMDGPU.csdata,"",@progbits
; Kernel info:
; codeLenInByte = 3628
; NumSgprs: 53
; NumVgprs: 48
; ScratchSize: 0
; MemoryBound: 0
; FloatMode: 240
; IeeeMode: 1
; LDSByteSize: 12416 bytes/workgroup (compile time only)
; SGPRBlocks: 6
; VGPRBlocks: 5
; NumSGPRsForWavesPerEU: 53
; NumVGPRsForWavesPerEU: 48
; Occupancy: 16
; WaveLimiterHint : 1
; COMPUTE_PGM_RSRC2:SCRATCH_EN: 0
; COMPUTE_PGM_RSRC2:USER_SGPR: 15
; COMPUTE_PGM_RSRC2:TRAP_HANDLER: 0
; COMPUTE_PGM_RSRC2:TGID_X_EN: 1
; COMPUTE_PGM_RSRC2:TGID_Y_EN: 0
; COMPUTE_PGM_RSRC2:TGID_Z_EN: 0
; COMPUTE_PGM_RSRC2:TIDIG_COMP_CNT: 2
	.section	.text._ZN9rocsparseL23bsrgemm_fill_wf_per_rowILj256ELj64ELj16ELj137ELj4Eii21rocsparse_complex_numIdEEEv20rocsparse_direction_T5_S4_S4_PKS4_S6_NS_24const_host_device_scalarIT6_EEPKT4_S6_PKS8_SC_S6_SE_S9_SC_S6_SE_SC_PS4_PS8_21rocsparse_index_base_SH_SH_SH_bbb,"axG",@progbits,_ZN9rocsparseL23bsrgemm_fill_wf_per_rowILj256ELj64ELj16ELj137ELj4Eii21rocsparse_complex_numIdEEEv20rocsparse_direction_T5_S4_S4_PKS4_S6_NS_24const_host_device_scalarIT6_EEPKT4_S6_PKS8_SC_S6_SE_S9_SC_S6_SE_SC_PS4_PS8_21rocsparse_index_base_SH_SH_SH_bbb,comdat
	.globl	_ZN9rocsparseL23bsrgemm_fill_wf_per_rowILj256ELj64ELj16ELj137ELj4Eii21rocsparse_complex_numIdEEEv20rocsparse_direction_T5_S4_S4_PKS4_S6_NS_24const_host_device_scalarIT6_EEPKT4_S6_PKS8_SC_S6_SE_S9_SC_S6_SE_SC_PS4_PS8_21rocsparse_index_base_SH_SH_SH_bbb ; -- Begin function _ZN9rocsparseL23bsrgemm_fill_wf_per_rowILj256ELj64ELj16ELj137ELj4Eii21rocsparse_complex_numIdEEEv20rocsparse_direction_T5_S4_S4_PKS4_S6_NS_24const_host_device_scalarIT6_EEPKT4_S6_PKS8_SC_S6_SE_S9_SC_S6_SE_SC_PS4_PS8_21rocsparse_index_base_SH_SH_SH_bbb
	.p2align	8
	.type	_ZN9rocsparseL23bsrgemm_fill_wf_per_rowILj256ELj64ELj16ELj137ELj4Eii21rocsparse_complex_numIdEEEv20rocsparse_direction_T5_S4_S4_PKS4_S6_NS_24const_host_device_scalarIT6_EEPKT4_S6_PKS8_SC_S6_SE_S9_SC_S6_SE_SC_PS4_PS8_21rocsparse_index_base_SH_SH_SH_bbb,@function
_ZN9rocsparseL23bsrgemm_fill_wf_per_rowILj256ELj64ELj16ELj137ELj4Eii21rocsparse_complex_numIdEEEv20rocsparse_direction_T5_S4_S4_PKS4_S6_NS_24const_host_device_scalarIT6_EEPKT4_S6_PKS8_SC_S6_SE_S9_SC_S6_SE_SC_PS4_PS8_21rocsparse_index_base_SH_SH_SH_bbb: ; @_ZN9rocsparseL23bsrgemm_fill_wf_per_rowILj256ELj64ELj16ELj137ELj4Eii21rocsparse_complex_numIdEEEv20rocsparse_direction_T5_S4_S4_PKS4_S6_NS_24const_host_device_scalarIT6_EEPKT4_S6_PKS8_SC_S6_SE_S9_SC_S6_SE_SC_PS4_PS8_21rocsparse_index_base_SH_SH_SH_bbb
; %bb.0:
	s_load_b32 s13, s[2:3], 0xb0
	s_load_b64 s[16:17], s[0:1], 0x4
	s_clause 0x1
	s_load_b128 s[8:11], s[2:3], 0x20
	s_load_b128 s[4:7], s[2:3], 0x60
	v_and_b32_e32 v36, 0x3ff, v0
	v_mov_b32_e32 v4, 0
	v_mov_b32_e32 v5, 0
	v_bfe_u32 v2, v0, 10, 10
	v_bfe_u32 v0, v0, 20, 10
	s_delay_alu instid0(VALU_DEP_3)
	v_dual_mov_b32 v9, v5 :: v_dual_mov_b32 v8, v4
	v_dual_mov_b32 v11, v5 :: v_dual_mov_b32 v10, v4
	s_waitcnt lgkmcnt(0)
	s_bitcmp1_b32 s13, 0
	s_cselect_b32 s1, -1, 0
	s_bitcmp1_b32 s13, 16
	v_mov_b32_e32 v7, s5
	s_cselect_b32 s0, -1, 0
	s_lshr_b32 s12, s16, 16
	s_xor_b32 s14, s0, -1
	s_mul_i32 s12, s12, s17
	v_cndmask_b32_e64 v12, 0, 1, s14
	v_mul_lo_u32 v1, s12, v36
	s_bitcmp0_b32 s13, 0
	v_mov_b32_e32 v6, s4
	s_delay_alu instid0(VALU_DEP_3) | instskip(SKIP_3) | instid1(VALU_DEP_2)
	v_cmp_ne_u32_e32 vcc_lo, 1, v12
	scratch_store_b64 off, v[6:7], off
	v_mad_u32_u24 v3, v2, s17, v1
	v_dual_mov_b32 v1, s8 :: v_dual_mov_b32 v2, s9
	v_add_lshl_u32 v0, v3, v0, 3
	ds_store_b64 v0, v[1:2] offset:16640
	s_cbranch_scc1 .LBB73_3
; %bb.1:
	s_mov_b64 s[16:17], src_shared_base
	s_and_b32 s12, s0, exec_lo
	s_cselect_b32 s12, s17, s9
	s_delay_alu instid0(SALU_CYCLE_1) | instskip(SKIP_2) | instid1(VALU_DEP_2)
	v_dual_mov_b32 v1, s12 :: v_dual_add_nc_u32 v0, 0x4100, v0
	v_dual_mov_b32 v10, s10 :: v_dual_mov_b32 v11, s11
	s_and_b32 vcc_lo, exec_lo, vcc_lo
	v_cndmask_b32_e64 v0, s8, v0, s0
	flat_load_b64 v[8:9], v[0:1]
	s_cbranch_vccnz .LBB73_3
; %bb.2:
	v_dual_mov_b32 v0, s8 :: v_dual_mov_b32 v1, s9
	flat_load_b64 v[10:11], v[0:1] offset:8
.LBB73_3:
	s_load_b128 s[36:39], s[2:3], 0xa0
	s_bitcmp1_b32 s13, 8
	v_dual_mov_b32 v7, v5 :: v_dual_mov_b32 v6, v4
	s_cselect_b32 s12, -1, 0
	s_bfe_u32 s8, s13, 0x10008
	s_delay_alu instid0(SALU_CYCLE_1)
	s_cmp_eq_u32 s8, 0
	s_cbranch_scc1 .LBB73_6
; %bb.4:
	s_mov_b64 s[8:9], src_private_base
	s_and_b32 s8, s0, exec_lo
	s_cselect_b32 s8, s9, s5
	s_delay_alu instid0(SALU_CYCLE_1) | instskip(SKIP_2) | instid1(VALU_DEP_2)
	v_dual_mov_b32 v0, 0 :: v_dual_mov_b32 v1, s8
	v_dual_mov_b32 v4, s6 :: v_dual_mov_b32 v5, s7
	s_and_not1_b32 vcc_lo, exec_lo, s14
	v_cndmask_b32_e64 v0, s4, v0, s0
	flat_load_b64 v[6:7], v[0:1]
	s_cbranch_vccnz .LBB73_6
; %bb.5:
	v_dual_mov_b32 v0, s4 :: v_dual_mov_b32 v1, s5
	flat_load_b64 v[4:5], v[0:1] offset:8
.LBB73_6:
	s_clause 0x4
	s_load_b128 s[40:43], s[2:3], 0x90
	s_load_b256 s[16:23], s[2:3], 0x70
	s_load_b128 s[44:47], s[2:3], 0x50
	s_load_b256 s[4:11], s[2:3], 0x0
	s_load_b256 s[24:31], s[2:3], 0x30
	s_movk_i32 s0, 0xc0
	v_and_b32_e32 v12, 63, v36
	v_lshrrev_b32_e32 v33, 6, v36
	v_and_or_b32 v32, v36, s0, 0x4000
	s_mov_b32 s0, exec_lo
	s_delay_alu instid0(VALU_DEP_3)
	v_cmpx_gt_u32_e32 16, v12
	s_cbranch_execz .LBB73_8
; %bb.7:
	s_delay_alu instid0(VALU_DEP_2)
	v_lshl_add_u32 v0, v12, 2, v32
	s_waitcnt lgkmcnt(0)
	v_mov_b32_e32 v1, s6
	ds_store_b32 v0, v1
.LBB73_8:
	s_or_b32 exec_lo, exec_lo, s0
	v_mov_b32_e32 v0, 0
	v_lshlrev_b32_e32 v34, 12, v33
	v_or_b32_e32 v13, 0xffffffc0, v12
	s_mov_b32 s0, 0
	s_delay_alu instid0(VALU_DEP_3) | instskip(NEXT) | instid1(VALU_DEP_3)
	v_mov_b32_e32 v1, v0
	v_lshl_or_b32 v14, v12, 4, v34
	v_mov_b32_e32 v2, v0
	v_mov_b32_e32 v3, v0
.LBB73_9:                               ; =>This Inner Loop Header: Depth=1
	v_add_nc_u32_e32 v13, 64, v13
	ds_store_b128 v14, v[0:3]
	v_add_nc_u32_e32 v14, 0x400, v14
	v_cmp_lt_u32_e32 vcc_lo, 0xbf, v13
	s_or_b32 s0, vcc_lo, s0
	s_delay_alu instid0(SALU_CYCLE_1)
	s_and_not1_b32 exec_lo, exec_lo, s0
	s_cbranch_execnz .LBB73_9
; %bb.10:
	s_or_b32 exec_lo, exec_lo, s0
	v_lshl_or_b32 v1, s15, 2, v33
	s_waitcnt vmcnt(0) lgkmcnt(0)
	s_waitcnt_vscnt null, 0x0
	s_barrier
	buffer_gl0_inv
	s_mov_b32 s0, exec_lo
	v_cmpx_gt_i32_e64 s5, v1
	s_cbranch_execz .LBB73_82
; %bb.11:
	s_cmp_eq_u64 s[10:11], 0
	s_cbranch_scc1 .LBB73_13
; %bb.12:
	s_load_b32 s0, s[8:9], 0x0
	s_waitcnt lgkmcnt(0)
	v_add_nc_u32_e32 v0, s0, v1
	s_delay_alu instid0(VALU_DEP_1) | instskip(NEXT) | instid1(VALU_DEP_1)
	v_ashrrev_i32_e32 v1, 31, v0
	v_lshlrev_b64 v[0:1], 2, v[0:1]
	s_delay_alu instid0(VALU_DEP_1) | instskip(NEXT) | instid1(VALU_DEP_2)
	v_add_co_u32 v0, vcc_lo, s10, v0
	v_add_co_ci_u32_e32 v1, vcc_lo, s11, v1, vcc_lo
	global_load_b32 v1, v[0:1], off
.LBB73_13:
	s_waitcnt vmcnt(0)
	v_ashrrev_i32_e32 v2, 31, v1
	v_lshrrev_b32_e32 v35, 4, v12
	v_and_b32_e32 v0, 3, v36
	s_and_not1_b32 vcc_lo, exec_lo, s1
	s_delay_alu instid0(VALU_DEP_3)
	v_lshlrev_b64 v[2:3], 2, v[1:2]
	v_bfe_u32 v1, v36, 2, 2
	s_cbranch_vccnz .LBB73_51
; %bb.14:
	s_delay_alu instid0(VALU_DEP_2) | instskip(NEXT) | instid1(VALU_DEP_3)
	v_add_co_u32 v12, vcc_lo, s24, v2
	v_add_co_ci_u32_e32 v13, vcc_lo, s25, v3, vcc_lo
	v_subrev_nc_u32_e32 v14, s36, v35
	s_mov_b32 s2, exec_lo
	global_load_b64 v[12:13], v[12:13], off
	s_waitcnt vmcnt(0)
	v_subrev_nc_u32_e32 v37, s36, v13
	v_add_nc_u32_e32 v12, v12, v14
	s_delay_alu instid0(VALU_DEP_1)
	v_cmpx_lt_i32_e64 v12, v37
	s_cbranch_execz .LBB73_50
; %bb.15:
	v_max_i32_e32 v13, v0, v1
	s_cmp_lg_u32 s4, 0
	s_mul_i32 s9, s7, s7
	s_cselect_b32 s3, -1, 0
	s_cmp_gt_i32 s7, 0
	v_cmp_gt_i32_e64 s0, s7, v13
	v_mad_u64_u32 v[13:14], null, s7, v12, v[1:2]
	v_mad_u64_u32 v[14:15], null, s9, v12, v[1:2]
	s_cselect_b32 s8, -1, 0
	v_and_b32_e32 v38, 15, v36
	s_add_u32 s10, s46, 8
	v_cndmask_b32_e64 v39, 0, 1, s8
	s_delay_alu instid0(VALU_DEP_4)
	v_mul_lo_u32 v15, s7, v13
	s_addc_u32 s11, s47, 0
	s_lshl_b32 s13, s9, 2
	s_add_u32 s14, s28, 8
	s_mov_b32 s5, 0
	s_addc_u32 s15, s29, 0
	s_branch .LBB73_17
.LBB73_16:                              ;   in Loop: Header=BB73_17 Depth=1
	s_or_b32 exec_lo, exec_lo, s24
	v_add_nc_u32_e32 v12, 4, v12
	v_add_nc_u32_e32 v14, s13, v14
	;; [unrolled: 1-line block ×3, first 2 shown]
	s_delay_alu instid0(VALU_DEP_3) | instskip(SKIP_1) | instid1(SALU_CYCLE_1)
	v_cmp_ge_i32_e32 vcc_lo, v12, v37
	s_or_b32 s5, vcc_lo, s5
	s_and_not1_b32 exec_lo, exec_lo, s5
	s_cbranch_execz .LBB73_50
.LBB73_17:                              ; =>This Loop Header: Depth=1
                                        ;     Child Loop BB73_20 Depth 2
                                        ;       Child Loop BB73_24 Depth 3
                                        ;       Child Loop BB73_29 Depth 3
	;; [unrolled: 1-line block ×3, first 2 shown]
                                        ;         Child Loop BB73_38 Depth 4
                                        ;         Child Loop BB73_40 Depth 4
	;; [unrolled: 1-line block ×4, first 2 shown]
	v_ashrrev_i32_e32 v13, 31, v12
	s_mov_b32 s24, exec_lo
	s_delay_alu instid0(VALU_DEP_1) | instskip(NEXT) | instid1(VALU_DEP_1)
	v_lshlrev_b64 v[16:17], 2, v[12:13]
	v_add_co_u32 v16, vcc_lo, s26, v16
	s_delay_alu instid0(VALU_DEP_2) | instskip(SKIP_3) | instid1(VALU_DEP_1)
	v_add_co_ci_u32_e32 v17, vcc_lo, s27, v17, vcc_lo
	global_load_b32 v13, v[16:17], off
	s_waitcnt vmcnt(0)
	v_subrev_nc_u32_e32 v16, s36, v13
	v_ashrrev_i32_e32 v17, 31, v16
	s_delay_alu instid0(VALU_DEP_1) | instskip(NEXT) | instid1(VALU_DEP_1)
	v_lshlrev_b64 v[16:17], 2, v[16:17]
	v_add_co_u32 v16, vcc_lo, s30, v16
	s_delay_alu instid0(VALU_DEP_2)
	v_add_co_ci_u32_e32 v17, vcc_lo, s31, v17, vcc_lo
	global_load_b64 v[17:18], v[16:17], off
	s_waitcnt vmcnt(0)
	v_cmpx_lt_i32_e64 v17, v18
	s_cbranch_execz .LBB73_16
; %bb.18:                               ;   in Loop: Header=BB73_17 Depth=1
	v_subrev_nc_u32_e32 v17, s37, v17
	v_ashrrev_i32_e32 v16, 31, v15
	v_subrev_nc_u32_e32 v13, s37, v18
	s_mov_b32 s25, 0
	s_delay_alu instid0(VALU_DEP_3) | instskip(NEXT) | instid1(VALU_DEP_3)
	v_mad_u64_u32 v[21:22], null, s7, v17, v[0:1]
	v_lshlrev_b64 v[22:23], 4, v[15:16]
	v_mad_u64_u32 v[19:20], null, s9, v17, v[0:1]
	s_delay_alu instid0(VALU_DEP_2) | instskip(NEXT) | instid1(VALU_DEP_4)
	v_add_co_u32 v22, vcc_lo, s14, v22
	v_mul_lo_u32 v20, s7, v21
	s_delay_alu instid0(VALU_DEP_4)
	v_add_co_ci_u32_e32 v23, vcc_lo, s15, v23, vcc_lo
	s_branch .LBB73_20
.LBB73_19:                              ;   in Loop: Header=BB73_20 Depth=2
	s_or_b32 exec_lo, exec_lo, s33
	v_add_nc_u32_e32 v17, 1, v17
	s_delay_alu instid0(VALU_DEP_3) | instskip(SKIP_1) | instid1(VALU_DEP_3)
	v_add_nc_u32_e32 v20, s9, v20
	v_add_nc_u32_e32 v19, s9, v19
	v_cmp_ge_i32_e32 vcc_lo, v17, v13
	s_or_b32 s25, vcc_lo, s25
	s_delay_alu instid0(SALU_CYCLE_1)
	s_and_not1_b32 exec_lo, exec_lo, s25
	s_cbranch_execz .LBB73_16
.LBB73_20:                              ;   Parent Loop BB73_17 Depth=1
                                        ; =>  This Loop Header: Depth=2
                                        ;       Child Loop BB73_24 Depth 3
                                        ;       Child Loop BB73_29 Depth 3
	;; [unrolled: 1-line block ×3, first 2 shown]
                                        ;         Child Loop BB73_38 Depth 4
                                        ;         Child Loop BB73_40 Depth 4
	;; [unrolled: 1-line block ×4, first 2 shown]
	s_and_saveexec_b32 s33, s0
	s_cbranch_execz .LBB73_19
; %bb.21:                               ;   in Loop: Header=BB73_20 Depth=2
	v_ashrrev_i32_e32 v18, 31, v17
	v_cmp_ne_u32_e64 s1, 1, v39
	s_delay_alu instid0(VALU_DEP_2) | instskip(NEXT) | instid1(VALU_DEP_1)
	v_lshlrev_b64 v[24:25], 2, v[17:18]
	v_add_co_u32 v24, vcc_lo, s44, v24
	s_delay_alu instid0(VALU_DEP_2)
	v_add_co_ci_u32_e32 v25, vcc_lo, s45, v25, vcc_lo
	s_and_not1_b32 vcc_lo, exec_lo, s3
	global_load_b32 v16, v[24:25], off
	s_cbranch_vccnz .LBB73_26
; %bb.22:                               ;   in Loop: Header=BB73_20 Depth=2
	v_mov_b32_e32 v26, 0
	v_mov_b32_e32 v27, 0
	s_delay_alu instid0(VALU_DEP_2) | instskip(SKIP_1) | instid1(VALU_DEP_2)
	v_mov_b32_e32 v24, v26
	s_and_b32 vcc_lo, exec_lo, s1
	v_mov_b32_e32 v25, v27
	s_cbranch_vccnz .LBB73_25
; %bb.23:                               ;   in Loop: Header=BB73_20 Depth=2
	v_ashrrev_i32_e32 v21, 31, v20
	v_mov_b32_e32 v26, 0
	v_dual_mov_b32 v27, 0 :: v_dual_mov_b32 v28, v14
	s_mov_b32 s1, s7
	s_delay_alu instid0(VALU_DEP_3) | instskip(NEXT) | instid1(VALU_DEP_1)
	v_lshlrev_b64 v[24:25], 4, v[20:21]
	v_add_co_u32 v30, vcc_lo, s10, v24
	s_delay_alu instid0(VALU_DEP_2)
	v_add_co_ci_u32_e32 v31, vcc_lo, s11, v25, vcc_lo
	v_dual_mov_b32 v24, v26 :: v_dual_mov_b32 v25, v27
	.p2align	6
.LBB73_24:                              ;   Parent Loop BB73_17 Depth=1
                                        ;     Parent Loop BB73_20 Depth=2
                                        ; =>    This Inner Loop Header: Depth=3
	v_ashrrev_i32_e32 v29, 31, v28
	s_add_i32 s1, s1, -1
	s_delay_alu instid0(SALU_CYCLE_1) | instskip(NEXT) | instid1(VALU_DEP_1)
	s_cmp_lg_u32 s1, 0
	v_lshlrev_b64 v[40:41], 4, v[28:29]
	v_add_nc_u32_e32 v28, s7, v28
	s_delay_alu instid0(VALU_DEP_2) | instskip(NEXT) | instid1(VALU_DEP_3)
	v_add_co_u32 v44, vcc_lo, s28, v40
	v_add_co_ci_u32_e32 v45, vcc_lo, s29, v41, vcc_lo
	global_load_b128 v[40:43], v[30:31], off offset:-8
	global_load_b128 v[44:47], v[44:45], off
	v_add_co_u32 v30, vcc_lo, v30, 16
	v_add_co_ci_u32_e32 v31, vcc_lo, 0, v31, vcc_lo
	s_waitcnt vmcnt(0)
	v_fma_f64 v[26:27], v[44:45], v[40:41], v[26:27]
	v_fma_f64 v[24:25], v[46:47], v[40:41], v[24:25]
	s_delay_alu instid0(VALU_DEP_2) | instskip(NEXT) | instid1(VALU_DEP_2)
	v_fma_f64 v[26:27], -v[46:47], v[42:43], v[26:27]
	v_fma_f64 v[24:25], v[44:45], v[42:43], v[24:25]
	s_cbranch_scc1 .LBB73_24
.LBB73_25:                              ;   in Loop: Header=BB73_20 Depth=2
	s_cbranch_execz .LBB73_27
	s_branch .LBB73_30
.LBB73_26:                              ;   in Loop: Header=BB73_20 Depth=2
                                        ; implicit-def: $vgpr26_vgpr27
                                        ; implicit-def: $vgpr24_vgpr25
.LBB73_27:                              ;   in Loop: Header=BB73_20 Depth=2
	v_mov_b32_e32 v26, 0
	v_mov_b32_e32 v27, 0
	s_delay_alu instid0(VALU_DEP_2) | instskip(SKIP_1) | instid1(VALU_DEP_2)
	v_mov_b32_e32 v24, v26
	s_and_not1_b32 vcc_lo, exec_lo, s8
	v_mov_b32_e32 v25, v27
	s_cbranch_vccnz .LBB73_30
; %bb.28:                               ;   in Loop: Header=BB73_20 Depth=2
	v_dual_mov_b32 v26, 0 :: v_dual_mov_b32 v29, v23
	v_dual_mov_b32 v27, 0 :: v_dual_mov_b32 v28, v22
	v_mov_b32_e32 v30, v19
	s_delay_alu instid0(VALU_DEP_3) | instskip(SKIP_1) | instid1(VALU_DEP_3)
	v_mov_b32_e32 v24, v26
	s_mov_b32 s1, s7
	v_mov_b32_e32 v25, v27
	.p2align	6
.LBB73_29:                              ;   Parent Loop BB73_17 Depth=1
                                        ;     Parent Loop BB73_20 Depth=2
                                        ; =>    This Inner Loop Header: Depth=3
	s_delay_alu instid0(VALU_DEP_3) | instskip(SKIP_1) | instid1(SALU_CYCLE_1)
	v_ashrrev_i32_e32 v31, 31, v30
	s_add_i32 s1, s1, -1
	s_cmp_eq_u32 s1, 0
	s_delay_alu instid0(VALU_DEP_1) | instskip(SKIP_1) | instid1(VALU_DEP_2)
	v_lshlrev_b64 v[40:41], 4, v[30:31]
	v_add_nc_u32_e32 v30, s7, v30
	v_add_co_u32 v44, vcc_lo, s46, v40
	s_delay_alu instid0(VALU_DEP_3)
	v_add_co_ci_u32_e32 v45, vcc_lo, s47, v41, vcc_lo
	global_load_b128 v[40:43], v[28:29], off offset:-8
	global_load_b128 v[44:47], v[44:45], off
	v_add_co_u32 v28, vcc_lo, v28, 16
	v_add_co_ci_u32_e32 v29, vcc_lo, 0, v29, vcc_lo
	s_waitcnt vmcnt(0)
	v_fma_f64 v[26:27], v[40:41], v[44:45], v[26:27]
	v_fma_f64 v[24:25], v[42:43], v[44:45], v[24:25]
	s_delay_alu instid0(VALU_DEP_2) | instskip(NEXT) | instid1(VALU_DEP_2)
	v_fma_f64 v[26:27], -v[42:43], v[46:47], v[26:27]
	v_fma_f64 v[24:25], v[40:41], v[46:47], v[24:25]
	s_cbranch_scc0 .LBB73_29
.LBB73_30:                              ;   in Loop: Header=BB73_20 Depth=2
	s_delay_alu instid0(VALU_DEP_1) | instskip(SKIP_4) | instid1(VALU_DEP_1)
	v_mul_f64 v[28:29], v[24:25], -v[10:11]
	v_mul_f64 v[30:31], v[8:9], v[24:25]
	s_waitcnt vmcnt(0)
	v_subrev_nc_u32_e32 v16, s37, v16
	s_mov_b32 s1, 0
	v_lshl_add_u32 v18, v16, 3, v16
	s_delay_alu instid0(VALU_DEP_1)
	v_and_b32_e32 v18, 15, v18
	v_fma_f64 v[24:25], v[8:9], v[26:27], v[28:29]
	v_fma_f64 v[26:27], v[10:11], v[26:27], v[30:31]
	s_branch .LBB73_32
.LBB73_31:                              ;   in Loop: Header=BB73_32 Depth=3
	s_or_b32 exec_lo, exec_lo, s34
	s_xor_b32 s34, s35, -1
	s_delay_alu instid0(SALU_CYCLE_1) | instskip(NEXT) | instid1(SALU_CYCLE_1)
	s_and_b32 s34, exec_lo, s34
	s_or_b32 s1, s34, s1
	s_delay_alu instid0(SALU_CYCLE_1)
	s_and_not1_b32 exec_lo, exec_lo, s1
	s_cbranch_execz .LBB73_19
.LBB73_32:                              ;   Parent Loop BB73_17 Depth=1
                                        ;     Parent Loop BB73_20 Depth=2
                                        ; =>    This Loop Header: Depth=3
                                        ;         Child Loop BB73_38 Depth 4
                                        ;         Child Loop BB73_40 Depth 4
                                        ;         Child Loop BB73_46 Depth 4
                                        ;         Child Loop BB73_48 Depth 4
	s_delay_alu instid0(VALU_DEP_3)
	v_lshl_add_u32 v21, v18, 2, v32
	s_mov_b32 s34, exec_lo
                                        ; implicit-def: $sgpr35
	ds_load_b32 v28, v21
	s_waitcnt lgkmcnt(0)
	v_cmpx_ne_u32_e64 v28, v16
	s_xor_b32 s34, exec_lo, s34
	s_cbranch_execz .LBB73_44
; %bb.33:                               ;   in Loop: Header=BB73_32 Depth=3
	s_mov_b32 s48, exec_lo
                                        ; implicit-def: $sgpr35
	v_cmpx_ne_u32_e64 s6, v28
	s_xor_b32 s48, exec_lo, s48
; %bb.34:                               ;   in Loop: Header=BB73_32 Depth=3
	v_add_nc_u32_e32 v18, 1, v18
	s_mov_b32 s35, -1
                                        ; implicit-def: $vgpr21
	s_delay_alu instid0(VALU_DEP_1)
	v_and_b32_e32 v18, 15, v18
; %bb.35:                               ;   in Loop: Header=BB73_32 Depth=3
	s_and_not1_saveexec_b32 s48, s48
	s_cbranch_execz .LBB73_43
; %bb.36:                               ;   in Loop: Header=BB73_32 Depth=3
	v_mov_b32_e32 v28, s6
	s_mov_b32 s50, -1
	s_mov_b32 s49, exec_lo
	ds_cmpstore_rtn_b32 v21, v21, v16, v28
	s_waitcnt lgkmcnt(0)
	v_cmpx_eq_u32_e64 s6, v21
	s_cbranch_execz .LBB73_42
; %bb.37:                               ;   in Loop: Header=BB73_32 Depth=3
	v_lshlrev_b32_e32 v21, 4, v38
	s_mov_b32 s50, 0
	s_delay_alu instid0(VALU_DEP_1) | instskip(NEXT) | instid1(VALU_DEP_1)
	v_lshl_or_b32 v21, v18, 8, v21
	v_add_nc_u32_e32 v21, v34, v21
	ds_load_b64 v[28:29], v21
.LBB73_38:                              ;   Parent Loop BB73_17 Depth=1
                                        ;     Parent Loop BB73_20 Depth=2
                                        ;       Parent Loop BB73_32 Depth=3
                                        ; =>      This Inner Loop Header: Depth=4
	s_waitcnt lgkmcnt(0)
	v_add_f64 v[30:31], v[28:29], v[24:25]
	ds_cmpstore_rtn_b64 v[30:31], v21, v[30:31], v[28:29]
	s_waitcnt lgkmcnt(0)
	v_cmp_eq_u64_e32 vcc_lo, v[30:31], v[28:29]
	v_dual_mov_b32 v28, v30 :: v_dual_mov_b32 v29, v31
	s_or_b32 s50, vcc_lo, s50
	s_delay_alu instid0(SALU_CYCLE_1)
	s_and_not1_b32 exec_lo, exec_lo, s50
	s_cbranch_execnz .LBB73_38
; %bb.39:                               ;   in Loop: Header=BB73_32 Depth=3
	s_or_b32 exec_lo, exec_lo, s50
	ds_load_b64 v[28:29], v21 offset:8
	s_mov_b32 s50, 0
.LBB73_40:                              ;   Parent Loop BB73_17 Depth=1
                                        ;     Parent Loop BB73_20 Depth=2
                                        ;       Parent Loop BB73_32 Depth=3
                                        ; =>      This Inner Loop Header: Depth=4
	s_waitcnt lgkmcnt(0)
	v_add_f64 v[30:31], v[28:29], v[26:27]
	ds_cmpstore_rtn_b64 v[30:31], v21, v[30:31], v[28:29] offset:8
	s_waitcnt lgkmcnt(0)
	v_cmp_eq_u64_e32 vcc_lo, v[30:31], v[28:29]
	v_dual_mov_b32 v28, v30 :: v_dual_mov_b32 v29, v31
	s_or_b32 s50, vcc_lo, s50
	s_delay_alu instid0(SALU_CYCLE_1)
	s_and_not1_b32 exec_lo, exec_lo, s50
	s_cbranch_execnz .LBB73_40
; %bb.41:                               ;   in Loop: Header=BB73_32 Depth=3
	s_or_b32 exec_lo, exec_lo, s50
	s_delay_alu instid0(SALU_CYCLE_1)
	s_xor_b32 s50, exec_lo, -1
.LBB73_42:                              ;   in Loop: Header=BB73_32 Depth=3
	s_or_b32 exec_lo, exec_lo, s49
	s_delay_alu instid0(SALU_CYCLE_1) | instskip(SKIP_1) | instid1(SALU_CYCLE_1)
	s_and_not1_b32 s35, s35, exec_lo
	s_and_b32 s49, s50, exec_lo
	s_or_b32 s35, s35, s49
.LBB73_43:                              ;   in Loop: Header=BB73_32 Depth=3
	s_or_b32 exec_lo, exec_lo, s48
	s_delay_alu instid0(SALU_CYCLE_1)
	s_and_b32 s35, s35, exec_lo
.LBB73_44:                              ;   in Loop: Header=BB73_32 Depth=3
	s_and_not1_saveexec_b32 s34, s34
	s_cbranch_execz .LBB73_31
; %bb.45:                               ;   in Loop: Header=BB73_32 Depth=3
	v_lshlrev_b32_e32 v21, 4, v38
	s_mov_b32 s48, 0
	s_delay_alu instid0(VALU_DEP_1) | instskip(NEXT) | instid1(VALU_DEP_1)
	v_lshl_or_b32 v21, v18, 8, v21
	v_add_nc_u32_e32 v21, v34, v21
	ds_load_b64 v[28:29], v21
.LBB73_46:                              ;   Parent Loop BB73_17 Depth=1
                                        ;     Parent Loop BB73_20 Depth=2
                                        ;       Parent Loop BB73_32 Depth=3
                                        ; =>      This Inner Loop Header: Depth=4
	s_waitcnt lgkmcnt(0)
	v_add_f64 v[30:31], v[28:29], v[24:25]
	ds_cmpstore_rtn_b64 v[30:31], v21, v[30:31], v[28:29]
	s_waitcnt lgkmcnt(0)
	v_cmp_eq_u64_e32 vcc_lo, v[30:31], v[28:29]
	v_dual_mov_b32 v28, v30 :: v_dual_mov_b32 v29, v31
	s_or_b32 s48, vcc_lo, s48
	s_delay_alu instid0(SALU_CYCLE_1)
	s_and_not1_b32 exec_lo, exec_lo, s48
	s_cbranch_execnz .LBB73_46
; %bb.47:                               ;   in Loop: Header=BB73_32 Depth=3
	s_or_b32 exec_lo, exec_lo, s48
	ds_load_b64 v[28:29], v21 offset:8
	s_mov_b32 s48, 0
.LBB73_48:                              ;   Parent Loop BB73_17 Depth=1
                                        ;     Parent Loop BB73_20 Depth=2
                                        ;       Parent Loop BB73_32 Depth=3
                                        ; =>      This Inner Loop Header: Depth=4
	s_waitcnt lgkmcnt(0)
	v_add_f64 v[30:31], v[28:29], v[26:27]
	ds_cmpstore_rtn_b64 v[30:31], v21, v[30:31], v[28:29] offset:8
	s_waitcnt lgkmcnt(0)
	v_cmp_eq_u64_e32 vcc_lo, v[30:31], v[28:29]
	v_dual_mov_b32 v28, v30 :: v_dual_mov_b32 v29, v31
	s_or_b32 s48, vcc_lo, s48
	s_delay_alu instid0(SALU_CYCLE_1)
	s_and_not1_b32 exec_lo, exec_lo, s48
	s_cbranch_execnz .LBB73_48
; %bb.49:                               ;   in Loop: Header=BB73_32 Depth=3
	s_or_b32 exec_lo, exec_lo, s48
	s_delay_alu instid0(SALU_CYCLE_1)
	s_and_not1_b32 s35, s35, exec_lo
	s_branch .LBB73_31
.LBB73_50:
	s_or_b32 exec_lo, exec_lo, s2
.LBB73_51:
	s_delay_alu instid0(SALU_CYCLE_1)
	s_and_not1_b32 vcc_lo, exec_lo, s12
	s_barrier
	buffer_gl0_inv
	s_cbranch_vccnz .LBB73_77
; %bb.52:
	v_add_co_u32 v8, vcc_lo, s16, v2
	v_add_co_ci_u32_e32 v9, vcc_lo, s17, v3, vcc_lo
	v_subrev_nc_u32_e32 v10, s39, v35
	s_mov_b32 s1, exec_lo
	global_load_b64 v[8:9], v[8:9], off
	s_waitcnt vmcnt(0)
	v_subrev_nc_u32_e32 v18, s39, v9
	v_add_nc_u32_e32 v8, v8, v10
	s_delay_alu instid0(VALU_DEP_1)
	v_cmpx_lt_i32_e64 v8, v18
	s_cbranch_execz .LBB73_76
; %bb.53:
	v_max_i32_e32 v9, v0, v1
	v_and_b32_e32 v12, 15, v36
	s_cmp_eq_u32 s4, 0
	s_mov_b32 s2, 0
	s_cselect_b32 s0, -1, 0
	v_cmp_gt_i32_e32 vcc_lo, s7, v9
	v_cndmask_b32_e64 v10, v0, v1, s0
	v_cndmask_b32_e64 v11, v1, v0, s0
	v_lshlrev_b32_e32 v19, 4, v12
	s_branch .LBB73_55
.LBB73_54:                              ;   in Loop: Header=BB73_55 Depth=1
	s_or_b32 exec_lo, exec_lo, s3
	v_add_nc_u32_e32 v8, 4, v8
	s_delay_alu instid0(VALU_DEP_1) | instskip(NEXT) | instid1(VALU_DEP_1)
	v_cmp_ge_i32_e64 s0, v8, v18
	s_or_b32 s2, s0, s2
	s_delay_alu instid0(SALU_CYCLE_1)
	s_and_not1_b32 exec_lo, exec_lo, s2
	s_cbranch_execz .LBB73_76
.LBB73_55:                              ; =>This Loop Header: Depth=1
                                        ;     Child Loop BB73_58 Depth 2
                                        ;       Child Loop BB73_64 Depth 3
                                        ;       Child Loop BB73_66 Depth 3
	;; [unrolled: 1-line block ×4, first 2 shown]
	s_and_saveexec_b32 s3, vcc_lo
	s_cbranch_execz .LBB73_54
; %bb.56:                               ;   in Loop: Header=BB73_55 Depth=1
	v_mad_u64_u32 v[12:13], null, v8, s7, v[10:11]
	v_ashrrev_i32_e32 v9, 31, v8
	s_mov_b32 s5, 0
	s_delay_alu instid0(VALU_DEP_2) | instskip(NEXT) | instid1(VALU_DEP_1)
	v_mad_u64_u32 v[13:14], null, v12, s7, v[11:12]
	v_ashrrev_i32_e32 v14, 31, v13
	s_delay_alu instid0(VALU_DEP_1) | instskip(NEXT) | instid1(VALU_DEP_1)
	v_lshlrev_b64 v[12:13], 4, v[13:14]
	v_add_co_u32 v12, s0, s20, v12
	s_delay_alu instid0(VALU_DEP_1) | instskip(SKIP_2) | instid1(VALU_DEP_1)
	v_add_co_ci_u32_e64 v13, s0, s21, v13, s0
	global_load_b128 v[14:17], v[12:13], off
	v_lshlrev_b64 v[12:13], 2, v[8:9]
	v_add_co_u32 v12, s0, s18, v12
	s_delay_alu instid0(VALU_DEP_1)
	v_add_co_ci_u32_e64 v13, s0, s19, v13, s0
	global_load_b32 v9, v[12:13], off
	s_waitcnt vmcnt(1)
	v_mul_f64 v[12:13], v[16:17], -v[4:5]
	v_mul_f64 v[16:17], v[6:7], v[16:17]
	s_waitcnt vmcnt(0)
	v_subrev_nc_u32_e32 v9, s39, v9
	s_delay_alu instid0(VALU_DEP_3) | instskip(NEXT) | instid1(VALU_DEP_3)
	v_fma_f64 v[12:13], v[6:7], v[14:15], v[12:13]
	v_fma_f64 v[14:15], v[4:5], v[14:15], v[16:17]
	s_delay_alu instid0(VALU_DEP_3) | instskip(NEXT) | instid1(VALU_DEP_1)
	v_lshl_add_u32 v16, v9, 3, v9
	v_and_b32_e32 v20, 15, v16
	s_branch .LBB73_58
.LBB73_57:                              ;   in Loop: Header=BB73_58 Depth=2
	s_or_b32 exec_lo, exec_lo, s8
	s_xor_b32 s0, s9, -1
	s_delay_alu instid0(SALU_CYCLE_1) | instskip(NEXT) | instid1(SALU_CYCLE_1)
	s_and_b32 s0, exec_lo, s0
	s_or_b32 s5, s0, s5
	s_delay_alu instid0(SALU_CYCLE_1)
	s_and_not1_b32 exec_lo, exec_lo, s5
	s_cbranch_execz .LBB73_54
.LBB73_58:                              ;   Parent Loop BB73_55 Depth=1
                                        ; =>  This Loop Header: Depth=2
                                        ;       Child Loop BB73_64 Depth 3
                                        ;       Child Loop BB73_66 Depth 3
	;; [unrolled: 1-line block ×4, first 2 shown]
	s_delay_alu instid0(VALU_DEP_1)
	v_lshl_add_u32 v16, v20, 2, v32
	s_mov_b32 s8, exec_lo
                                        ; implicit-def: $sgpr9
	ds_load_b32 v17, v16
	s_waitcnt lgkmcnt(0)
	v_cmpx_ne_u32_e64 v17, v9
	s_xor_b32 s8, exec_lo, s8
	s_cbranch_execz .LBB73_70
; %bb.59:                               ;   in Loop: Header=BB73_58 Depth=2
	v_cmp_ne_u32_e64 s0, s6, v17
                                        ; implicit-def: $sgpr9
	s_delay_alu instid0(VALU_DEP_1) | instskip(NEXT) | instid1(SALU_CYCLE_1)
	s_and_saveexec_b32 s10, s0
	s_xor_b32 s0, exec_lo, s10
; %bb.60:                               ;   in Loop: Header=BB73_58 Depth=2
	v_add_nc_u32_e32 v16, 1, v20
	s_mov_b32 s9, -1
	s_delay_alu instid0(VALU_DEP_1)
	v_and_b32_e32 v20, 15, v16
                                        ; implicit-def: $vgpr16
; %bb.61:                               ;   in Loop: Header=BB73_58 Depth=2
	s_and_not1_saveexec_b32 s10, s0
	s_cbranch_execz .LBB73_69
; %bb.62:                               ;   in Loop: Header=BB73_58 Depth=2
	v_mov_b32_e32 v17, s6
	s_mov_b32 s12, -1
	s_mov_b32 s11, exec_lo
	ds_cmpstore_rtn_b32 v16, v16, v9, v17
	s_waitcnt lgkmcnt(0)
	v_cmpx_eq_u32_e64 s6, v16
	s_cbranch_execz .LBB73_68
; %bb.63:                               ;   in Loop: Header=BB73_58 Depth=2
	v_lshl_or_b32 v16, v20, 8, v19
	s_mov_b32 s12, 0
	s_delay_alu instid0(VALU_DEP_1)
	v_add_nc_u32_e32 v21, v34, v16
	ds_load_b64 v[16:17], v21
.LBB73_64:                              ;   Parent Loop BB73_55 Depth=1
                                        ;     Parent Loop BB73_58 Depth=2
                                        ; =>    This Inner Loop Header: Depth=3
	s_waitcnt lgkmcnt(0)
	v_add_f64 v[22:23], v[16:17], v[12:13]
	ds_cmpstore_rtn_b64 v[22:23], v21, v[22:23], v[16:17]
	s_waitcnt lgkmcnt(0)
	v_cmp_eq_u64_e64 s0, v[22:23], v[16:17]
	v_dual_mov_b32 v16, v22 :: v_dual_mov_b32 v17, v23
	s_delay_alu instid0(VALU_DEP_2) | instskip(NEXT) | instid1(SALU_CYCLE_1)
	s_or_b32 s12, s0, s12
	s_and_not1_b32 exec_lo, exec_lo, s12
	s_cbranch_execnz .LBB73_64
; %bb.65:                               ;   in Loop: Header=BB73_58 Depth=2
	s_or_b32 exec_lo, exec_lo, s12
	ds_load_b64 v[16:17], v21 offset:8
	s_mov_b32 s12, 0
.LBB73_66:                              ;   Parent Loop BB73_55 Depth=1
                                        ;     Parent Loop BB73_58 Depth=2
                                        ; =>    This Inner Loop Header: Depth=3
	s_waitcnt lgkmcnt(0)
	v_add_f64 v[22:23], v[16:17], v[14:15]
	ds_cmpstore_rtn_b64 v[22:23], v21, v[22:23], v[16:17] offset:8
	s_waitcnt lgkmcnt(0)
	v_cmp_eq_u64_e64 s0, v[22:23], v[16:17]
	v_dual_mov_b32 v16, v22 :: v_dual_mov_b32 v17, v23
	s_delay_alu instid0(VALU_DEP_2) | instskip(NEXT) | instid1(SALU_CYCLE_1)
	s_or_b32 s12, s0, s12
	s_and_not1_b32 exec_lo, exec_lo, s12
	s_cbranch_execnz .LBB73_66
; %bb.67:                               ;   in Loop: Header=BB73_58 Depth=2
	s_or_b32 exec_lo, exec_lo, s12
	s_delay_alu instid0(SALU_CYCLE_1)
	s_xor_b32 s12, exec_lo, -1
.LBB73_68:                              ;   in Loop: Header=BB73_58 Depth=2
	s_or_b32 exec_lo, exec_lo, s11
	s_delay_alu instid0(SALU_CYCLE_1) | instskip(SKIP_1) | instid1(SALU_CYCLE_1)
	s_and_not1_b32 s0, s9, exec_lo
	s_and_b32 s9, s12, exec_lo
	s_or_b32 s9, s0, s9
.LBB73_69:                              ;   in Loop: Header=BB73_58 Depth=2
	s_or_b32 exec_lo, exec_lo, s10
	s_delay_alu instid0(SALU_CYCLE_1)
	s_and_b32 s9, s9, exec_lo
.LBB73_70:                              ;   in Loop: Header=BB73_58 Depth=2
	s_and_not1_saveexec_b32 s8, s8
	s_cbranch_execz .LBB73_57
; %bb.71:                               ;   in Loop: Header=BB73_58 Depth=2
	v_lshl_or_b32 v16, v20, 8, v19
	s_mov_b32 s10, 0
	s_delay_alu instid0(VALU_DEP_1)
	v_add_nc_u32_e32 v21, v34, v16
	ds_load_b64 v[16:17], v21
.LBB73_72:                              ;   Parent Loop BB73_55 Depth=1
                                        ;     Parent Loop BB73_58 Depth=2
                                        ; =>    This Inner Loop Header: Depth=3
	s_waitcnt lgkmcnt(0)
	v_add_f64 v[22:23], v[16:17], v[12:13]
	ds_cmpstore_rtn_b64 v[22:23], v21, v[22:23], v[16:17]
	s_waitcnt lgkmcnt(0)
	v_cmp_eq_u64_e64 s0, v[22:23], v[16:17]
	v_dual_mov_b32 v16, v22 :: v_dual_mov_b32 v17, v23
	s_delay_alu instid0(VALU_DEP_2) | instskip(NEXT) | instid1(SALU_CYCLE_1)
	s_or_b32 s10, s0, s10
	s_and_not1_b32 exec_lo, exec_lo, s10
	s_cbranch_execnz .LBB73_72
; %bb.73:                               ;   in Loop: Header=BB73_58 Depth=2
	s_or_b32 exec_lo, exec_lo, s10
	ds_load_b64 v[16:17], v21 offset:8
	s_mov_b32 s10, 0
.LBB73_74:                              ;   Parent Loop BB73_55 Depth=1
                                        ;     Parent Loop BB73_58 Depth=2
                                        ; =>    This Inner Loop Header: Depth=3
	s_waitcnt lgkmcnt(0)
	v_add_f64 v[22:23], v[16:17], v[14:15]
	ds_cmpstore_rtn_b64 v[22:23], v21, v[22:23], v[16:17] offset:8
	s_waitcnt lgkmcnt(0)
	v_cmp_eq_u64_e64 s0, v[22:23], v[16:17]
	v_dual_mov_b32 v16, v22 :: v_dual_mov_b32 v17, v23
	s_delay_alu instid0(VALU_DEP_2) | instskip(NEXT) | instid1(SALU_CYCLE_1)
	s_or_b32 s10, s0, s10
	s_and_not1_b32 exec_lo, exec_lo, s10
	s_cbranch_execnz .LBB73_74
; %bb.75:                               ;   in Loop: Header=BB73_58 Depth=2
	s_or_b32 exec_lo, exec_lo, s10
	s_delay_alu instid0(SALU_CYCLE_1)
	s_and_not1_b32 s9, s9, exec_lo
	s_branch .LBB73_57
.LBB73_76:
	s_or_b32 exec_lo, exec_lo, s1
.LBB73_77:
	v_add_co_u32 v2, vcc_lo, s22, v2
	v_add_co_ci_u32_e32 v3, vcc_lo, s23, v3, vcc_lo
	s_barrier
	buffer_gl0_inv
	global_load_b32 v2, v[2:3], off
	s_cmp_eq_u32 s4, 0
	v_max_i32_e32 v5, v0, v1
	s_cselect_b32 vcc_lo, -1, 0
	v_lshlrev_b32_e32 v7, 6, v33
	v_dual_cndmask_b32 v3, v0, v1 :: v_dual_cndmask_b32 v4, v1, v0
	v_lshlrev_b32_e32 v8, 2, v35
	v_cmp_gt_i32_e32 vcc_lo, s7, v5
	s_mov_b32 s1, 0
	s_delay_alu instid0(VALU_DEP_3) | instskip(NEXT) | instid1(VALU_DEP_3)
	v_lshlrev_b32_e32 v4, 4, v4
	v_or3_b32 v7, v7, v8, 0x4000
	s_delay_alu instid0(VALU_DEP_2) | instskip(NEXT) | instid1(VALU_DEP_1)
	v_lshl_or_b32 v4, v35, 8, v4
	v_lshl_or_b32 v3, v3, 6, v4
	v_or_b32_e32 v4, -4, v35
	s_delay_alu instid0(VALU_DEP_2)
	v_add_nc_u32_e32 v5, v34, v3
	s_waitcnt vmcnt(0)
	v_subrev_nc_u32_e32 v6, s38, v2
	s_branch .LBB73_79
.LBB73_78:                              ;   in Loop: Header=BB73_79 Depth=1
	s_or_b32 exec_lo, exec_lo, s2
	v_add_nc_u32_e32 v4, 4, v4
	v_add_nc_u32_e32 v5, 0x400, v5
	;; [unrolled: 1-line block ×3, first 2 shown]
	s_delay_alu instid0(VALU_DEP_3) | instskip(NEXT) | instid1(VALU_DEP_1)
	v_cmp_lt_u32_e64 s0, 11, v4
	s_or_b32 s1, s0, s1
	s_delay_alu instid0(SALU_CYCLE_1)
	s_and_not1_b32 exec_lo, exec_lo, s1
	s_cbranch_execz .LBB73_82
.LBB73_79:                              ; =>This Inner Loop Header: Depth=1
	ds_load_b32 v8, v7
	s_mov_b32 s2, exec_lo
	s_waitcnt lgkmcnt(0)
	v_cmpx_gt_i32_e64 s6, v8
	s_cbranch_execz .LBB73_78
; %bb.80:                               ;   in Loop: Header=BB73_79 Depth=1
	ds_load_b128 v[9:12], v32
	ds_load_b128 v[13:16], v32 offset:16
	ds_load_b128 v[17:20], v32 offset:32
	;; [unrolled: 1-line block ×3, first 2 shown]
	s_waitcnt lgkmcnt(3)
	v_cmp_gt_i32_e64 s0, v8, v9
	s_delay_alu instid0(VALU_DEP_1) | instskip(SKIP_1) | instid1(VALU_DEP_1)
	v_cndmask_b32_e64 v2, 0, 1, s0
	v_cmp_gt_i32_e64 s0, v8, v11
	v_cndmask_b32_e64 v3, 0, 1, s0
	v_cmp_gt_i32_e64 s0, v8, v10
	s_delay_alu instid0(VALU_DEP_1) | instskip(SKIP_2) | instid1(VALU_DEP_1)
	v_add_co_ci_u32_e64 v2, s0, v6, v2, s0
	s_waitcnt lgkmcnt(2)
	v_cmp_gt_i32_e64 s0, v8, v13
	v_cndmask_b32_e64 v9, 0, 1, s0
	v_cmp_gt_i32_e64 s0, v8, v12
	s_delay_alu instid0(VALU_DEP_1) | instskip(SKIP_1) | instid1(VALU_DEP_1)
	v_add_co_ci_u32_e64 v2, s0, v2, v3, s0
	v_cmp_gt_i32_e64 s0, v8, v15
	v_cndmask_b32_e64 v3, 0, 1, s0
	v_cmp_gt_i32_e64 s0, v8, v14
	s_delay_alu instid0(VALU_DEP_1) | instskip(SKIP_2) | instid1(VALU_DEP_1)
	v_add_co_ci_u32_e64 v2, s0, v2, v9, s0
	s_waitcnt lgkmcnt(1)
	v_cmp_gt_i32_e64 s0, v8, v17
	v_cndmask_b32_e64 v9, 0, 1, s0
	v_cmp_gt_i32_e64 s0, v8, v16
	s_delay_alu instid0(VALU_DEP_1) | instskip(SKIP_1) | instid1(VALU_DEP_1)
	v_add_co_ci_u32_e64 v2, s0, v2, v3, s0
	v_cmp_gt_i32_e64 s0, v8, v19
	v_cndmask_b32_e64 v3, 0, 1, s0
	v_cmp_gt_i32_e64 s0, v8, v18
	s_delay_alu instid0(VALU_DEP_1) | instskip(SKIP_2) | instid1(VALU_DEP_1)
	v_add_co_ci_u32_e64 v2, s0, v2, v9, s0
	s_waitcnt lgkmcnt(0)
	v_cmp_gt_i32_e64 s0, v8, v21
	v_cndmask_b32_e64 v9, 0, 1, s0
	v_cmp_gt_i32_e64 s0, v8, v20
	s_delay_alu instid0(VALU_DEP_1) | instskip(SKIP_1) | instid1(VALU_DEP_1)
	v_add_co_ci_u32_e64 v2, s0, v2, v3, s0
	v_cmp_gt_i32_e64 s0, v8, v23
	v_cndmask_b32_e64 v3, 0, 1, s0
	v_cmp_gt_i32_e64 s0, v8, v22
	s_delay_alu instid0(VALU_DEP_1) | instskip(SKIP_1) | instid1(VALU_DEP_1)
	v_add_co_ci_u32_e64 v2, s0, v2, v9, s0
	v_cmp_gt_i32_e64 s0, v8, v24
	v_add_co_ci_u32_e64 v2, s0, v2, v3, s0
	s_delay_alu instid0(VALU_DEP_1) | instskip(NEXT) | instid1(VALU_DEP_1)
	v_ashrrev_i32_e32 v3, 31, v2
	v_lshlrev_b64 v[9:10], 2, v[2:3]
	v_add_nc_u32_e32 v3, s38, v8
	s_delay_alu instid0(VALU_DEP_2) | instskip(NEXT) | instid1(VALU_DEP_1)
	v_add_co_u32 v8, s0, s40, v9
	v_add_co_ci_u32_e64 v9, s0, s41, v10, s0
	global_store_b32 v[8:9], v3, off
	s_and_b32 exec_lo, exec_lo, vcc_lo
	s_cbranch_execz .LBB73_78
; %bb.81:                               ;   in Loop: Header=BB73_79 Depth=1
	v_mad_u64_u32 v[8:9], null, v2, s7, v[1:2]
	s_delay_alu instid0(VALU_DEP_1) | instskip(SKIP_2) | instid1(VALU_DEP_1)
	v_mad_u64_u32 v[2:3], null, v8, s7, v[0:1]
	ds_load_2addr_b64 v[8:11], v5 offset1:1
	v_ashrrev_i32_e32 v3, 31, v2
	v_lshlrev_b64 v[2:3], 4, v[2:3]
	s_delay_alu instid0(VALU_DEP_1) | instskip(NEXT) | instid1(VALU_DEP_1)
	v_add_co_u32 v2, s0, s42, v2
	v_add_co_ci_u32_e64 v3, s0, s43, v3, s0
	s_waitcnt lgkmcnt(0)
	global_store_b128 v[2:3], v[8:11], off
	s_branch .LBB73_78
.LBB73_82:
	s_nop 0
	s_sendmsg sendmsg(MSG_DEALLOC_VGPRS)
	s_endpgm
	.section	.rodata,"a",@progbits
	.p2align	6, 0x0
	.amdhsa_kernel _ZN9rocsparseL23bsrgemm_fill_wf_per_rowILj256ELj64ELj16ELj137ELj4Eii21rocsparse_complex_numIdEEEv20rocsparse_direction_T5_S4_S4_PKS4_S6_NS_24const_host_device_scalarIT6_EEPKT4_S6_PKS8_SC_S6_SE_S9_SC_S6_SE_SC_PS4_PS8_21rocsparse_index_base_SH_SH_SH_bbb
		.amdhsa_group_segment_fixed_size 18688
		.amdhsa_private_segment_fixed_size 16
		.amdhsa_kernarg_size 180
		.amdhsa_user_sgpr_count 15
		.amdhsa_user_sgpr_dispatch_ptr 1
		.amdhsa_user_sgpr_queue_ptr 0
		.amdhsa_user_sgpr_kernarg_segment_ptr 1
		.amdhsa_user_sgpr_dispatch_id 0
		.amdhsa_user_sgpr_private_segment_size 0
		.amdhsa_wavefront_size32 1
		.amdhsa_uses_dynamic_stack 0
		.amdhsa_enable_private_segment 1
		.amdhsa_system_sgpr_workgroup_id_x 1
		.amdhsa_system_sgpr_workgroup_id_y 0
		.amdhsa_system_sgpr_workgroup_id_z 0
		.amdhsa_system_sgpr_workgroup_info 0
		.amdhsa_system_vgpr_workitem_id 2
		.amdhsa_next_free_vgpr 48
		.amdhsa_next_free_sgpr 51
		.amdhsa_reserve_vcc 1
		.amdhsa_float_round_mode_32 0
		.amdhsa_float_round_mode_16_64 0
		.amdhsa_float_denorm_mode_32 3
		.amdhsa_float_denorm_mode_16_64 3
		.amdhsa_dx10_clamp 1
		.amdhsa_ieee_mode 1
		.amdhsa_fp16_overflow 0
		.amdhsa_workgroup_processor_mode 1
		.amdhsa_memory_ordered 1
		.amdhsa_forward_progress 0
		.amdhsa_shared_vgpr_count 0
		.amdhsa_exception_fp_ieee_invalid_op 0
		.amdhsa_exception_fp_denorm_src 0
		.amdhsa_exception_fp_ieee_div_zero 0
		.amdhsa_exception_fp_ieee_overflow 0
		.amdhsa_exception_fp_ieee_underflow 0
		.amdhsa_exception_fp_ieee_inexact 0
		.amdhsa_exception_int_div_zero 0
	.end_amdhsa_kernel
	.section	.text._ZN9rocsparseL23bsrgemm_fill_wf_per_rowILj256ELj64ELj16ELj137ELj4Eii21rocsparse_complex_numIdEEEv20rocsparse_direction_T5_S4_S4_PKS4_S6_NS_24const_host_device_scalarIT6_EEPKT4_S6_PKS8_SC_S6_SE_S9_SC_S6_SE_SC_PS4_PS8_21rocsparse_index_base_SH_SH_SH_bbb,"axG",@progbits,_ZN9rocsparseL23bsrgemm_fill_wf_per_rowILj256ELj64ELj16ELj137ELj4Eii21rocsparse_complex_numIdEEEv20rocsparse_direction_T5_S4_S4_PKS4_S6_NS_24const_host_device_scalarIT6_EEPKT4_S6_PKS8_SC_S6_SE_S9_SC_S6_SE_SC_PS4_PS8_21rocsparse_index_base_SH_SH_SH_bbb,comdat
.Lfunc_end73:
	.size	_ZN9rocsparseL23bsrgemm_fill_wf_per_rowILj256ELj64ELj16ELj137ELj4Eii21rocsparse_complex_numIdEEEv20rocsparse_direction_T5_S4_S4_PKS4_S6_NS_24const_host_device_scalarIT6_EEPKT4_S6_PKS8_SC_S6_SE_S9_SC_S6_SE_SC_PS4_PS8_21rocsparse_index_base_SH_SH_SH_bbb, .Lfunc_end73-_ZN9rocsparseL23bsrgemm_fill_wf_per_rowILj256ELj64ELj16ELj137ELj4Eii21rocsparse_complex_numIdEEEv20rocsparse_direction_T5_S4_S4_PKS4_S6_NS_24const_host_device_scalarIT6_EEPKT4_S6_PKS8_SC_S6_SE_S9_SC_S6_SE_SC_PS4_PS8_21rocsparse_index_base_SH_SH_SH_bbb
                                        ; -- End function
	.section	.AMDGPU.csdata,"",@progbits
; Kernel info:
; codeLenInByte = 3800
; NumSgprs: 53
; NumVgprs: 48
; ScratchSize: 16
; MemoryBound: 0
; FloatMode: 240
; IeeeMode: 1
; LDSByteSize: 18688 bytes/workgroup (compile time only)
; SGPRBlocks: 6
; VGPRBlocks: 5
; NumSGPRsForWavesPerEU: 53
; NumVGPRsForWavesPerEU: 48
; Occupancy: 14
; WaveLimiterHint : 1
; COMPUTE_PGM_RSRC2:SCRATCH_EN: 1
; COMPUTE_PGM_RSRC2:USER_SGPR: 15
; COMPUTE_PGM_RSRC2:TRAP_HANDLER: 0
; COMPUTE_PGM_RSRC2:TGID_X_EN: 1
; COMPUTE_PGM_RSRC2:TGID_Y_EN: 0
; COMPUTE_PGM_RSRC2:TGID_Z_EN: 0
; COMPUTE_PGM_RSRC2:TIDIG_COMP_CNT: 2
	.section	.text._ZN9rocsparseL38bsrgemm_block_per_row_atomic_multipassILj256ELj32ELj4Eii21rocsparse_complex_numIdEEEv20rocsparse_direction_T3_S4_PKS4_S6_NS_24const_host_device_scalarIT4_EEPKT2_S6_PKS8_SC_S6_SE_S9_SC_S6_SE_SC_PS4_PS8_PSA_21rocsparse_index_base_SI_SI_SI_bbb,"axG",@progbits,_ZN9rocsparseL38bsrgemm_block_per_row_atomic_multipassILj256ELj32ELj4Eii21rocsparse_complex_numIdEEEv20rocsparse_direction_T3_S4_PKS4_S6_NS_24const_host_device_scalarIT4_EEPKT2_S6_PKS8_SC_S6_SE_S9_SC_S6_SE_SC_PS4_PS8_PSA_21rocsparse_index_base_SI_SI_SI_bbb,comdat
	.globl	_ZN9rocsparseL38bsrgemm_block_per_row_atomic_multipassILj256ELj32ELj4Eii21rocsparse_complex_numIdEEEv20rocsparse_direction_T3_S4_PKS4_S6_NS_24const_host_device_scalarIT4_EEPKT2_S6_PKS8_SC_S6_SE_S9_SC_S6_SE_SC_PS4_PS8_PSA_21rocsparse_index_base_SI_SI_SI_bbb ; -- Begin function _ZN9rocsparseL38bsrgemm_block_per_row_atomic_multipassILj256ELj32ELj4Eii21rocsparse_complex_numIdEEEv20rocsparse_direction_T3_S4_PKS4_S6_NS_24const_host_device_scalarIT4_EEPKT2_S6_PKS8_SC_S6_SE_S9_SC_S6_SE_SC_PS4_PS8_PSA_21rocsparse_index_base_SI_SI_SI_bbb
	.p2align	8
	.type	_ZN9rocsparseL38bsrgemm_block_per_row_atomic_multipassILj256ELj32ELj4Eii21rocsparse_complex_numIdEEEv20rocsparse_direction_T3_S4_PKS4_S6_NS_24const_host_device_scalarIT4_EEPKT2_S6_PKS8_SC_S6_SE_S9_SC_S6_SE_SC_PS4_PS8_PSA_21rocsparse_index_base_SI_SI_SI_bbb,@function
_ZN9rocsparseL38bsrgemm_block_per_row_atomic_multipassILj256ELj32ELj4Eii21rocsparse_complex_numIdEEEv20rocsparse_direction_T3_S4_PKS4_S6_NS_24const_host_device_scalarIT4_EEPKT2_S6_PKS8_SC_S6_SE_S9_SC_S6_SE_SC_PS4_PS8_PSA_21rocsparse_index_base_SI_SI_SI_bbb: ; @_ZN9rocsparseL38bsrgemm_block_per_row_atomic_multipassILj256ELj32ELj4Eii21rocsparse_complex_numIdEEEv20rocsparse_direction_T3_S4_PKS4_S6_NS_24const_host_device_scalarIT4_EEPKT2_S6_PKS8_SC_S6_SE_S9_SC_S6_SE_SC_PS4_PS8_PSA_21rocsparse_index_base_SI_SI_SI_bbb
; %bb.0:
	s_mov_b32 s46, s15
	s_load_b32 s12, s[2:3], 0xb8
	s_load_b64 s[14:15], s[0:1], 0x4
	s_clause 0x1
	s_load_b128 s[8:11], s[2:3], 0x20
	s_load_b128 s[4:7], s[2:3], 0x60
	v_dual_mov_b32 v10, 0 :: v_dual_and_b32 v1, 0x3ff, v0
	s_load_b128 s[28:31], s[2:3], 0xa8
	v_bfe_u32 v3, v0, 10, 10
	v_bfe_u32 v0, v0, 20, 10
	v_mov_b32_e32 v11, 0
	s_waitcnt lgkmcnt(0)
	s_bitcmp1_b32 s12, 0
	s_cselect_b32 s50, -1, 0
	s_bitcmp1_b32 s12, 16
	s_cselect_b32 s0, -1, 0
	s_lshr_b32 s1, s14, 16
	s_delay_alu instid0(SALU_CYCLE_1) | instskip(NEXT) | instid1(SALU_CYCLE_1)
	s_mul_i32 s1, s1, s15
	v_mul_lo_u32 v2, s1, v1
	s_xor_b32 s1, s0, -1
	s_bitcmp0_b32 s12, 0
	v_cndmask_b32_e64 v6, 0, 1, s1
	s_delay_alu instid0(VALU_DEP_1) | instskip(NEXT) | instid1(VALU_DEP_3)
	v_cmp_ne_u32_e32 vcc_lo, 1, v6
	v_mad_u32_u24 v4, v3, s15, v2
	v_dual_mov_b32 v2, s8 :: v_dual_mov_b32 v3, s9
	v_dual_mov_b32 v8, v10 :: v_dual_mov_b32 v9, v11
	s_delay_alu instid0(VALU_DEP_3)
	v_add_lshl_u32 v0, v4, v0, 3
	v_dual_mov_b32 v4, s4 :: v_dual_mov_b32 v13, v11
	v_dual_mov_b32 v12, v10 :: v_dual_mov_b32 v5, s5
	ds_store_b64 v0, v[2:3] offset:12424
	scratch_store_b64 off, v[4:5], off
	s_cbranch_scc1 .LBB74_3
; %bb.1:
	s_mov_b64 s[14:15], src_shared_base
	s_and_b32 s13, s0, exec_lo
	s_cselect_b32 s13, s15, s9
	s_delay_alu instid0(SALU_CYCLE_1) | instskip(SKIP_2) | instid1(VALU_DEP_2)
	v_dual_mov_b32 v3, s13 :: v_dual_add_nc_u32 v0, 0x3088, v0
	v_dual_mov_b32 v13, s11 :: v_dual_mov_b32 v12, s10
	s_and_b32 vcc_lo, exec_lo, vcc_lo
	v_cndmask_b32_e64 v2, s8, v0, s0
	flat_load_b64 v[8:9], v[2:3]
	s_cbranch_vccnz .LBB74_3
; %bb.2:
	v_dual_mov_b32 v2, s8 :: v_dual_mov_b32 v3, s9
	flat_load_b64 v[12:13], v[2:3] offset:8
.LBB74_3:
	s_load_b64 s[8:9], s[2:3], 0x18
	s_bitcmp1_b32 s12, 8
	v_dual_mov_b32 v15, v11 :: v_dual_mov_b32 v14, v10
	s_cselect_b32 s33, -1, 0
	s_bfe_u32 s10, s12, 0x10008
	s_delay_alu instid0(SALU_CYCLE_1)
	s_cmp_eq_u32 s10, 0
	s_cbranch_scc1 .LBB74_6
; %bb.4:
	s_mov_b64 s[10:11], src_private_base
	s_and_b32 s10, s0, exec_lo
	s_cselect_b32 s10, s11, s5
	s_delay_alu instid0(SALU_CYCLE_1) | instskip(SKIP_2) | instid1(VALU_DEP_2)
	v_dual_mov_b32 v0, 0 :: v_dual_mov_b32 v3, s10
	v_dual_mov_b32 v11, s7 :: v_dual_mov_b32 v10, s6
	s_and_not1_b32 vcc_lo, exec_lo, s1
	v_cndmask_b32_e64 v2, s4, v0, s0
	flat_load_b64 v[14:15], v[2:3]
	s_cbranch_vccnz .LBB74_6
; %bb.5:
	v_dual_mov_b32 v2, s4 :: v_dual_mov_b32 v3, s5
	flat_load_b64 v[10:11], v[2:3] offset:8
.LBB74_6:
	s_load_b64 s[0:1], s[2:3], 0x30
	s_waitcnt lgkmcnt(0)
	s_cmp_eq_u64 s[8:9], 0
	s_cbranch_scc1 .LBB74_8
; %bb.7:
	s_load_b64 s[4:5], s[2:3], 0x10
	s_waitcnt lgkmcnt(0)
	s_load_b32 s4, s[4:5], 0x0
	s_mov_b32 s5, 0
	s_waitcnt lgkmcnt(0)
	s_add_i32 s4, s4, s46
	s_delay_alu instid0(SALU_CYCLE_1) | instskip(NEXT) | instid1(SALU_CYCLE_1)
	s_lshl_b64 s[4:5], s[4:5], 2
	s_add_u32 s4, s8, s4
	s_addc_u32 s5, s9, s5
	s_load_b32 s46, s[4:5], 0x0
.LBB74_8:
	s_mov_b32 s48, 0
	s_and_not1_b32 vcc_lo, exec_lo, s50
	s_mov_b32 s49, 0
	s_cbranch_vccz .LBB74_11
; %bb.9:
	s_and_not1_b32 vcc_lo, exec_lo, s50
	s_cbranch_vccz .LBB74_12
.LBB74_10:
	s_load_b128 s[36:39], s[2:3], 0x0
	s_waitcnt lgkmcnt(0)
	s_cmp_lt_i32 s37, 1
	s_cbranch_scc0 .LBB74_13
	s_branch .LBB74_100
.LBB74_11:
	s_waitcnt lgkmcnt(0)
	s_ashr_i32 s47, s46, 31
	s_delay_alu instid0(SALU_CYCLE_1) | instskip(NEXT) | instid1(SALU_CYCLE_1)
	s_lshl_b64 s[4:5], s[46:47], 2
	s_add_u32 s4, s0, s4
	s_addc_u32 s5, s1, s5
	s_load_b32 s4, s[4:5], 0x0
	s_waitcnt lgkmcnt(0)
	s_sub_i32 s49, s4, s28
	s_and_not1_b32 vcc_lo, exec_lo, s50
	s_cbranch_vccnz .LBB74_10
.LBB74_12:
	s_waitcnt lgkmcnt(0)
	s_ashr_i32 s47, s46, 31
	s_delay_alu instid0(SALU_CYCLE_1) | instskip(NEXT) | instid1(SALU_CYCLE_1)
	s_lshl_b64 s[4:5], s[46:47], 2
	s_add_u32 s0, s0, s4
	s_addc_u32 s1, s1, s5
	s_load_b32 s0, s[0:1], 0x4
	s_waitcnt lgkmcnt(0)
	s_sub_i32 s48, s0, s28
	s_load_b128 s[36:39], s[2:3], 0x0
	s_waitcnt lgkmcnt(0)
	s_cmp_lt_i32 s37, 1
	s_cbranch_scc1 .LBB74_100
.LBB74_13:
	s_clause 0x4
	s_load_b256 s[12:19], s[2:3], 0x70
	s_load_b64 s[34:35], s[2:3], 0xa0
	s_load_b128 s[40:43], s[2:3], 0x90
	s_load_b64 s[44:45], s[2:3], 0x58
	s_load_b256 s[20:27], s[2:3], 0x38
	s_ashr_i32 s47, s46, 31
	v_bfe_u32 v17, v1, 2, 2
	s_lshl_b64 s[10:11], s[46:47], 2
	v_and_b32_e32 v2, 31, v1
	v_lshrrev_b32_e32 v29, 4, v1
	v_and_b32_e32 v31, 12, v1
	v_dual_mov_b32 v48, 32 :: v_dual_lshlrev_b32 v5, 4, v17
	v_cmp_gt_u32_e64 s0, 32, v1
	v_cmp_eq_u32_e64 s1, 0, v1
	v_lshl_or_b32 v32, v1, 2, 0x3000
	v_subrev_nc_u32_e32 v34, s31, v29
	v_or_b32_e32 v41, 0xffffff00, v1
	v_lshl_or_b32 v44, v29, 2, 0x3000
	v_mov_b32_e32 v46, 1
	s_waitcnt lgkmcnt(0)
	s_add_u32 s2, s18, s10
	s_addc_u32 s3, s19, s11
	s_load_b32 s18, s[2:3], 0x0
	s_waitcnt lgkmcnt(0)
	s_sub_i32 s47, s18, s30
	s_cmp_lt_i32 s49, s48
	v_dual_mov_b32 v45, s47 :: v_dual_and_b32 v16, 3, v1
	s_cselect_b32 s51, -1, 0
	s_cmp_eq_u32 s36, 0
	s_cselect_b32 vcc_lo, -1, 0
	s_delay_alu instid0(VALU_DEP_1) | instskip(SKIP_3) | instid1(VALU_DEP_3)
	v_dual_cndmask_b32 v19, v17, v16 :: v_dual_and_b32 v0, 15, v1
	v_max_i32_e32 v3, v16, v17
	s_cmp_lg_u32 s36, 0
	v_cndmask_b32_e32 v18, v16, v17, vcc_lo
	v_cmp_eq_u32_e64 s2, 15, v0
	v_lshlrev_b32_e32 v0, 2, v2
	v_cmp_gt_i32_e64 s8, s38, v3
	v_cmp_le_i32_e64 s9, s38, v3
	s_cselect_b32 s36, -1, 0
	s_cmp_gt_i32 s38, 0
	v_or_b32_e32 v35, 0x3000, v0
	v_add_nc_u32_e32 v37, 0x2ff8, v0
	v_add_nc_u32_e32 v38, 0x2ff0, v0
	;; [unrolled: 1-line block ×4, first 2 shown]
	v_mov_b32_e32 v0, 0
	v_lshlrev_b32_e32 v30, 4, v1
	s_cselect_b32 s46, -1, 0
	s_add_u32 s18, s12, s10
	s_movk_i32 s10, 0xfc0
	v_mov_b32_e32 v1, v0
	v_mov_b32_e32 v3, v0
	v_add_co_u32 v4, s39, v2, -1
	v_cmp_ne_u32_e64 s3, 0, v2
	v_cmp_lt_u32_e64 s4, 1, v2
	v_cmp_lt_u32_e64 s5, 3, v2
	;; [unrolled: 1-line block ×4, first 2 shown]
	v_dual_mov_b32 v47, v0 :: v_dual_lshlrev_b32 v2, 8, v29
	v_or_b32_e32 v33, 0x2000, v30
	v_lshl_add_u32 v36, v4, 2, 0x3000
	v_and_or_b32 v43, v30, s10, 0x2000
	s_delay_alu instid0(VALU_DEP_4)
	v_or3_b32 v42, v2, v5, 0x2000
	v_mov_b32_e32 v2, v0
	s_addc_u32 s19, s13, s11
	s_and_b32 s13, s50, s51
	s_add_u32 s47, s24, 4
	s_addc_u32 s50, s25, 0
	s_mul_i32 s51, s38, s38
	s_branch .LBB74_15
.LBB74_14:                              ;   in Loop: Header=BB74_15 Depth=1
	s_set_inst_prefetch_distance 0x2
	s_or_b32 exec_lo, exec_lo, s10
	s_waitcnt_vscnt null, 0x0
	s_barrier
	buffer_gl0_inv
	ds_load_b32 v47, v0 offset:12416
	v_add_nc_u32_e32 v45, v6, v45
	s_waitcnt lgkmcnt(0)
	s_barrier
	buffer_gl0_inv
	v_cmp_le_i32_e32 vcc_lo, s37, v47
	v_add_nc_u32_e32 v48, 32, v47
	s_cbranch_vccnz .LBB74_100
.LBB74_15:                              ; =>This Loop Header: Depth=1
                                        ;     Child Loop BB74_18 Depth 2
                                        ;     Child Loop BB74_24 Depth 2
                                        ;       Child Loop BB74_37 Depth 3
                                        ;         Child Loop BB74_46 Depth 4
                                        ;         Child Loop BB74_51 Depth 4
	;; [unrolled: 1-line block ×4, first 2 shown]
                                        ;     Child Loop BB74_66 Depth 2
                                        ;       Child Loop BB74_71 Depth 3
                                        ;       Child Loop BB74_73 Depth 3
                                        ;     Child Loop BB74_78 Depth 2
                                        ;     Child Loop BB74_97 Depth 2
	s_and_saveexec_b32 s10, s0
	s_cbranch_execz .LBB74_17
; %bb.16:                               ;   in Loop: Header=BB74_15 Depth=1
	ds_store_b32 v32, v0
.LBB74_17:                              ;   in Loop: Header=BB74_15 Depth=1
	s_or_b32 exec_lo, exec_lo, s10
	v_dual_mov_b32 v4, v30 :: v_dual_mov_b32 v5, v41
	s_mov_b32 s10, 0
.LBB74_18:                              ;   Parent Loop BB74_15 Depth=1
                                        ; =>  This Inner Loop Header: Depth=2
	s_delay_alu instid0(VALU_DEP_1) | instskip(NEXT) | instid1(VALU_DEP_1)
	v_add_co_u32 v5, s11, 0x100, v5
	s_xor_b32 s11, s11, -1
	ds_store_b128 v4, v[0:3]
	v_add_nc_u32_e32 v4, 0x1000, v4
	s_and_b32 s11, exec_lo, s11
	s_delay_alu instid0(SALU_CYCLE_1) | instskip(NEXT) | instid1(SALU_CYCLE_1)
	s_or_b32 s10, s11, s10
	s_and_not1_b32 exec_lo, exec_lo, s10
	s_cbranch_execnz .LBB74_18
; %bb.19:                               ;   in Loop: Header=BB74_15 Depth=1
	s_or_b32 exec_lo, exec_lo, s10
	s_and_saveexec_b32 s10, s1
	s_cbranch_execz .LBB74_21
; %bb.20:                               ;   in Loop: Header=BB74_15 Depth=1
	v_mov_b32_e32 v4, s37
	ds_store_b32 v0, v4 offset:12416
.LBB74_21:                              ;   in Loop: Header=BB74_15 Depth=1
	s_or_b32 exec_lo, exec_lo, s10
	v_mov_b32_e32 v49, s37
	s_and_not1_b32 vcc_lo, exec_lo, s13
	s_waitcnt vmcnt(0) lgkmcnt(0)
	s_waitcnt_vscnt null, 0x0
	s_barrier
	buffer_gl0_inv
	s_cbranch_vccnz .LBB74_61
; %bb.22:                               ;   in Loop: Header=BB74_15 Depth=1
	v_cmp_ne_u32_e64 s10, 0, v47
	v_mov_b32_e32 v49, s37
	s_mov_b32 s52, s49
	s_branch .LBB74_24
.LBB74_23:                              ;   in Loop: Header=BB74_24 Depth=2
	s_or_b32 exec_lo, exec_lo, s12
	s_add_i32 s52, s52, 16
	s_delay_alu instid0(SALU_CYCLE_1)
	s_cmp_lt_i32 s52, s48
	s_cbranch_scc0 .LBB74_61
.LBB74_24:                              ;   Parent Loop BB74_15 Depth=1
                                        ; =>  This Loop Header: Depth=2
                                        ;       Child Loop BB74_37 Depth 3
                                        ;         Child Loop BB74_46 Depth 4
                                        ;         Child Loop BB74_51 Depth 4
	;; [unrolled: 1-line block ×4, first 2 shown]
	v_add_nc_u32_e32 v4, s52, v29
	s_waitcnt_vscnt null, 0x0
	s_barrier
	buffer_gl0_inv
	v_cmp_gt_i32_e64 s11, s48, v4
	s_delay_alu instid0(VALU_DEP_1)
	s_and_saveexec_b32 s12, s11
	s_cbranch_execz .LBB74_29
; %bb.25:                               ;   in Loop: Header=BB74_24 Depth=2
	s_and_saveexec_b32 s53, s9
	s_delay_alu instid0(SALU_CYCLE_1)
	s_xor_b32 s53, exec_lo, s53
	s_cbranch_execz .LBB74_27
; %bb.26:                               ;   in Loop: Header=BB74_24 Depth=2
	ds_store_b128 v33, v[0:3]
.LBB74_27:                              ;   in Loop: Header=BB74_24 Depth=2
	s_and_not1_saveexec_b32 s53, s53
	s_cbranch_execz .LBB74_29
; %bb.28:                               ;   in Loop: Header=BB74_24 Depth=2
	v_mad_u64_u32 v[5:6], null, v4, s38, v[17:18]
	s_delay_alu instid0(VALU_DEP_1) | instskip(NEXT) | instid1(VALU_DEP_1)
	v_mad_u64_u32 v[6:7], null, v5, s38, v[16:17]
	v_ashrrev_i32_e32 v7, 31, v6
	s_delay_alu instid0(VALU_DEP_1) | instskip(NEXT) | instid1(VALU_DEP_1)
	v_lshlrev_b64 v[5:6], 4, v[6:7]
	v_add_co_u32 v5, vcc_lo, s22, v5
	s_delay_alu instid0(VALU_DEP_2)
	v_add_co_ci_u32_e32 v6, vcc_lo, s23, v6, vcc_lo
	global_load_b128 v[20:23], v[5:6], off
	s_waitcnt vmcnt(0)
	ds_store_2addr_b64 v33, v[20:21], v[22:23] offset1:1
.LBB74_29:                              ;   in Loop: Header=BB74_24 Depth=2
	s_or_b32 exec_lo, exec_lo, s12
	v_mov_b32_e32 v50, 0
	v_ashrrev_i32_e32 v5, 31, v4
	s_waitcnt lgkmcnt(0)
	s_barrier
	buffer_gl0_inv
	s_and_saveexec_b32 s53, s11
	s_cbranch_execz .LBB74_58
; %bb.30:                               ;   in Loop: Header=BB74_24 Depth=2
	v_lshlrev_b64 v[20:21], 2, v[4:5]
	s_delay_alu instid0(VALU_DEP_1) | instskip(NEXT) | instid1(VALU_DEP_2)
	v_add_co_u32 v6, vcc_lo, s20, v20
	v_add_co_ci_u32_e32 v7, vcc_lo, s21, v21, vcc_lo
	s_and_b32 vcc_lo, exec_lo, s10
	global_load_b32 v6, v[6:7], off
	s_waitcnt vmcnt(0)
	v_subrev_nc_u32_e32 v6, s28, v6
	s_delay_alu instid0(VALU_DEP_1)
	v_ashrrev_i32_e32 v7, 31, v6
	s_cbranch_vccz .LBB74_60
; %bb.31:                               ;   in Loop: Header=BB74_24 Depth=2
	v_add_co_u32 v20, vcc_lo, s34, v20
	v_add_co_ci_u32_e32 v21, vcc_lo, s35, v21, vcc_lo
	global_load_b32 v50, v[20:21], off
	s_cbranch_execnz .LBB74_33
.LBB74_32:                              ;   in Loop: Header=BB74_24 Depth=2
	s_delay_alu instid0(VALU_DEP_1) | instskip(NEXT) | instid1(VALU_DEP_1)
	v_lshlrev_b64 v[20:21], 2, v[6:7]
	v_add_co_u32 v20, vcc_lo, s24, v20
	s_delay_alu instid0(VALU_DEP_2)
	v_add_co_ci_u32_e32 v21, vcc_lo, s25, v21, vcc_lo
	global_load_b32 v20, v[20:21], off
	s_waitcnt vmcnt(0)
	v_subrev_nc_u32_e32 v50, s29, v20
.LBB74_33:                              ;   in Loop: Header=BB74_24 Depth=2
	v_lshlrev_b64 v[6:7], 2, v[6:7]
	s_mov_b32 s54, exec_lo
	s_delay_alu instid0(VALU_DEP_1) | instskip(NEXT) | instid1(VALU_DEP_2)
	v_add_co_u32 v6, vcc_lo, s47, v6
	v_add_co_ci_u32_e32 v7, vcc_lo, s50, v7, vcc_lo
	global_load_b32 v6, v[6:7], off
	s_waitcnt vmcnt(0)
	v_subrev_nc_u32_e32 v51, s29, v6
	s_delay_alu instid0(VALU_DEP_1)
	v_cmpx_lt_i32_e64 v50, v51
	s_cbranch_execz .LBB74_57
; %bb.34:                               ;   in Loop: Header=BB74_24 Depth=2
	v_mad_u64_u32 v[6:7], null, s38, v50, v[16:17]
	v_mov_b32_e32 v20, v50
	s_mov_b32 s55, 0
	s_delay_alu instid0(VALU_DEP_2)
	v_mul_lo_u32 v52, s38, v6
	v_mad_u64_u32 v[6:7], null, s51, v50, v[16:17]
	s_branch .LBB74_37
.LBB74_35:                              ;   in Loop: Header=BB74_37 Depth=3
	s_or_b32 exec_lo, exec_lo, s58
	s_delay_alu instid0(SALU_CYCLE_1)
	s_or_b32 s56, s56, exec_lo
.LBB74_36:                              ;   in Loop: Header=BB74_37 Depth=3
	s_or_b32 exec_lo, exec_lo, s57
	v_add_nc_u32_e32 v20, 1, v20
	s_xor_b32 s12, s56, -1
	v_add_nc_u32_e32 v52, s51, v52
	v_add_nc_u32_e32 v6, s51, v6
	s_delay_alu instid0(VALU_DEP_3) | instskip(SKIP_1) | instid1(SALU_CYCLE_1)
	v_cmp_ge_i32_e32 vcc_lo, v20, v51
	s_or_b32 s12, s12, vcc_lo
	s_and_b32 s12, exec_lo, s12
	s_delay_alu instid0(SALU_CYCLE_1) | instskip(NEXT) | instid1(SALU_CYCLE_1)
	s_or_b32 s55, s12, s55
	s_and_not1_b32 exec_lo, exec_lo, s55
	s_cbranch_execz .LBB74_56
.LBB74_37:                              ;   Parent Loop BB74_15 Depth=1
                                        ;     Parent Loop BB74_24 Depth=2
                                        ; =>    This Loop Header: Depth=3
                                        ;         Child Loop BB74_46 Depth 4
                                        ;         Child Loop BB74_51 Depth 4
	;; [unrolled: 1-line block ×4, first 2 shown]
	v_ashrrev_i32_e32 v21, 31, v20
                                        ; implicit-def: $sgpr56
	s_delay_alu instid0(VALU_DEP_1) | instskip(NEXT) | instid1(VALU_DEP_1)
	v_lshlrev_b64 v[21:22], 2, v[20:21]
	v_add_co_u32 v21, vcc_lo, s26, v21
	s_delay_alu instid0(VALU_DEP_2) | instskip(SKIP_3) | instid1(VALU_DEP_1)
	v_add_co_ci_u32_e32 v22, vcc_lo, s27, v22, vcc_lo
	global_load_b32 v7, v[21:22], off
	s_waitcnt vmcnt(0)
	v_subrev_nc_u32_e32 v7, s29, v7
	v_cmp_lt_i32_e64 s12, v7, v47
	v_cmp_ge_i32_e32 vcc_lo, v7, v48
	s_delay_alu instid0(VALU_DEP_2) | instskip(NEXT) | instid1(SALU_CYCLE_1)
	s_or_b32 s12, s12, vcc_lo
	s_and_saveexec_b32 s57, s12
	s_delay_alu instid0(SALU_CYCLE_1)
	s_xor_b32 s12, exec_lo, s57
	s_cbranch_execz .LBB74_41
; %bb.38:                               ;   in Loop: Header=BB74_37 Depth=3
	s_mov_b32 s56, -1
	s_and_saveexec_b32 s57, vcc_lo
; %bb.39:                               ;   in Loop: Header=BB74_37 Depth=3
	v_min_i32_e32 v49, v7, v49
	v_mov_b32_e32 v50, v20
	s_xor_b32 s56, exec_lo, -1
; %bb.40:                               ;   in Loop: Header=BB74_37 Depth=3
	s_or_b32 exec_lo, exec_lo, s57
	s_delay_alu instid0(SALU_CYCLE_1)
	s_and_b32 s56, s56, exec_lo
                                        ; implicit-def: $vgpr7
.LBB74_41:                              ;   in Loop: Header=BB74_37 Depth=3
	s_and_not1_saveexec_b32 s57, s12
	s_cbranch_execz .LBB74_36
; %bb.42:                               ;   in Loop: Header=BB74_37 Depth=3
	v_sub_nc_u32_e32 v7, v7, v47
	s_delay_alu instid0(VALU_DEP_1)
	v_lshlrev_b32_e32 v21, 2, v7
	ds_store_b32 v21, v46 offset:12288
	s_and_saveexec_b32 s58, s8
	s_cbranch_execz .LBB74_35
; %bb.43:                               ;   in Loop: Header=BB74_37 Depth=3
	v_cndmask_b32_e64 v21, 0, 1, s46
	s_and_not1_b32 vcc_lo, exec_lo, s36
	s_delay_alu instid0(VALU_DEP_1)
	v_cmp_ne_u32_e64 s12, 1, v21
	s_cbranch_vccnz .LBB74_48
; %bb.44:                               ;   in Loop: Header=BB74_37 Depth=3
	v_mov_b32_e32 v21, 0
	v_mov_b32_e32 v22, 0
	s_delay_alu instid0(VALU_DEP_3) | instskip(NEXT) | instid1(VALU_DEP_1)
	s_and_b32 vcc_lo, exec_lo, s12
	v_dual_mov_b32 v24, v22 :: v_dual_mov_b32 v23, v21
	s_cbranch_vccnz .LBB74_47
; %bb.45:                               ;   in Loop: Header=BB74_37 Depth=3
	v_mov_b32_e32 v21, 0
	v_dual_mov_b32 v22, 0 :: v_dual_mov_b32 v25, v52
	v_mov_b32_e32 v27, v42
	s_mov_b32 s12, s38
	s_delay_alu instid0(VALU_DEP_2)
	v_dual_mov_b32 v24, v22 :: v_dual_mov_b32 v23, v21
	.p2align	6
.LBB74_46:                              ;   Parent Loop BB74_15 Depth=1
                                        ;     Parent Loop BB74_24 Depth=2
                                        ;       Parent Loop BB74_37 Depth=3
                                        ; =>      This Inner Loop Header: Depth=4
	s_delay_alu instid0(VALU_DEP_3) | instskip(SKIP_3) | instid1(SALU_CYCLE_1)
	v_ashrrev_i32_e32 v26, 31, v25
	ds_load_b128 v[57:60], v27
	v_add_nc_u32_e32 v27, 64, v27
	s_add_i32 s12, s12, -1
	s_cmp_lg_u32 s12, 0
	v_lshlrev_b64 v[53:54], 4, v[25:26]
	v_add_nc_u32_e32 v25, 1, v25
	s_delay_alu instid0(VALU_DEP_2) | instskip(NEXT) | instid1(VALU_DEP_3)
	v_add_co_u32 v53, vcc_lo, s44, v53
	v_add_co_ci_u32_e32 v54, vcc_lo, s45, v54, vcc_lo
	global_load_b128 v[53:56], v[53:54], off
	s_waitcnt vmcnt(0) lgkmcnt(0)
	v_fma_f64 v[21:22], v[57:58], v[53:54], v[21:22]
	v_fma_f64 v[23:24], v[59:60], v[53:54], v[23:24]
	s_delay_alu instid0(VALU_DEP_2) | instskip(NEXT) | instid1(VALU_DEP_2)
	v_fma_f64 v[21:22], -v[59:60], v[55:56], v[21:22]
	v_fma_f64 v[23:24], v[57:58], v[55:56], v[23:24]
	s_cbranch_scc1 .LBB74_46
.LBB74_47:                              ;   in Loop: Header=BB74_37 Depth=3
	s_cbranch_execz .LBB74_49
	s_branch .LBB74_52
.LBB74_48:                              ;   in Loop: Header=BB74_37 Depth=3
                                        ; implicit-def: $vgpr21_vgpr22
                                        ; implicit-def: $vgpr23_vgpr24
.LBB74_49:                              ;   in Loop: Header=BB74_37 Depth=3
	v_mov_b32_e32 v21, 0
	v_mov_b32_e32 v22, 0
	s_and_not1_b32 vcc_lo, exec_lo, s46
	s_delay_alu instid0(VALU_DEP_1)
	v_dual_mov_b32 v24, v22 :: v_dual_mov_b32 v23, v21
	s_cbranch_vccnz .LBB74_52
; %bb.50:                               ;   in Loop: Header=BB74_37 Depth=3
	v_mov_b32_e32 v21, 0
	v_dual_mov_b32 v22, 0 :: v_dual_mov_b32 v27, v43
	v_mov_b32_e32 v25, v6
	s_mov_b32 s12, s38
	s_delay_alu instid0(VALU_DEP_2)
	v_dual_mov_b32 v24, v22 :: v_dual_mov_b32 v23, v21
	.p2align	6
.LBB74_51:                              ;   Parent Loop BB74_15 Depth=1
                                        ;     Parent Loop BB74_24 Depth=2
                                        ;       Parent Loop BB74_37 Depth=3
                                        ; =>      This Inner Loop Header: Depth=4
	s_delay_alu instid0(VALU_DEP_2) | instskip(SKIP_3) | instid1(SALU_CYCLE_1)
	v_ashrrev_i32_e32 v26, 31, v25
	ds_load_b128 v[57:60], v27
	v_add_nc_u32_e32 v27, 16, v27
	s_add_i32 s12, s12, -1
	s_cmp_eq_u32 s12, 0
	v_lshlrev_b64 v[53:54], 4, v[25:26]
	v_add_nc_u32_e32 v25, s38, v25
	s_delay_alu instid0(VALU_DEP_2) | instskip(NEXT) | instid1(VALU_DEP_3)
	v_add_co_u32 v53, vcc_lo, s44, v53
	v_add_co_ci_u32_e32 v54, vcc_lo, s45, v54, vcc_lo
	global_load_b128 v[53:56], v[53:54], off
	s_waitcnt vmcnt(0) lgkmcnt(0)
	v_fma_f64 v[21:22], v[57:58], v[53:54], v[21:22]
	v_fma_f64 v[23:24], v[59:60], v[53:54], v[23:24]
	s_delay_alu instid0(VALU_DEP_2) | instskip(NEXT) | instid1(VALU_DEP_2)
	v_fma_f64 v[21:22], -v[59:60], v[55:56], v[21:22]
	v_fma_f64 v[23:24], v[57:58], v[55:56], v[23:24]
	s_cbranch_scc0 .LBB74_51
.LBB74_52:                              ;   in Loop: Header=BB74_37 Depth=3
	s_delay_alu instid0(VALU_DEP_1) | instskip(SKIP_2) | instid1(VALU_DEP_1)
	v_mul_f64 v[25:26], v[23:24], -v[12:13]
	v_lshlrev_b32_e32 v7, 4, v7
	s_mov_b32 s12, 0
	v_or3_b32 v7, v7, v31, v16
	s_delay_alu instid0(VALU_DEP_1)
	v_lshlrev_b32_e32 v7, 4, v7
	ds_load_b64 v[27:28], v7
	v_fma_f64 v[25:26], v[8:9], v[21:22], v[25:26]
.LBB74_53:                              ;   Parent Loop BB74_15 Depth=1
                                        ;     Parent Loop BB74_24 Depth=2
                                        ;       Parent Loop BB74_37 Depth=3
                                        ; =>      This Inner Loop Header: Depth=4
	s_waitcnt lgkmcnt(0)
	s_delay_alu instid0(VALU_DEP_1)
	v_add_f64 v[53:54], v[27:28], v[25:26]
	ds_cmpstore_rtn_b64 v[53:54], v7, v[53:54], v[27:28]
	s_waitcnt lgkmcnt(0)
	v_cmp_eq_u64_e32 vcc_lo, v[53:54], v[27:28]
	v_dual_mov_b32 v27, v53 :: v_dual_mov_b32 v28, v54
	s_or_b32 s12, vcc_lo, s12
	s_delay_alu instid0(SALU_CYCLE_1)
	s_and_not1_b32 exec_lo, exec_lo, s12
	s_cbranch_execnz .LBB74_53
; %bb.54:                               ;   in Loop: Header=BB74_37 Depth=3
	s_or_b32 exec_lo, exec_lo, s12
	v_mul_f64 v[23:24], v[8:9], v[23:24]
	s_mov_b32 s12, 0
	s_delay_alu instid0(VALU_DEP_1)
	v_fma_f64 v[21:22], v[12:13], v[21:22], v[23:24]
	ds_load_b64 v[23:24], v7 offset:8
.LBB74_55:                              ;   Parent Loop BB74_15 Depth=1
                                        ;     Parent Loop BB74_24 Depth=2
                                        ;       Parent Loop BB74_37 Depth=3
                                        ; =>      This Inner Loop Header: Depth=4
	s_waitcnt lgkmcnt(0)
	v_add_f64 v[25:26], v[23:24], v[21:22]
	ds_cmpstore_rtn_b64 v[25:26], v7, v[25:26], v[23:24] offset:8
	s_waitcnt lgkmcnt(0)
	v_cmp_eq_u64_e32 vcc_lo, v[25:26], v[23:24]
	v_dual_mov_b32 v23, v25 :: v_dual_mov_b32 v24, v26
	s_or_b32 s12, vcc_lo, s12
	s_delay_alu instid0(SALU_CYCLE_1)
	s_and_not1_b32 exec_lo, exec_lo, s12
	s_cbranch_execnz .LBB74_55
	s_branch .LBB74_35
.LBB74_56:                              ;   in Loop: Header=BB74_24 Depth=2
	s_or_b32 exec_lo, exec_lo, s55
.LBB74_57:                              ;   in Loop: Header=BB74_24 Depth=2
	s_delay_alu instid0(SALU_CYCLE_1)
	s_or_b32 exec_lo, exec_lo, s54
.LBB74_58:                              ;   in Loop: Header=BB74_24 Depth=2
	s_delay_alu instid0(SALU_CYCLE_1)
	s_or_b32 exec_lo, exec_lo, s53
	s_waitcnt lgkmcnt(0)
	s_barrier
	buffer_gl0_inv
	s_and_saveexec_b32 s12, s11
	s_cbranch_execz .LBB74_23
; %bb.59:                               ;   in Loop: Header=BB74_24 Depth=2
	v_lshlrev_b64 v[4:5], 2, v[4:5]
	s_delay_alu instid0(VALU_DEP_1) | instskip(NEXT) | instid1(VALU_DEP_2)
	v_add_co_u32 v4, vcc_lo, s34, v4
	v_add_co_ci_u32_e32 v5, vcc_lo, s35, v5, vcc_lo
	global_store_b32 v[4:5], v50, off
	s_branch .LBB74_23
.LBB74_60:                              ;   in Loop: Header=BB74_24 Depth=2
                                        ; implicit-def: $vgpr50
	s_branch .LBB74_32
.LBB74_61:                              ;   in Loop: Header=BB74_15 Depth=1
	s_and_not1_b32 vcc_lo, exec_lo, s33
	s_cbranch_vccnz .LBB74_76
; %bb.62:                               ;   in Loop: Header=BB74_15 Depth=1
	s_load_b64 s[10:11], s[18:19], 0x0
	s_mov_b32 s12, exec_lo
	s_waitcnt lgkmcnt(0)
	v_add_nc_u32_e32 v20, s10, v34
	s_sub_i32 s52, s11, s31
	s_delay_alu instid0(VALU_DEP_1) | instid1(SALU_CYCLE_1)
	v_cmpx_gt_i32_e64 s52, v20
	s_cbranch_execz .LBB74_75
; %bb.63:                               ;   in Loop: Header=BB74_15 Depth=1
	s_mov_b32 s53, 0
	s_branch .LBB74_66
.LBB74_64:                              ;   in Loop: Header=BB74_66 Depth=2
	s_or_b32 exec_lo, exec_lo, s54
	s_delay_alu instid0(SALU_CYCLE_1)
	s_or_b32 s10, s10, exec_lo
.LBB74_65:                              ;   in Loop: Header=BB74_66 Depth=2
	s_or_b32 exec_lo, exec_lo, s11
	v_add_nc_u32_e32 v20, 16, v20
	s_xor_b32 s10, s10, -1
	s_delay_alu instid0(VALU_DEP_1) | instskip(SKIP_1) | instid1(SALU_CYCLE_1)
	v_cmp_le_i32_e32 vcc_lo, s52, v20
	s_or_b32 s10, vcc_lo, s10
	s_and_b32 s10, exec_lo, s10
	s_delay_alu instid0(SALU_CYCLE_1) | instskip(NEXT) | instid1(SALU_CYCLE_1)
	s_or_b32 s53, s10, s53
	s_and_not1_b32 exec_lo, exec_lo, s53
	s_cbranch_execz .LBB74_74
.LBB74_66:                              ;   Parent Loop BB74_15 Depth=1
                                        ; =>  This Loop Header: Depth=2
                                        ;       Child Loop BB74_71 Depth 3
                                        ;       Child Loop BB74_73 Depth 3
	v_ashrrev_i32_e32 v21, 31, v20
	s_delay_alu instid0(VALU_DEP_1) | instskip(NEXT) | instid1(VALU_DEP_1)
	v_lshlrev_b64 v[4:5], 2, v[20:21]
	v_add_co_u32 v4, vcc_lo, s14, v4
	s_delay_alu instid0(VALU_DEP_2) | instskip(SKIP_3) | instid1(VALU_DEP_1)
	v_add_co_ci_u32_e32 v5, vcc_lo, s15, v5, vcc_lo
	global_load_b32 v4, v[4:5], off
	s_waitcnt vmcnt(0)
	v_subrev_nc_u32_e32 v4, s31, v4
	v_cmp_lt_i32_e64 s10, v4, v47
	v_cmp_ge_i32_e64 s11, v4, v48
	v_cmp_lt_i32_e32 vcc_lo, v4, v48
	s_delay_alu instid0(VALU_DEP_2) | instskip(NEXT) | instid1(SALU_CYCLE_1)
	s_or_b32 s11, s10, s11
                                        ; implicit-def: $sgpr10
	s_and_saveexec_b32 s54, s11
	s_delay_alu instid0(SALU_CYCLE_1)
	s_xor_b32 s11, exec_lo, s54
; %bb.67:                               ;   in Loop: Header=BB74_66 Depth=2
	v_min_i32_e32 v4, v4, v49
	s_and_b32 s10, vcc_lo, exec_lo
	s_delay_alu instid0(VALU_DEP_1)
	v_cndmask_b32_e32 v49, v4, v49, vcc_lo
                                        ; implicit-def: $vgpr4
; %bb.68:                               ;   in Loop: Header=BB74_66 Depth=2
	s_and_not1_saveexec_b32 s11, s11
	s_cbranch_execz .LBB74_65
; %bb.69:                               ;   in Loop: Header=BB74_66 Depth=2
	v_sub_nc_u32_e32 v23, v4, v47
	s_delay_alu instid0(VALU_DEP_1)
	v_lshlrev_b32_e32 v4, 2, v23
	ds_store_b32 v4, v46 offset:12288
	s_and_saveexec_b32 s54, s8
	s_cbranch_execz .LBB74_64
; %bb.70:                               ;   in Loop: Header=BB74_66 Depth=2
	v_mad_u64_u32 v[4:5], null, v20, s38, v[18:19]
	v_lshlrev_b32_e32 v23, 4, v23
	s_mov_b32 s55, 0
	s_delay_alu instid0(VALU_DEP_1) | instskip(NEXT) | instid1(VALU_DEP_3)
	v_or3_b32 v23, v23, v31, v16
	v_mad_u64_u32 v[5:6], null, v4, s38, v[19:20]
	s_delay_alu instid0(VALU_DEP_2) | instskip(NEXT) | instid1(VALU_DEP_2)
	v_lshlrev_b32_e32 v25, 4, v23
	v_ashrrev_i32_e32 v6, 31, v5
	ds_load_b64 v[23:24], v25
	v_lshlrev_b64 v[4:5], 4, v[5:6]
	s_delay_alu instid0(VALU_DEP_1) | instskip(NEXT) | instid1(VALU_DEP_2)
	v_add_co_u32 v4, vcc_lo, s16, v4
	v_add_co_ci_u32_e32 v5, vcc_lo, s17, v5, vcc_lo
	global_load_b128 v[4:7], v[4:5], off
	s_waitcnt vmcnt(0)
	v_mul_f64 v[21:22], v[6:7], -v[10:11]
	s_delay_alu instid0(VALU_DEP_1)
	v_fma_f64 v[21:22], v[14:15], v[4:5], v[21:22]
.LBB74_71:                              ;   Parent Loop BB74_15 Depth=1
                                        ;     Parent Loop BB74_66 Depth=2
                                        ; =>    This Inner Loop Header: Depth=3
	s_waitcnt lgkmcnt(0)
	s_delay_alu instid0(VALU_DEP_1)
	v_add_f64 v[26:27], v[23:24], v[21:22]
	ds_cmpstore_rtn_b64 v[26:27], v25, v[26:27], v[23:24]
	s_waitcnt lgkmcnt(0)
	v_cmp_eq_u64_e32 vcc_lo, v[26:27], v[23:24]
	v_dual_mov_b32 v23, v26 :: v_dual_mov_b32 v24, v27
	s_or_b32 s55, vcc_lo, s55
	s_delay_alu instid0(SALU_CYCLE_1)
	s_and_not1_b32 exec_lo, exec_lo, s55
	s_cbranch_execnz .LBB74_71
; %bb.72:                               ;   in Loop: Header=BB74_66 Depth=2
	s_or_b32 exec_lo, exec_lo, s55
	v_mul_f64 v[6:7], v[14:15], v[6:7]
	s_mov_b32 s55, 0
	s_delay_alu instid0(VALU_DEP_1)
	v_fma_f64 v[4:5], v[10:11], v[4:5], v[6:7]
	ds_load_b64 v[6:7], v25 offset:8
.LBB74_73:                              ;   Parent Loop BB74_15 Depth=1
                                        ;     Parent Loop BB74_66 Depth=2
                                        ; =>    This Inner Loop Header: Depth=3
	s_waitcnt lgkmcnt(0)
	v_add_f64 v[21:22], v[6:7], v[4:5]
	ds_cmpstore_rtn_b64 v[21:22], v25, v[21:22], v[6:7] offset:8
	s_waitcnt lgkmcnt(0)
	v_cmp_eq_u64_e32 vcc_lo, v[21:22], v[6:7]
	v_dual_mov_b32 v6, v21 :: v_dual_mov_b32 v7, v22
	s_or_b32 s55, vcc_lo, s55
	s_delay_alu instid0(SALU_CYCLE_1)
	s_and_not1_b32 exec_lo, exec_lo, s55
	s_cbranch_execnz .LBB74_73
	s_branch .LBB74_64
.LBB74_74:                              ;   in Loop: Header=BB74_15 Depth=1
	s_or_b32 exec_lo, exec_lo, s53
.LBB74_75:                              ;   in Loop: Header=BB74_15 Depth=1
	s_delay_alu instid0(SALU_CYCLE_1)
	s_or_b32 exec_lo, exec_lo, s12
.LBB74_76:                              ;   in Loop: Header=BB74_15 Depth=1
	s_and_saveexec_b32 s10, s2
	s_cbranch_execz .LBB74_81
; %bb.77:                               ;   in Loop: Header=BB74_15 Depth=1
	s_mov_b32 s12, exec_lo
	s_brev_b32 s11, -2
.LBB74_78:                              ;   Parent Loop BB74_15 Depth=1
                                        ; =>  This Inner Loop Header: Depth=2
	s_ctz_i32_b32 s52, s12
	s_delay_alu instid0(SALU_CYCLE_1) | instskip(SKIP_1) | instid1(SALU_CYCLE_1)
	v_readlane_b32 s53, v49, s52
	s_lshl_b32 s52, 1, s52
	s_and_not1_b32 s12, s12, s52
	s_delay_alu instid0(VALU_DEP_1)
	s_min_i32 s11, s11, s53
	s_cmp_lg_u32 s12, 0
	s_cbranch_scc1 .LBB74_78
; %bb.79:                               ;   in Loop: Header=BB74_15 Depth=1
	v_mbcnt_lo_u32_b32 v4, exec_lo, 0
	s_mov_b32 s12, exec_lo
	s_delay_alu instid0(VALU_DEP_1)
	v_cmpx_eq_u32_e32 0, v4
	s_xor_b32 s12, exec_lo, s12
	s_cbranch_execz .LBB74_81
; %bb.80:                               ;   in Loop: Header=BB74_15 Depth=1
	v_mov_b32_e32 v4, s11
	ds_min_i32 v0, v4 offset:12416
.LBB74_81:                              ;   in Loop: Header=BB74_15 Depth=1
	s_or_b32 exec_lo, exec_lo, s10
	s_waitcnt lgkmcnt(0)
	s_waitcnt_vscnt null, 0x0
	s_barrier
	buffer_gl0_inv
	ds_load_b32 v4, v35
	s_waitcnt lgkmcnt(0)
	s_barrier
	buffer_gl0_inv
	s_and_saveexec_b32 s10, s3
	s_cbranch_execz .LBB74_83
; %bb.82:                               ;   in Loop: Header=BB74_15 Depth=1
	ds_load_b32 v5, v36
	s_waitcnt lgkmcnt(0)
	v_add_nc_u32_e32 v4, v5, v4
.LBB74_83:                              ;   in Loop: Header=BB74_15 Depth=1
	s_or_b32 exec_lo, exec_lo, s10
	s_barrier
	buffer_gl0_inv
	ds_store_b32 v35, v4
	s_waitcnt lgkmcnt(0)
	s_barrier
	buffer_gl0_inv
	s_and_saveexec_b32 s10, s4
	s_cbranch_execz .LBB74_85
; %bb.84:                               ;   in Loop: Header=BB74_15 Depth=1
	ds_load_b32 v5, v37
	s_waitcnt lgkmcnt(0)
	v_add_nc_u32_e32 v4, v5, v4
.LBB74_85:                              ;   in Loop: Header=BB74_15 Depth=1
	s_or_b32 exec_lo, exec_lo, s10
	s_barrier
	buffer_gl0_inv
	ds_store_b32 v35, v4
	;; [unrolled: 14-line block ×5, first 2 shown]
	s_waitcnt lgkmcnt(0)
	s_barrier
	buffer_gl0_inv
	ds_load_b32 v6, v0 offset:12412
	v_mov_b32_e32 v5, 0
	s_and_saveexec_b32 s10, s39
	s_cbranch_execz .LBB74_93
; %bb.92:                               ;   in Loop: Header=BB74_15 Depth=1
	ds_load_b32 v5, v36
.LBB74_93:                              ;   in Loop: Header=BB74_15 Depth=1
	s_or_b32 exec_lo, exec_lo, s10
	s_waitcnt lgkmcnt(0)
	v_cmp_eq_u32_e32 vcc_lo, v4, v5
	s_barrier
	buffer_gl0_inv
	s_and_b32 s11, s39, vcc_lo
	s_delay_alu instid0(SALU_CYCLE_1)
	s_and_saveexec_b32 s10, s11
	s_cbranch_execz .LBB74_95
; %bb.94:                               ;   in Loop: Header=BB74_15 Depth=1
	ds_store_b32 v35, v0
.LBB74_95:                              ;   in Loop: Header=BB74_15 Depth=1
	s_or_b32 exec_lo, exec_lo, s10
	v_dual_mov_b32 v22, v30 :: v_dual_add_nc_u32 v7, -1, v45
	v_dual_mov_b32 v21, v44 :: v_dual_add_nc_u32 v20, s30, v47
	v_mov_b32_e32 v23, v29
	s_mov_b32 s10, 0
	s_waitcnt lgkmcnt(0)
	s_barrier
	buffer_gl0_inv
	s_set_inst_prefetch_distance 0x1
	s_branch .LBB74_97
	.p2align	6
.LBB74_96:                              ;   in Loop: Header=BB74_97 Depth=2
	s_or_b32 exec_lo, exec_lo, s11
	v_add_nc_u32_e32 v4, 16, v23
	v_cmp_lt_u32_e32 vcc_lo, 15, v23
	v_add_nc_u32_e32 v22, 0x1000, v22
	v_add_nc_u32_e32 v21, 64, v21
	s_delay_alu instid0(VALU_DEP_4) | instskip(SKIP_1) | instid1(SALU_CYCLE_1)
	v_mov_b32_e32 v23, v4
	s_or_b32 s10, vcc_lo, s10
	s_and_not1_b32 exec_lo, exec_lo, s10
	s_cbranch_execz .LBB74_14
.LBB74_97:                              ;   Parent Loop BB74_15 Depth=1
                                        ; =>  This Inner Loop Header: Depth=2
	ds_load_b32 v4, v21
	s_mov_b32 s11, exec_lo
	s_waitcnt lgkmcnt(0)
	v_cmpx_ne_u32_e32 0, v4
	s_cbranch_execz .LBB74_96
; %bb.98:                               ;   in Loop: Header=BB74_97 Depth=2
	v_add_nc_u32_e32 v4, v7, v4
	s_delay_alu instid0(VALU_DEP_1) | instskip(NEXT) | instid1(VALU_DEP_1)
	v_ashrrev_i32_e32 v5, 31, v4
	v_lshlrev_b64 v[24:25], 2, v[4:5]
	v_add_nc_u32_e32 v5, v20, v23
	s_delay_alu instid0(VALU_DEP_2) | instskip(NEXT) | instid1(VALU_DEP_3)
	v_add_co_u32 v24, vcc_lo, s40, v24
	v_add_co_ci_u32_e32 v25, vcc_lo, s41, v25, vcc_lo
	global_store_b32 v[24:25], v5, off
	s_and_b32 exec_lo, exec_lo, s8
	s_cbranch_execz .LBB74_96
; %bb.99:                               ;   in Loop: Header=BB74_97 Depth=2
	v_mad_u64_u32 v[24:25], null, v4, s38, v[18:19]
	s_delay_alu instid0(VALU_DEP_1) | instskip(SKIP_2) | instid1(VALU_DEP_1)
	v_mad_u64_u32 v[4:5], null, v24, s38, v[19:20]
	ds_load_2addr_b64 v[24:27], v22 offset1:1
	v_ashrrev_i32_e32 v5, 31, v4
	v_lshlrev_b64 v[4:5], 4, v[4:5]
	s_delay_alu instid0(VALU_DEP_1) | instskip(NEXT) | instid1(VALU_DEP_2)
	v_add_co_u32 v4, vcc_lo, s42, v4
	v_add_co_ci_u32_e32 v5, vcc_lo, s43, v5, vcc_lo
	s_waitcnt lgkmcnt(0)
	global_store_b128 v[4:5], v[24:27], off
	s_branch .LBB74_96
.LBB74_100:
	s_endpgm
	.section	.rodata,"a",@progbits
	.p2align	6, 0x0
	.amdhsa_kernel _ZN9rocsparseL38bsrgemm_block_per_row_atomic_multipassILj256ELj32ELj4Eii21rocsparse_complex_numIdEEEv20rocsparse_direction_T3_S4_PKS4_S6_NS_24const_host_device_scalarIT4_EEPKT2_S6_PKS8_SC_S6_SE_S9_SC_S6_SE_SC_PS4_PS8_PSA_21rocsparse_index_base_SI_SI_SI_bbb
		.amdhsa_group_segment_fixed_size 14472
		.amdhsa_private_segment_fixed_size 16
		.amdhsa_kernarg_size 188
		.amdhsa_user_sgpr_count 15
		.amdhsa_user_sgpr_dispatch_ptr 1
		.amdhsa_user_sgpr_queue_ptr 0
		.amdhsa_user_sgpr_kernarg_segment_ptr 1
		.amdhsa_user_sgpr_dispatch_id 0
		.amdhsa_user_sgpr_private_segment_size 0
		.amdhsa_wavefront_size32 1
		.amdhsa_uses_dynamic_stack 0
		.amdhsa_enable_private_segment 1
		.amdhsa_system_sgpr_workgroup_id_x 1
		.amdhsa_system_sgpr_workgroup_id_y 0
		.amdhsa_system_sgpr_workgroup_id_z 0
		.amdhsa_system_sgpr_workgroup_info 0
		.amdhsa_system_vgpr_workitem_id 2
		.amdhsa_next_free_vgpr 61
		.amdhsa_next_free_sgpr 59
		.amdhsa_reserve_vcc 1
		.amdhsa_float_round_mode_32 0
		.amdhsa_float_round_mode_16_64 0
		.amdhsa_float_denorm_mode_32 3
		.amdhsa_float_denorm_mode_16_64 3
		.amdhsa_dx10_clamp 1
		.amdhsa_ieee_mode 1
		.amdhsa_fp16_overflow 0
		.amdhsa_workgroup_processor_mode 1
		.amdhsa_memory_ordered 1
		.amdhsa_forward_progress 0
		.amdhsa_shared_vgpr_count 0
		.amdhsa_exception_fp_ieee_invalid_op 0
		.amdhsa_exception_fp_denorm_src 0
		.amdhsa_exception_fp_ieee_div_zero 0
		.amdhsa_exception_fp_ieee_overflow 0
		.amdhsa_exception_fp_ieee_underflow 0
		.amdhsa_exception_fp_ieee_inexact 0
		.amdhsa_exception_int_div_zero 0
	.end_amdhsa_kernel
	.section	.text._ZN9rocsparseL38bsrgemm_block_per_row_atomic_multipassILj256ELj32ELj4Eii21rocsparse_complex_numIdEEEv20rocsparse_direction_T3_S4_PKS4_S6_NS_24const_host_device_scalarIT4_EEPKT2_S6_PKS8_SC_S6_SE_S9_SC_S6_SE_SC_PS4_PS8_PSA_21rocsparse_index_base_SI_SI_SI_bbb,"axG",@progbits,_ZN9rocsparseL38bsrgemm_block_per_row_atomic_multipassILj256ELj32ELj4Eii21rocsparse_complex_numIdEEEv20rocsparse_direction_T3_S4_PKS4_S6_NS_24const_host_device_scalarIT4_EEPKT2_S6_PKS8_SC_S6_SE_S9_SC_S6_SE_SC_PS4_PS8_PSA_21rocsparse_index_base_SI_SI_SI_bbb,comdat
.Lfunc_end74:
	.size	_ZN9rocsparseL38bsrgemm_block_per_row_atomic_multipassILj256ELj32ELj4Eii21rocsparse_complex_numIdEEEv20rocsparse_direction_T3_S4_PKS4_S6_NS_24const_host_device_scalarIT4_EEPKT2_S6_PKS8_SC_S6_SE_S9_SC_S6_SE_SC_PS4_PS8_PSA_21rocsparse_index_base_SI_SI_SI_bbb, .Lfunc_end74-_ZN9rocsparseL38bsrgemm_block_per_row_atomic_multipassILj256ELj32ELj4Eii21rocsparse_complex_numIdEEEv20rocsparse_direction_T3_S4_PKS4_S6_NS_24const_host_device_scalarIT4_EEPKT2_S6_PKS8_SC_S6_SE_S9_SC_S6_SE_SC_PS4_PS8_PSA_21rocsparse_index_base_SI_SI_SI_bbb
                                        ; -- End function
	.section	.AMDGPU.csdata,"",@progbits
; Kernel info:
; codeLenInByte = 3932
; NumSgprs: 61
; NumVgprs: 61
; ScratchSize: 16
; MemoryBound: 0
; FloatMode: 240
; IeeeMode: 1
; LDSByteSize: 14472 bytes/workgroup (compile time only)
; SGPRBlocks: 7
; VGPRBlocks: 7
; NumSGPRsForWavesPerEU: 61
; NumVGPRsForWavesPerEU: 61
; Occupancy: 16
; WaveLimiterHint : 1
; COMPUTE_PGM_RSRC2:SCRATCH_EN: 1
; COMPUTE_PGM_RSRC2:USER_SGPR: 15
; COMPUTE_PGM_RSRC2:TRAP_HANDLER: 0
; COMPUTE_PGM_RSRC2:TGID_X_EN: 1
; COMPUTE_PGM_RSRC2:TGID_Y_EN: 0
; COMPUTE_PGM_RSRC2:TGID_Z_EN: 0
; COMPUTE_PGM_RSRC2:TIDIG_COMP_CNT: 2
	.section	.text._ZN9rocsparseL38bsrgemm_block_per_row_atomic_multipassILj256ELj64ELj4Eii21rocsparse_complex_numIdEEEv20rocsparse_direction_T3_S4_PKS4_S6_NS_24const_host_device_scalarIT4_EEPKT2_S6_PKS8_SC_S6_SE_S9_SC_S6_SE_SC_PS4_PS8_PSA_21rocsparse_index_base_SI_SI_SI_bbb,"axG",@progbits,_ZN9rocsparseL38bsrgemm_block_per_row_atomic_multipassILj256ELj64ELj4Eii21rocsparse_complex_numIdEEEv20rocsparse_direction_T3_S4_PKS4_S6_NS_24const_host_device_scalarIT4_EEPKT2_S6_PKS8_SC_S6_SE_S9_SC_S6_SE_SC_PS4_PS8_PSA_21rocsparse_index_base_SI_SI_SI_bbb,comdat
	.globl	_ZN9rocsparseL38bsrgemm_block_per_row_atomic_multipassILj256ELj64ELj4Eii21rocsparse_complex_numIdEEEv20rocsparse_direction_T3_S4_PKS4_S6_NS_24const_host_device_scalarIT4_EEPKT2_S6_PKS8_SC_S6_SE_S9_SC_S6_SE_SC_PS4_PS8_PSA_21rocsparse_index_base_SI_SI_SI_bbb ; -- Begin function _ZN9rocsparseL38bsrgemm_block_per_row_atomic_multipassILj256ELj64ELj4Eii21rocsparse_complex_numIdEEEv20rocsparse_direction_T3_S4_PKS4_S6_NS_24const_host_device_scalarIT4_EEPKT2_S6_PKS8_SC_S6_SE_S9_SC_S6_SE_SC_PS4_PS8_PSA_21rocsparse_index_base_SI_SI_SI_bbb
	.p2align	8
	.type	_ZN9rocsparseL38bsrgemm_block_per_row_atomic_multipassILj256ELj64ELj4Eii21rocsparse_complex_numIdEEEv20rocsparse_direction_T3_S4_PKS4_S6_NS_24const_host_device_scalarIT4_EEPKT2_S6_PKS8_SC_S6_SE_S9_SC_S6_SE_SC_PS4_PS8_PSA_21rocsparse_index_base_SI_SI_SI_bbb,@function
_ZN9rocsparseL38bsrgemm_block_per_row_atomic_multipassILj256ELj64ELj4Eii21rocsparse_complex_numIdEEEv20rocsparse_direction_T3_S4_PKS4_S6_NS_24const_host_device_scalarIT4_EEPKT2_S6_PKS8_SC_S6_SE_S9_SC_S6_SE_SC_PS4_PS8_PSA_21rocsparse_index_base_SI_SI_SI_bbb: ; @_ZN9rocsparseL38bsrgemm_block_per_row_atomic_multipassILj256ELj64ELj4Eii21rocsparse_complex_numIdEEEv20rocsparse_direction_T3_S4_PKS4_S6_NS_24const_host_device_scalarIT4_EEPKT2_S6_PKS8_SC_S6_SE_S9_SC_S6_SE_SC_PS4_PS8_PSA_21rocsparse_index_base_SI_SI_SI_bbb
; %bb.0:
	s_clause 0x3
	s_load_b32 s12, s[0:1], 0xb8
	s_load_b128 s[8:11], s[0:1], 0x20
	s_load_b128 s[4:7], s[0:1], 0x60
	;; [unrolled: 1-line block ×3, first 2 shown]
	v_mov_b32_e32 v10, 0
	v_mov_b32_e32 v11, 0
	s_mov_b32 s46, s15
	s_waitcnt lgkmcnt(0)
	s_bitcmp1_b32 s12, 0
	v_dual_mov_b32 v1, s8 :: v_dual_mov_b32 v2, s9
	s_cselect_b32 s50, -1, 0
	s_bitcmp1_b32 s12, 16
	v_dual_mov_b32 v8, v10 :: v_dual_mov_b32 v9, v11
	s_cselect_b32 s2, -1, 0
	v_dual_mov_b32 v13, v11 :: v_dual_mov_b32 v12, v10
	s_xor_b32 s3, s2, -1
	v_dual_mov_b32 v3, s4 :: v_dual_mov_b32 v4, s5
	v_cndmask_b32_e64 v5, 0, 1, s3
	s_bitcmp0_b32 s12, 0
	s_clause 0x1
	scratch_store_b64 off, v[1:2], off
	scratch_store_b64 off, v[3:4], off offset:8
	v_cmp_ne_u32_e32 vcc_lo, 1, v5
	s_cbranch_scc1 .LBB75_3
; %bb.1:
	s_mov_b64 s[14:15], src_private_base
	s_and_b32 s13, s2, exec_lo
	s_cselect_b32 s13, s15, s9
	s_delay_alu instid0(SALU_CYCLE_1) | instskip(SKIP_2) | instid1(VALU_DEP_2)
	v_dual_mov_b32 v1, 0 :: v_dual_mov_b32 v2, s13
	v_dual_mov_b32 v13, s11 :: v_dual_mov_b32 v12, s10
	s_and_b32 vcc_lo, exec_lo, vcc_lo
	v_cndmask_b32_e64 v1, s8, v1, s2
	flat_load_b64 v[8:9], v[1:2]
	s_cbranch_vccnz .LBB75_3
; %bb.2:
	v_dual_mov_b32 v1, s8 :: v_dual_mov_b32 v2, s9
	flat_load_b64 v[12:13], v[1:2] offset:8
.LBB75_3:
	s_load_b64 s[8:9], s[0:1], 0x18
	s_bitcmp1_b32 s12, 8
	v_dual_mov_b32 v15, v11 :: v_dual_mov_b32 v14, v10
	s_cselect_b32 s33, -1, 0
	s_bfe_u32 s10, s12, 0x10008
	s_delay_alu instid0(SALU_CYCLE_1)
	s_cmp_eq_u32 s10, 0
	s_cbranch_scc1 .LBB75_6
; %bb.4:
	s_mov_b64 s[10:11], src_private_base
	s_and_b32 s10, s2, exec_lo
	s_cselect_b32 s10, s11, s5
	s_delay_alu instid0(SALU_CYCLE_1) | instskip(SKIP_2) | instid1(VALU_DEP_2)
	v_dual_mov_b32 v1, 8 :: v_dual_mov_b32 v2, s10
	v_dual_mov_b32 v11, s7 :: v_dual_mov_b32 v10, s6
	s_and_not1_b32 vcc_lo, exec_lo, s3
	v_cndmask_b32_e64 v1, s4, v1, s2
	flat_load_b64 v[14:15], v[1:2]
	s_cbranch_vccnz .LBB75_6
; %bb.5:
	v_dual_mov_b32 v1, s4 :: v_dual_mov_b32 v2, s5
	flat_load_b64 v[10:11], v[1:2] offset:8
.LBB75_6:
	s_load_b64 s[2:3], s[0:1], 0x30
	s_waitcnt lgkmcnt(0)
	s_cmp_eq_u64 s[8:9], 0
	s_cbranch_scc1 .LBB75_8
; %bb.7:
	s_load_b64 s[4:5], s[0:1], 0x10
	s_waitcnt lgkmcnt(0)
	s_load_b32 s4, s[4:5], 0x0
	s_mov_b32 s5, 0
	s_waitcnt lgkmcnt(0)
	s_add_i32 s4, s4, s46
	s_delay_alu instid0(SALU_CYCLE_1) | instskip(NEXT) | instid1(SALU_CYCLE_1)
	s_lshl_b64 s[4:5], s[4:5], 2
	s_add_u32 s4, s8, s4
	s_addc_u32 s5, s9, s5
	s_load_b32 s46, s[4:5], 0x0
.LBB75_8:
	s_mov_b32 s48, 0
	s_and_not1_b32 vcc_lo, exec_lo, s50
	s_mov_b32 s49, 0
	s_cbranch_vccz .LBB75_11
; %bb.9:
	s_and_not1_b32 vcc_lo, exec_lo, s50
	s_cbranch_vccz .LBB75_12
.LBB75_10:
	s_load_b128 s[36:39], s[0:1], 0x0
	s_waitcnt lgkmcnt(0)
	s_cmp_lt_i32 s37, 1
	s_cbranch_scc0 .LBB75_13
	s_branch .LBB75_102
.LBB75_11:
	s_waitcnt lgkmcnt(0)
	s_ashr_i32 s47, s46, 31
	s_delay_alu instid0(SALU_CYCLE_1) | instskip(NEXT) | instid1(SALU_CYCLE_1)
	s_lshl_b64 s[4:5], s[46:47], 2
	s_add_u32 s4, s2, s4
	s_addc_u32 s5, s3, s5
	s_load_b32 s4, s[4:5], 0x0
	s_waitcnt lgkmcnt(0)
	s_sub_i32 s49, s4, s28
	s_and_not1_b32 vcc_lo, exec_lo, s50
	s_cbranch_vccnz .LBB75_10
.LBB75_12:
	s_waitcnt lgkmcnt(0)
	s_ashr_i32 s47, s46, 31
	s_delay_alu instid0(SALU_CYCLE_1) | instskip(NEXT) | instid1(SALU_CYCLE_1)
	s_lshl_b64 s[4:5], s[46:47], 2
	s_add_u32 s2, s2, s4
	s_addc_u32 s3, s3, s5
	s_load_b32 s2, s[2:3], 0x4
	s_waitcnt lgkmcnt(0)
	s_sub_i32 s48, s2, s28
	s_load_b128 s[36:39], s[0:1], 0x0
	s_waitcnt lgkmcnt(0)
	s_cmp_lt_i32 s37, 1
	s_cbranch_scc1 .LBB75_102
.LBB75_13:
	s_clause 0x4
	s_load_b256 s[12:19], s[0:1], 0x70
	s_load_b64 s[34:35], s[0:1], 0xa0
	s_load_b128 s[40:43], s[0:1], 0x90
	s_load_b64 s[44:45], s[0:1], 0x58
	s_load_b256 s[20:27], s[0:1], 0x38
	s_ashr_i32 s47, s46, 31
	v_and_b32_e32 v16, 3, v0
	s_lshl_b64 s[52:53], s[46:47], 2
	v_bfe_u32 v17, v0, 2, 2
	v_dual_mov_b32 v47, 1 :: v_dual_and_b32 v2, 63, v0
	v_lshrrev_b32_e32 v29, 4, v0
	v_cmp_gt_u32_e64 s0, 64, v0
	v_cmp_eq_u32_e64 s1, 0, v0
	v_lshlrev_b32_e32 v30, 4, v0
	v_and_b32_e32 v31, 12, v0
	v_lshl_or_b32 v32, v0, 2, 0x5000
	v_or_b32_e32 v42, 0xffffff00, v0
	v_add_co_u32 v4, s39, v2, -1
	s_waitcnt lgkmcnt(0)
	s_add_u32 s2, s18, s52
	s_addc_u32 s3, s19, s53
	v_cmp_lt_u32_e64 s4, 1, v2
	s_load_b32 s11, s[2:3], 0x0
	v_cmp_ne_u32_e64 s3, 0, v2
	v_cmp_lt_u32_e64 s5, 3, v2
	v_cmp_lt_u32_e64 s6, 7, v2
	;; [unrolled: 1-line block ×4, first 2 shown]
	v_subrev_nc_u32_e32 v34, s31, v29
	v_lshl_add_u32 v36, v4, 2, 0x5000
	v_lshl_or_b32 v45, v29, 2, 0x5000
	v_mov_b32_e32 v50, 64
	s_waitcnt lgkmcnt(0)
	s_sub_i32 s11, s11, s30
	s_cmp_lt_i32 s49, s48
	v_dual_mov_b32 v46, s11 :: v_dual_lshlrev_b32 v5, 4, v17
	s_cselect_b32 s47, -1, 0
	s_cmp_eq_u32 s36, 0
	s_cselect_b32 vcc_lo, -1, 0
	v_dual_cndmask_b32 v18, v16, v17 :: v_dual_and_b32 v1, 15, v0
	v_mov_b32_e32 v0, 0
	s_cmp_lg_u32 s36, 0
	s_delay_alu instid0(VALU_DEP_2)
	v_cmp_eq_u32_e64 s2, 15, v1
	v_lshlrev_b32_e32 v1, 2, v2
	s_cselect_b32 s36, -1, 0
	s_cmp_gt_i32 s38, 0
	v_mov_b32_e32 v49, v0
	s_cselect_b32 s46, -1, 0
	v_or_b32_e32 v35, 0x5000, v1
	v_add_nc_u32_e32 v37, 0x4ff8, v1
	v_add_nc_u32_e32 v38, 0x4ff0, v1
	v_add_nc_u32_e32 v39, 0x4fe0, v1
	v_add_nc_u32_e32 v40, 0x4fc0, v1
	v_add_nc_u32_e32 v41, 0x4f80, v1
	v_mov_b32_e32 v1, v0
	v_max_i32_e32 v3, v16, v17
	v_dual_cndmask_b32 v19, v17, v16 :: v_dual_lshlrev_b32 v2, 8, v29
	s_add_u32 s18, s12, s52
	s_movk_i32 s12, 0xfc0
	s_delay_alu instid0(VALU_DEP_2)
	v_cmp_gt_i32_e64 s9, s38, v3
	v_cmp_le_i32_e64 s10, s38, v3
	v_or3_b32 v43, v2, v5, 0x4000
	v_mov_b32_e32 v2, v0
	v_mov_b32_e32 v3, v0
	v_or_b32_e32 v33, 0x4000, v30
	v_and_or_b32 v44, v30, s12, 0x4000
	v_cndmask_b32_e64 v48, 0, 1, s46
	s_addc_u32 s19, s13, s53
	s_and_b32 s47, s50, s47
	s_add_u32 s50, s24, 4
	s_addc_u32 s51, s25, 0
	s_mul_i32 s52, s38, s38
	s_branch .LBB75_15
.LBB75_14:                              ;   in Loop: Header=BB75_15 Depth=1
	s_set_inst_prefetch_distance 0x2
	s_or_b32 exec_lo, exec_lo, s11
	s_waitcnt_vscnt null, 0x0
	s_barrier
	buffer_gl0_inv
	ds_load_b32 v49, v0 offset:20736
	v_add_nc_u32_e32 v46, v6, v46
	s_waitcnt lgkmcnt(0)
	s_barrier
	buffer_gl0_inv
	v_cmp_le_i32_e32 vcc_lo, s37, v49
	v_add_nc_u32_e32 v50, 64, v49
	s_cbranch_vccnz .LBB75_102
.LBB75_15:                              ; =>This Loop Header: Depth=1
                                        ;     Child Loop BB75_18 Depth 2
                                        ;     Child Loop BB75_24 Depth 2
                                        ;       Child Loop BB75_37 Depth 3
                                        ;         Child Loop BB75_46 Depth 4
                                        ;         Child Loop BB75_51 Depth 4
	;; [unrolled: 1-line block ×4, first 2 shown]
                                        ;     Child Loop BB75_66 Depth 2
                                        ;       Child Loop BB75_71 Depth 3
                                        ;       Child Loop BB75_73 Depth 3
                                        ;     Child Loop BB75_78 Depth 2
                                        ;     Child Loop BB75_99 Depth 2
	s_and_saveexec_b32 s11, s0
	s_cbranch_execz .LBB75_17
; %bb.16:                               ;   in Loop: Header=BB75_15 Depth=1
	ds_store_b32 v32, v0
.LBB75_17:                              ;   in Loop: Header=BB75_15 Depth=1
	s_or_b32 exec_lo, exec_lo, s11
	v_mov_b32_e32 v4, v30
	v_mov_b32_e32 v5, v42
	s_mov_b32 s11, 0
.LBB75_18:                              ;   Parent Loop BB75_15 Depth=1
                                        ; =>  This Inner Loop Header: Depth=2
	s_delay_alu instid0(VALU_DEP_1) | instskip(SKIP_4) | instid1(SALU_CYCLE_1)
	v_add_nc_u32_e32 v5, 0x100, v5
	ds_store_b128 v4, v[0:3]
	v_add_nc_u32_e32 v4, 0x1000, v4
	v_cmp_lt_u32_e32 vcc_lo, 0x2ff, v5
	s_or_b32 s11, vcc_lo, s11
	s_and_not1_b32 exec_lo, exec_lo, s11
	s_cbranch_execnz .LBB75_18
; %bb.19:                               ;   in Loop: Header=BB75_15 Depth=1
	s_or_b32 exec_lo, exec_lo, s11
	s_and_saveexec_b32 s11, s1
	s_cbranch_execz .LBB75_21
; %bb.20:                               ;   in Loop: Header=BB75_15 Depth=1
	v_mov_b32_e32 v4, s37
	ds_store_b32 v0, v4 offset:20736
.LBB75_21:                              ;   in Loop: Header=BB75_15 Depth=1
	s_or_b32 exec_lo, exec_lo, s11
	v_mov_b32_e32 v51, s37
	s_and_not1_b32 vcc_lo, exec_lo, s47
	s_waitcnt vmcnt(0) lgkmcnt(0)
	s_waitcnt_vscnt null, 0x0
	s_barrier
	buffer_gl0_inv
	s_cbranch_vccnz .LBB75_61
; %bb.22:                               ;   in Loop: Header=BB75_15 Depth=1
	v_cmp_ne_u32_e64 s11, 0, v49
	v_mov_b32_e32 v51, s37
	s_mov_b32 s53, s49
	s_branch .LBB75_24
.LBB75_23:                              ;   in Loop: Header=BB75_24 Depth=2
	s_or_b32 exec_lo, exec_lo, s13
	s_add_i32 s53, s53, 16
	s_delay_alu instid0(SALU_CYCLE_1)
	s_cmp_lt_i32 s53, s48
	s_cbranch_scc0 .LBB75_61
.LBB75_24:                              ;   Parent Loop BB75_15 Depth=1
                                        ; =>  This Loop Header: Depth=2
                                        ;       Child Loop BB75_37 Depth 3
                                        ;         Child Loop BB75_46 Depth 4
                                        ;         Child Loop BB75_51 Depth 4
	;; [unrolled: 1-line block ×4, first 2 shown]
	v_add_nc_u32_e32 v4, s53, v29
	s_waitcnt_vscnt null, 0x0
	s_barrier
	buffer_gl0_inv
	v_cmp_gt_i32_e64 s12, s48, v4
	s_delay_alu instid0(VALU_DEP_1)
	s_and_saveexec_b32 s13, s12
	s_cbranch_execz .LBB75_29
; %bb.25:                               ;   in Loop: Header=BB75_24 Depth=2
	s_and_saveexec_b32 s54, s10
	s_delay_alu instid0(SALU_CYCLE_1)
	s_xor_b32 s54, exec_lo, s54
	s_cbranch_execz .LBB75_27
; %bb.26:                               ;   in Loop: Header=BB75_24 Depth=2
	ds_store_b128 v33, v[0:3]
.LBB75_27:                              ;   in Loop: Header=BB75_24 Depth=2
	s_and_not1_saveexec_b32 s54, s54
	s_cbranch_execz .LBB75_29
; %bb.28:                               ;   in Loop: Header=BB75_24 Depth=2
	v_mad_u64_u32 v[5:6], null, v4, s38, v[17:18]
	s_delay_alu instid0(VALU_DEP_1) | instskip(NEXT) | instid1(VALU_DEP_1)
	v_mad_u64_u32 v[6:7], null, v5, s38, v[16:17]
	v_ashrrev_i32_e32 v7, 31, v6
	s_delay_alu instid0(VALU_DEP_1) | instskip(NEXT) | instid1(VALU_DEP_1)
	v_lshlrev_b64 v[5:6], 4, v[6:7]
	v_add_co_u32 v5, vcc_lo, s22, v5
	s_delay_alu instid0(VALU_DEP_2)
	v_add_co_ci_u32_e32 v6, vcc_lo, s23, v6, vcc_lo
	global_load_b128 v[20:23], v[5:6], off
	s_waitcnt vmcnt(0)
	ds_store_2addr_b64 v33, v[20:21], v[22:23] offset1:1
.LBB75_29:                              ;   in Loop: Header=BB75_24 Depth=2
	s_or_b32 exec_lo, exec_lo, s13
	v_mov_b32_e32 v52, 0
	v_ashrrev_i32_e32 v5, 31, v4
	s_waitcnt lgkmcnt(0)
	s_barrier
	buffer_gl0_inv
	s_and_saveexec_b32 s54, s12
	s_cbranch_execz .LBB75_58
; %bb.30:                               ;   in Loop: Header=BB75_24 Depth=2
	v_lshlrev_b64 v[20:21], 2, v[4:5]
	s_delay_alu instid0(VALU_DEP_1) | instskip(NEXT) | instid1(VALU_DEP_2)
	v_add_co_u32 v6, vcc_lo, s20, v20
	v_add_co_ci_u32_e32 v7, vcc_lo, s21, v21, vcc_lo
	s_and_b32 vcc_lo, exec_lo, s11
	global_load_b32 v6, v[6:7], off
	s_waitcnt vmcnt(0)
	v_subrev_nc_u32_e32 v6, s28, v6
	s_delay_alu instid0(VALU_DEP_1)
	v_ashrrev_i32_e32 v7, 31, v6
	s_cbranch_vccz .LBB75_60
; %bb.31:                               ;   in Loop: Header=BB75_24 Depth=2
	v_add_co_u32 v20, vcc_lo, s34, v20
	v_add_co_ci_u32_e32 v21, vcc_lo, s35, v21, vcc_lo
	global_load_b32 v52, v[20:21], off
	s_cbranch_execnz .LBB75_33
.LBB75_32:                              ;   in Loop: Header=BB75_24 Depth=2
	s_delay_alu instid0(VALU_DEP_1) | instskip(NEXT) | instid1(VALU_DEP_1)
	v_lshlrev_b64 v[20:21], 2, v[6:7]
	v_add_co_u32 v20, vcc_lo, s24, v20
	s_delay_alu instid0(VALU_DEP_2)
	v_add_co_ci_u32_e32 v21, vcc_lo, s25, v21, vcc_lo
	global_load_b32 v20, v[20:21], off
	s_waitcnt vmcnt(0)
	v_subrev_nc_u32_e32 v52, s29, v20
.LBB75_33:                              ;   in Loop: Header=BB75_24 Depth=2
	v_lshlrev_b64 v[6:7], 2, v[6:7]
	s_mov_b32 s55, exec_lo
	s_delay_alu instid0(VALU_DEP_1) | instskip(NEXT) | instid1(VALU_DEP_2)
	v_add_co_u32 v6, vcc_lo, s50, v6
	v_add_co_ci_u32_e32 v7, vcc_lo, s51, v7, vcc_lo
	global_load_b32 v6, v[6:7], off
	s_waitcnt vmcnt(0)
	v_subrev_nc_u32_e32 v53, s29, v6
	s_delay_alu instid0(VALU_DEP_1)
	v_cmpx_lt_i32_e64 v52, v53
	s_cbranch_execz .LBB75_57
; %bb.34:                               ;   in Loop: Header=BB75_24 Depth=2
	v_mad_u64_u32 v[6:7], null, s38, v52, v[16:17]
	v_mov_b32_e32 v20, v52
	s_mov_b32 s56, 0
	s_delay_alu instid0(VALU_DEP_2)
	v_mul_lo_u32 v54, s38, v6
	v_mad_u64_u32 v[6:7], null, s52, v52, v[16:17]
	s_branch .LBB75_37
.LBB75_35:                              ;   in Loop: Header=BB75_37 Depth=3
	s_or_b32 exec_lo, exec_lo, s59
	s_delay_alu instid0(SALU_CYCLE_1)
	s_or_b32 s57, s57, exec_lo
.LBB75_36:                              ;   in Loop: Header=BB75_37 Depth=3
	s_or_b32 exec_lo, exec_lo, s58
	v_add_nc_u32_e32 v20, 1, v20
	s_xor_b32 s13, s57, -1
	v_add_nc_u32_e32 v54, s52, v54
	v_add_nc_u32_e32 v6, s52, v6
	s_delay_alu instid0(VALU_DEP_3) | instskip(SKIP_1) | instid1(SALU_CYCLE_1)
	v_cmp_ge_i32_e32 vcc_lo, v20, v53
	s_or_b32 s13, s13, vcc_lo
	s_and_b32 s13, exec_lo, s13
	s_delay_alu instid0(SALU_CYCLE_1) | instskip(NEXT) | instid1(SALU_CYCLE_1)
	s_or_b32 s56, s13, s56
	s_and_not1_b32 exec_lo, exec_lo, s56
	s_cbranch_execz .LBB75_56
.LBB75_37:                              ;   Parent Loop BB75_15 Depth=1
                                        ;     Parent Loop BB75_24 Depth=2
                                        ; =>    This Loop Header: Depth=3
                                        ;         Child Loop BB75_46 Depth 4
                                        ;         Child Loop BB75_51 Depth 4
	;; [unrolled: 1-line block ×4, first 2 shown]
	v_ashrrev_i32_e32 v21, 31, v20
                                        ; implicit-def: $sgpr57
	s_delay_alu instid0(VALU_DEP_1) | instskip(NEXT) | instid1(VALU_DEP_1)
	v_lshlrev_b64 v[21:22], 2, v[20:21]
	v_add_co_u32 v21, vcc_lo, s26, v21
	s_delay_alu instid0(VALU_DEP_2) | instskip(SKIP_3) | instid1(VALU_DEP_1)
	v_add_co_ci_u32_e32 v22, vcc_lo, s27, v22, vcc_lo
	global_load_b32 v7, v[21:22], off
	s_waitcnt vmcnt(0)
	v_subrev_nc_u32_e32 v7, s29, v7
	v_cmp_lt_i32_e64 s13, v7, v49
	v_cmp_ge_i32_e32 vcc_lo, v7, v50
	s_delay_alu instid0(VALU_DEP_2) | instskip(NEXT) | instid1(SALU_CYCLE_1)
	s_or_b32 s13, s13, vcc_lo
	s_and_saveexec_b32 s58, s13
	s_delay_alu instid0(SALU_CYCLE_1)
	s_xor_b32 s13, exec_lo, s58
	s_cbranch_execz .LBB75_41
; %bb.38:                               ;   in Loop: Header=BB75_37 Depth=3
	s_mov_b32 s57, -1
	s_and_saveexec_b32 s58, vcc_lo
; %bb.39:                               ;   in Loop: Header=BB75_37 Depth=3
	v_min_i32_e32 v51, v7, v51
	v_mov_b32_e32 v52, v20
	s_xor_b32 s57, exec_lo, -1
; %bb.40:                               ;   in Loop: Header=BB75_37 Depth=3
	s_or_b32 exec_lo, exec_lo, s58
	s_delay_alu instid0(SALU_CYCLE_1)
	s_and_b32 s57, s57, exec_lo
                                        ; implicit-def: $vgpr7
.LBB75_41:                              ;   in Loop: Header=BB75_37 Depth=3
	s_and_not1_saveexec_b32 s58, s13
	s_cbranch_execz .LBB75_36
; %bb.42:                               ;   in Loop: Header=BB75_37 Depth=3
	v_sub_nc_u32_e32 v7, v7, v49
	s_delay_alu instid0(VALU_DEP_1)
	v_lshlrev_b32_e32 v21, 2, v7
	ds_store_b32 v21, v47 offset:20480
	s_and_saveexec_b32 s59, s9
	s_cbranch_execz .LBB75_35
; %bb.43:                               ;   in Loop: Header=BB75_37 Depth=3
	v_cmp_ne_u32_e64 s13, 1, v48
	s_and_not1_b32 vcc_lo, exec_lo, s36
	s_cbranch_vccnz .LBB75_48
; %bb.44:                               ;   in Loop: Header=BB75_37 Depth=3
	v_mov_b32_e32 v21, 0
	v_mov_b32_e32 v22, 0
	s_and_b32 vcc_lo, exec_lo, s13
	s_delay_alu instid0(VALU_DEP_1)
	v_dual_mov_b32 v24, v22 :: v_dual_mov_b32 v23, v21
	s_cbranch_vccnz .LBB75_47
; %bb.45:                               ;   in Loop: Header=BB75_37 Depth=3
	v_mov_b32_e32 v21, 0
	v_dual_mov_b32 v22, 0 :: v_dual_mov_b32 v25, v54
	v_mov_b32_e32 v27, v43
	s_mov_b32 s13, s38
	s_delay_alu instid0(VALU_DEP_2)
	v_dual_mov_b32 v24, v22 :: v_dual_mov_b32 v23, v21
	.p2align	6
.LBB75_46:                              ;   Parent Loop BB75_15 Depth=1
                                        ;     Parent Loop BB75_24 Depth=2
                                        ;       Parent Loop BB75_37 Depth=3
                                        ; =>      This Inner Loop Header: Depth=4
	s_delay_alu instid0(VALU_DEP_3) | instskip(SKIP_3) | instid1(SALU_CYCLE_1)
	v_ashrrev_i32_e32 v26, 31, v25
	ds_load_b128 v[59:62], v27
	v_add_nc_u32_e32 v27, 64, v27
	s_add_i32 s13, s13, -1
	s_cmp_lg_u32 s13, 0
	v_lshlrev_b64 v[55:56], 4, v[25:26]
	v_add_nc_u32_e32 v25, 1, v25
	s_delay_alu instid0(VALU_DEP_2) | instskip(NEXT) | instid1(VALU_DEP_3)
	v_add_co_u32 v55, vcc_lo, s44, v55
	v_add_co_ci_u32_e32 v56, vcc_lo, s45, v56, vcc_lo
	global_load_b128 v[55:58], v[55:56], off
	s_waitcnt vmcnt(0) lgkmcnt(0)
	v_fma_f64 v[21:22], v[59:60], v[55:56], v[21:22]
	v_fma_f64 v[23:24], v[61:62], v[55:56], v[23:24]
	s_delay_alu instid0(VALU_DEP_2) | instskip(NEXT) | instid1(VALU_DEP_2)
	v_fma_f64 v[21:22], -v[61:62], v[57:58], v[21:22]
	v_fma_f64 v[23:24], v[59:60], v[57:58], v[23:24]
	s_cbranch_scc1 .LBB75_46
.LBB75_47:                              ;   in Loop: Header=BB75_37 Depth=3
	s_cbranch_execz .LBB75_49
	s_branch .LBB75_52
.LBB75_48:                              ;   in Loop: Header=BB75_37 Depth=3
                                        ; implicit-def: $vgpr21_vgpr22
                                        ; implicit-def: $vgpr23_vgpr24
.LBB75_49:                              ;   in Loop: Header=BB75_37 Depth=3
	v_mov_b32_e32 v21, 0
	v_mov_b32_e32 v22, 0
	s_and_not1_b32 vcc_lo, exec_lo, s46
	s_delay_alu instid0(VALU_DEP_1)
	v_dual_mov_b32 v24, v22 :: v_dual_mov_b32 v23, v21
	s_cbranch_vccnz .LBB75_52
; %bb.50:                               ;   in Loop: Header=BB75_37 Depth=3
	v_mov_b32_e32 v21, 0
	v_dual_mov_b32 v22, 0 :: v_dual_mov_b32 v27, v44
	v_mov_b32_e32 v25, v6
	s_mov_b32 s13, s38
	s_delay_alu instid0(VALU_DEP_2)
	v_dual_mov_b32 v24, v22 :: v_dual_mov_b32 v23, v21
	.p2align	6
.LBB75_51:                              ;   Parent Loop BB75_15 Depth=1
                                        ;     Parent Loop BB75_24 Depth=2
                                        ;       Parent Loop BB75_37 Depth=3
                                        ; =>      This Inner Loop Header: Depth=4
	s_delay_alu instid0(VALU_DEP_2) | instskip(SKIP_3) | instid1(SALU_CYCLE_1)
	v_ashrrev_i32_e32 v26, 31, v25
	ds_load_b128 v[59:62], v27
	v_add_nc_u32_e32 v27, 16, v27
	s_add_i32 s13, s13, -1
	s_cmp_eq_u32 s13, 0
	v_lshlrev_b64 v[55:56], 4, v[25:26]
	v_add_nc_u32_e32 v25, s38, v25
	s_delay_alu instid0(VALU_DEP_2) | instskip(NEXT) | instid1(VALU_DEP_3)
	v_add_co_u32 v55, vcc_lo, s44, v55
	v_add_co_ci_u32_e32 v56, vcc_lo, s45, v56, vcc_lo
	global_load_b128 v[55:58], v[55:56], off
	s_waitcnt vmcnt(0) lgkmcnt(0)
	v_fma_f64 v[21:22], v[59:60], v[55:56], v[21:22]
	v_fma_f64 v[23:24], v[61:62], v[55:56], v[23:24]
	s_delay_alu instid0(VALU_DEP_2) | instskip(NEXT) | instid1(VALU_DEP_2)
	v_fma_f64 v[21:22], -v[61:62], v[57:58], v[21:22]
	v_fma_f64 v[23:24], v[59:60], v[57:58], v[23:24]
	s_cbranch_scc0 .LBB75_51
.LBB75_52:                              ;   in Loop: Header=BB75_37 Depth=3
	s_delay_alu instid0(VALU_DEP_1) | instskip(SKIP_2) | instid1(VALU_DEP_1)
	v_mul_f64 v[25:26], v[23:24], -v[12:13]
	v_lshlrev_b32_e32 v7, 4, v7
	s_mov_b32 s13, 0
	v_or3_b32 v7, v7, v31, v16
	s_delay_alu instid0(VALU_DEP_1)
	v_lshlrev_b32_e32 v7, 4, v7
	ds_load_b64 v[27:28], v7
	v_fma_f64 v[25:26], v[8:9], v[21:22], v[25:26]
.LBB75_53:                              ;   Parent Loop BB75_15 Depth=1
                                        ;     Parent Loop BB75_24 Depth=2
                                        ;       Parent Loop BB75_37 Depth=3
                                        ; =>      This Inner Loop Header: Depth=4
	s_waitcnt lgkmcnt(0)
	s_delay_alu instid0(VALU_DEP_1)
	v_add_f64 v[55:56], v[27:28], v[25:26]
	ds_cmpstore_rtn_b64 v[55:56], v7, v[55:56], v[27:28]
	s_waitcnt lgkmcnt(0)
	v_cmp_eq_u64_e32 vcc_lo, v[55:56], v[27:28]
	v_dual_mov_b32 v27, v55 :: v_dual_mov_b32 v28, v56
	s_or_b32 s13, vcc_lo, s13
	s_delay_alu instid0(SALU_CYCLE_1)
	s_and_not1_b32 exec_lo, exec_lo, s13
	s_cbranch_execnz .LBB75_53
; %bb.54:                               ;   in Loop: Header=BB75_37 Depth=3
	s_or_b32 exec_lo, exec_lo, s13
	v_mul_f64 v[23:24], v[8:9], v[23:24]
	s_mov_b32 s13, 0
	s_delay_alu instid0(VALU_DEP_1)
	v_fma_f64 v[21:22], v[12:13], v[21:22], v[23:24]
	ds_load_b64 v[23:24], v7 offset:8
.LBB75_55:                              ;   Parent Loop BB75_15 Depth=1
                                        ;     Parent Loop BB75_24 Depth=2
                                        ;       Parent Loop BB75_37 Depth=3
                                        ; =>      This Inner Loop Header: Depth=4
	s_waitcnt lgkmcnt(0)
	v_add_f64 v[25:26], v[23:24], v[21:22]
	ds_cmpstore_rtn_b64 v[25:26], v7, v[25:26], v[23:24] offset:8
	s_waitcnt lgkmcnt(0)
	v_cmp_eq_u64_e32 vcc_lo, v[25:26], v[23:24]
	v_dual_mov_b32 v23, v25 :: v_dual_mov_b32 v24, v26
	s_or_b32 s13, vcc_lo, s13
	s_delay_alu instid0(SALU_CYCLE_1)
	s_and_not1_b32 exec_lo, exec_lo, s13
	s_cbranch_execnz .LBB75_55
	s_branch .LBB75_35
.LBB75_56:                              ;   in Loop: Header=BB75_24 Depth=2
	s_or_b32 exec_lo, exec_lo, s56
.LBB75_57:                              ;   in Loop: Header=BB75_24 Depth=2
	s_delay_alu instid0(SALU_CYCLE_1)
	s_or_b32 exec_lo, exec_lo, s55
.LBB75_58:                              ;   in Loop: Header=BB75_24 Depth=2
	s_delay_alu instid0(SALU_CYCLE_1)
	s_or_b32 exec_lo, exec_lo, s54
	s_waitcnt lgkmcnt(0)
	s_barrier
	buffer_gl0_inv
	s_and_saveexec_b32 s13, s12
	s_cbranch_execz .LBB75_23
; %bb.59:                               ;   in Loop: Header=BB75_24 Depth=2
	v_lshlrev_b64 v[4:5], 2, v[4:5]
	s_delay_alu instid0(VALU_DEP_1) | instskip(NEXT) | instid1(VALU_DEP_2)
	v_add_co_u32 v4, vcc_lo, s34, v4
	v_add_co_ci_u32_e32 v5, vcc_lo, s35, v5, vcc_lo
	global_store_b32 v[4:5], v52, off
	s_branch .LBB75_23
.LBB75_60:                              ;   in Loop: Header=BB75_24 Depth=2
                                        ; implicit-def: $vgpr52
	s_branch .LBB75_32
.LBB75_61:                              ;   in Loop: Header=BB75_15 Depth=1
	s_and_not1_b32 vcc_lo, exec_lo, s33
	s_cbranch_vccnz .LBB75_76
; %bb.62:                               ;   in Loop: Header=BB75_15 Depth=1
	s_load_b64 s[12:13], s[18:19], 0x0
	s_waitcnt lgkmcnt(0)
	v_add_nc_u32_e32 v20, s12, v34
	s_sub_i32 s53, s13, s31
	s_mov_b32 s13, exec_lo
	s_delay_alu instid0(VALU_DEP_1)
	v_cmpx_gt_i32_e64 s53, v20
	s_cbranch_execz .LBB75_75
; %bb.63:                               ;   in Loop: Header=BB75_15 Depth=1
	s_mov_b32 s54, 0
	s_branch .LBB75_66
.LBB75_64:                              ;   in Loop: Header=BB75_66 Depth=2
	s_or_b32 exec_lo, exec_lo, s55
	s_delay_alu instid0(SALU_CYCLE_1)
	s_or_b32 s11, s11, exec_lo
.LBB75_65:                              ;   in Loop: Header=BB75_66 Depth=2
	s_or_b32 exec_lo, exec_lo, s12
	v_add_nc_u32_e32 v20, 16, v20
	s_xor_b32 s11, s11, -1
	s_delay_alu instid0(VALU_DEP_1) | instskip(SKIP_1) | instid1(SALU_CYCLE_1)
	v_cmp_le_i32_e32 vcc_lo, s53, v20
	s_or_b32 s11, vcc_lo, s11
	s_and_b32 s11, exec_lo, s11
	s_delay_alu instid0(SALU_CYCLE_1) | instskip(NEXT) | instid1(SALU_CYCLE_1)
	s_or_b32 s54, s11, s54
	s_and_not1_b32 exec_lo, exec_lo, s54
	s_cbranch_execz .LBB75_74
.LBB75_66:                              ;   Parent Loop BB75_15 Depth=1
                                        ; =>  This Loop Header: Depth=2
                                        ;       Child Loop BB75_71 Depth 3
                                        ;       Child Loop BB75_73 Depth 3
	v_ashrrev_i32_e32 v21, 31, v20
	s_delay_alu instid0(VALU_DEP_1) | instskip(NEXT) | instid1(VALU_DEP_1)
	v_lshlrev_b64 v[4:5], 2, v[20:21]
	v_add_co_u32 v4, vcc_lo, s14, v4
	s_delay_alu instid0(VALU_DEP_2) | instskip(SKIP_3) | instid1(VALU_DEP_1)
	v_add_co_ci_u32_e32 v5, vcc_lo, s15, v5, vcc_lo
	global_load_b32 v4, v[4:5], off
	s_waitcnt vmcnt(0)
	v_subrev_nc_u32_e32 v4, s31, v4
	v_cmp_lt_i32_e64 s11, v4, v49
	v_cmp_ge_i32_e64 s12, v4, v50
	v_cmp_lt_i32_e32 vcc_lo, v4, v50
	s_delay_alu instid0(VALU_DEP_2) | instskip(NEXT) | instid1(SALU_CYCLE_1)
	s_or_b32 s12, s11, s12
                                        ; implicit-def: $sgpr11
	s_and_saveexec_b32 s55, s12
	s_delay_alu instid0(SALU_CYCLE_1)
	s_xor_b32 s12, exec_lo, s55
; %bb.67:                               ;   in Loop: Header=BB75_66 Depth=2
	v_min_i32_e32 v4, v4, v51
	s_and_b32 s11, vcc_lo, exec_lo
	s_delay_alu instid0(VALU_DEP_1)
	v_cndmask_b32_e32 v51, v4, v51, vcc_lo
                                        ; implicit-def: $vgpr4
; %bb.68:                               ;   in Loop: Header=BB75_66 Depth=2
	s_and_not1_saveexec_b32 s12, s12
	s_cbranch_execz .LBB75_65
; %bb.69:                               ;   in Loop: Header=BB75_66 Depth=2
	v_sub_nc_u32_e32 v23, v4, v49
	s_delay_alu instid0(VALU_DEP_1)
	v_lshlrev_b32_e32 v4, 2, v23
	ds_store_b32 v4, v47 offset:20480
	s_and_saveexec_b32 s55, s9
	s_cbranch_execz .LBB75_64
; %bb.70:                               ;   in Loop: Header=BB75_66 Depth=2
	v_mad_u64_u32 v[4:5], null, v20, s38, v[18:19]
	v_lshlrev_b32_e32 v23, 4, v23
	s_mov_b32 s56, 0
	s_delay_alu instid0(VALU_DEP_1) | instskip(NEXT) | instid1(VALU_DEP_3)
	v_or3_b32 v23, v23, v31, v16
	v_mad_u64_u32 v[5:6], null, v4, s38, v[19:20]
	s_delay_alu instid0(VALU_DEP_2) | instskip(NEXT) | instid1(VALU_DEP_2)
	v_lshlrev_b32_e32 v25, 4, v23
	v_ashrrev_i32_e32 v6, 31, v5
	ds_load_b64 v[23:24], v25
	v_lshlrev_b64 v[4:5], 4, v[5:6]
	s_delay_alu instid0(VALU_DEP_1) | instskip(NEXT) | instid1(VALU_DEP_2)
	v_add_co_u32 v4, vcc_lo, s16, v4
	v_add_co_ci_u32_e32 v5, vcc_lo, s17, v5, vcc_lo
	global_load_b128 v[4:7], v[4:5], off
	s_waitcnt vmcnt(0)
	v_mul_f64 v[21:22], v[6:7], -v[10:11]
	s_delay_alu instid0(VALU_DEP_1)
	v_fma_f64 v[21:22], v[14:15], v[4:5], v[21:22]
.LBB75_71:                              ;   Parent Loop BB75_15 Depth=1
                                        ;     Parent Loop BB75_66 Depth=2
                                        ; =>    This Inner Loop Header: Depth=3
	s_waitcnt lgkmcnt(0)
	s_delay_alu instid0(VALU_DEP_1)
	v_add_f64 v[26:27], v[23:24], v[21:22]
	ds_cmpstore_rtn_b64 v[26:27], v25, v[26:27], v[23:24]
	s_waitcnt lgkmcnt(0)
	v_cmp_eq_u64_e32 vcc_lo, v[26:27], v[23:24]
	v_dual_mov_b32 v23, v26 :: v_dual_mov_b32 v24, v27
	s_or_b32 s56, vcc_lo, s56
	s_delay_alu instid0(SALU_CYCLE_1)
	s_and_not1_b32 exec_lo, exec_lo, s56
	s_cbranch_execnz .LBB75_71
; %bb.72:                               ;   in Loop: Header=BB75_66 Depth=2
	s_or_b32 exec_lo, exec_lo, s56
	v_mul_f64 v[6:7], v[14:15], v[6:7]
	s_mov_b32 s56, 0
	s_delay_alu instid0(VALU_DEP_1)
	v_fma_f64 v[4:5], v[10:11], v[4:5], v[6:7]
	ds_load_b64 v[6:7], v25 offset:8
.LBB75_73:                              ;   Parent Loop BB75_15 Depth=1
                                        ;     Parent Loop BB75_66 Depth=2
                                        ; =>    This Inner Loop Header: Depth=3
	s_waitcnt lgkmcnt(0)
	v_add_f64 v[21:22], v[6:7], v[4:5]
	ds_cmpstore_rtn_b64 v[21:22], v25, v[21:22], v[6:7] offset:8
	s_waitcnt lgkmcnt(0)
	v_cmp_eq_u64_e32 vcc_lo, v[21:22], v[6:7]
	v_dual_mov_b32 v6, v21 :: v_dual_mov_b32 v7, v22
	s_or_b32 s56, vcc_lo, s56
	s_delay_alu instid0(SALU_CYCLE_1)
	s_and_not1_b32 exec_lo, exec_lo, s56
	s_cbranch_execnz .LBB75_73
	s_branch .LBB75_64
.LBB75_74:                              ;   in Loop: Header=BB75_15 Depth=1
	s_or_b32 exec_lo, exec_lo, s54
.LBB75_75:                              ;   in Loop: Header=BB75_15 Depth=1
	s_delay_alu instid0(SALU_CYCLE_1)
	s_or_b32 exec_lo, exec_lo, s13
.LBB75_76:                              ;   in Loop: Header=BB75_15 Depth=1
	s_and_saveexec_b32 s11, s2
	s_cbranch_execz .LBB75_81
; %bb.77:                               ;   in Loop: Header=BB75_15 Depth=1
	s_mov_b32 s13, exec_lo
	s_brev_b32 s12, -2
.LBB75_78:                              ;   Parent Loop BB75_15 Depth=1
                                        ; =>  This Inner Loop Header: Depth=2
	s_ctz_i32_b32 s53, s13
	s_delay_alu instid0(SALU_CYCLE_1) | instskip(SKIP_1) | instid1(SALU_CYCLE_1)
	v_readlane_b32 s54, v51, s53
	s_lshl_b32 s53, 1, s53
	s_and_not1_b32 s13, s13, s53
	s_delay_alu instid0(VALU_DEP_1)
	s_min_i32 s12, s12, s54
	s_cmp_lg_u32 s13, 0
	s_cbranch_scc1 .LBB75_78
; %bb.79:                               ;   in Loop: Header=BB75_15 Depth=1
	v_mbcnt_lo_u32_b32 v4, exec_lo, 0
	s_mov_b32 s13, exec_lo
	s_delay_alu instid0(VALU_DEP_1)
	v_cmpx_eq_u32_e32 0, v4
	s_xor_b32 s13, exec_lo, s13
	s_cbranch_execz .LBB75_81
; %bb.80:                               ;   in Loop: Header=BB75_15 Depth=1
	v_mov_b32_e32 v4, s12
	ds_min_i32 v0, v4 offset:20736
.LBB75_81:                              ;   in Loop: Header=BB75_15 Depth=1
	s_or_b32 exec_lo, exec_lo, s11
	s_waitcnt lgkmcnt(0)
	s_waitcnt_vscnt null, 0x0
	s_barrier
	buffer_gl0_inv
	ds_load_b32 v4, v35
	s_waitcnt lgkmcnt(0)
	s_barrier
	buffer_gl0_inv
	s_and_saveexec_b32 s11, s3
	s_cbranch_execz .LBB75_83
; %bb.82:                               ;   in Loop: Header=BB75_15 Depth=1
	ds_load_b32 v5, v36
	s_waitcnt lgkmcnt(0)
	v_add_nc_u32_e32 v4, v5, v4
.LBB75_83:                              ;   in Loop: Header=BB75_15 Depth=1
	s_or_b32 exec_lo, exec_lo, s11
	s_barrier
	buffer_gl0_inv
	ds_store_b32 v35, v4
	s_waitcnt lgkmcnt(0)
	s_barrier
	buffer_gl0_inv
	s_and_saveexec_b32 s11, s4
	s_cbranch_execz .LBB75_85
; %bb.84:                               ;   in Loop: Header=BB75_15 Depth=1
	ds_load_b32 v5, v37
	s_waitcnt lgkmcnt(0)
	v_add_nc_u32_e32 v4, v5, v4
.LBB75_85:                              ;   in Loop: Header=BB75_15 Depth=1
	s_or_b32 exec_lo, exec_lo, s11
	s_barrier
	buffer_gl0_inv
	ds_store_b32 v35, v4
	s_waitcnt lgkmcnt(0)
	s_barrier
	buffer_gl0_inv
	s_and_saveexec_b32 s11, s5
	s_cbranch_execz .LBB75_87
; %bb.86:                               ;   in Loop: Header=BB75_15 Depth=1
	ds_load_b32 v5, v38
	s_waitcnt lgkmcnt(0)
	v_add_nc_u32_e32 v4, v5, v4
.LBB75_87:                              ;   in Loop: Header=BB75_15 Depth=1
	s_or_b32 exec_lo, exec_lo, s11
	s_barrier
	buffer_gl0_inv
	ds_store_b32 v35, v4
	s_waitcnt lgkmcnt(0)
	s_barrier
	buffer_gl0_inv
	s_and_saveexec_b32 s11, s6
	s_cbranch_execz .LBB75_89
; %bb.88:                               ;   in Loop: Header=BB75_15 Depth=1
	ds_load_b32 v5, v39
	s_waitcnt lgkmcnt(0)
	v_add_nc_u32_e32 v4, v5, v4
.LBB75_89:                              ;   in Loop: Header=BB75_15 Depth=1
	s_or_b32 exec_lo, exec_lo, s11
	s_barrier
	buffer_gl0_inv
	ds_store_b32 v35, v4
	s_waitcnt lgkmcnt(0)
	s_barrier
	buffer_gl0_inv
	s_and_saveexec_b32 s11, s7
	s_cbranch_execz .LBB75_91
; %bb.90:                               ;   in Loop: Header=BB75_15 Depth=1
	ds_load_b32 v5, v40
	s_waitcnt lgkmcnt(0)
	v_add_nc_u32_e32 v4, v5, v4
.LBB75_91:                              ;   in Loop: Header=BB75_15 Depth=1
	s_or_b32 exec_lo, exec_lo, s11
	s_barrier
	buffer_gl0_inv
	ds_store_b32 v35, v4
	s_waitcnt lgkmcnt(0)
	s_barrier
	buffer_gl0_inv
	s_and_saveexec_b32 s11, s8
	s_cbranch_execz .LBB75_93
; %bb.92:                               ;   in Loop: Header=BB75_15 Depth=1
	ds_load_b32 v5, v41
	s_waitcnt lgkmcnt(0)
	v_add_nc_u32_e32 v4, v5, v4
.LBB75_93:                              ;   in Loop: Header=BB75_15 Depth=1
	s_or_b32 exec_lo, exec_lo, s11
	s_barrier
	buffer_gl0_inv
	ds_store_b32 v35, v4
	s_waitcnt lgkmcnt(0)
	s_barrier
	buffer_gl0_inv
	ds_load_b32 v6, v0 offset:20732
	v_mov_b32_e32 v5, 0
	s_and_saveexec_b32 s11, s39
	s_cbranch_execz .LBB75_95
; %bb.94:                               ;   in Loop: Header=BB75_15 Depth=1
	ds_load_b32 v5, v36
.LBB75_95:                              ;   in Loop: Header=BB75_15 Depth=1
	s_or_b32 exec_lo, exec_lo, s11
	s_waitcnt lgkmcnt(0)
	v_cmp_eq_u32_e32 vcc_lo, v4, v5
	s_barrier
	buffer_gl0_inv
	s_and_b32 s12, s39, vcc_lo
	s_delay_alu instid0(SALU_CYCLE_1)
	s_and_saveexec_b32 s11, s12
	s_cbranch_execz .LBB75_97
; %bb.96:                               ;   in Loop: Header=BB75_15 Depth=1
	ds_store_b32 v35, v0
.LBB75_97:                              ;   in Loop: Header=BB75_15 Depth=1
	s_or_b32 exec_lo, exec_lo, s11
	v_dual_mov_b32 v22, v30 :: v_dual_add_nc_u32 v7, -1, v46
	v_dual_mov_b32 v21, v45 :: v_dual_add_nc_u32 v20, s30, v49
	v_mov_b32_e32 v23, v29
	s_mov_b32 s11, 0
	s_waitcnt lgkmcnt(0)
	s_barrier
	buffer_gl0_inv
	s_set_inst_prefetch_distance 0x1
	s_branch .LBB75_99
	.p2align	6
.LBB75_98:                              ;   in Loop: Header=BB75_99 Depth=2
	s_or_b32 exec_lo, exec_lo, s12
	v_add_nc_u32_e32 v4, 16, v23
	v_cmp_lt_u32_e32 vcc_lo, 47, v23
	v_add_nc_u32_e32 v22, 0x1000, v22
	v_add_nc_u32_e32 v21, 64, v21
	s_delay_alu instid0(VALU_DEP_4) | instskip(SKIP_1) | instid1(SALU_CYCLE_1)
	v_mov_b32_e32 v23, v4
	s_or_b32 s11, vcc_lo, s11
	s_and_not1_b32 exec_lo, exec_lo, s11
	s_cbranch_execz .LBB75_14
.LBB75_99:                              ;   Parent Loop BB75_15 Depth=1
                                        ; =>  This Inner Loop Header: Depth=2
	ds_load_b32 v4, v21
	s_mov_b32 s12, exec_lo
	s_waitcnt lgkmcnt(0)
	v_cmpx_ne_u32_e32 0, v4
	s_cbranch_execz .LBB75_98
; %bb.100:                              ;   in Loop: Header=BB75_99 Depth=2
	v_add_nc_u32_e32 v4, v7, v4
	s_delay_alu instid0(VALU_DEP_1) | instskip(NEXT) | instid1(VALU_DEP_1)
	v_ashrrev_i32_e32 v5, 31, v4
	v_lshlrev_b64 v[24:25], 2, v[4:5]
	v_add_nc_u32_e32 v5, v20, v23
	s_delay_alu instid0(VALU_DEP_2) | instskip(NEXT) | instid1(VALU_DEP_3)
	v_add_co_u32 v24, vcc_lo, s40, v24
	v_add_co_ci_u32_e32 v25, vcc_lo, s41, v25, vcc_lo
	global_store_b32 v[24:25], v5, off
	s_and_b32 exec_lo, exec_lo, s9
	s_cbranch_execz .LBB75_98
; %bb.101:                              ;   in Loop: Header=BB75_99 Depth=2
	v_mad_u64_u32 v[24:25], null, v4, s38, v[18:19]
	s_delay_alu instid0(VALU_DEP_1) | instskip(SKIP_2) | instid1(VALU_DEP_1)
	v_mad_u64_u32 v[4:5], null, v24, s38, v[19:20]
	ds_load_2addr_b64 v[24:27], v22 offset1:1
	v_ashrrev_i32_e32 v5, 31, v4
	v_lshlrev_b64 v[4:5], 4, v[4:5]
	s_delay_alu instid0(VALU_DEP_1) | instskip(NEXT) | instid1(VALU_DEP_2)
	v_add_co_u32 v4, vcc_lo, s42, v4
	v_add_co_ci_u32_e32 v5, vcc_lo, s43, v5, vcc_lo
	s_waitcnt lgkmcnt(0)
	global_store_b128 v[4:5], v[24:27], off
	s_branch .LBB75_98
.LBB75_102:
	s_endpgm
	.section	.rodata,"a",@progbits
	.p2align	6, 0x0
	.amdhsa_kernel _ZN9rocsparseL38bsrgemm_block_per_row_atomic_multipassILj256ELj64ELj4Eii21rocsparse_complex_numIdEEEv20rocsparse_direction_T3_S4_PKS4_S6_NS_24const_host_device_scalarIT4_EEPKT2_S6_PKS8_SC_S6_SE_S9_SC_S6_SE_SC_PS4_PS8_PSA_21rocsparse_index_base_SI_SI_SI_bbb
		.amdhsa_group_segment_fixed_size 20744
		.amdhsa_private_segment_fixed_size 24
		.amdhsa_kernarg_size 188
		.amdhsa_user_sgpr_count 15
		.amdhsa_user_sgpr_dispatch_ptr 0
		.amdhsa_user_sgpr_queue_ptr 0
		.amdhsa_user_sgpr_kernarg_segment_ptr 1
		.amdhsa_user_sgpr_dispatch_id 0
		.amdhsa_user_sgpr_private_segment_size 0
		.amdhsa_wavefront_size32 1
		.amdhsa_uses_dynamic_stack 0
		.amdhsa_enable_private_segment 1
		.amdhsa_system_sgpr_workgroup_id_x 1
		.amdhsa_system_sgpr_workgroup_id_y 0
		.amdhsa_system_sgpr_workgroup_id_z 0
		.amdhsa_system_sgpr_workgroup_info 0
		.amdhsa_system_vgpr_workitem_id 0
		.amdhsa_next_free_vgpr 63
		.amdhsa_next_free_sgpr 60
		.amdhsa_reserve_vcc 1
		.amdhsa_float_round_mode_32 0
		.amdhsa_float_round_mode_16_64 0
		.amdhsa_float_denorm_mode_32 3
		.amdhsa_float_denorm_mode_16_64 3
		.amdhsa_dx10_clamp 1
		.amdhsa_ieee_mode 1
		.amdhsa_fp16_overflow 0
		.amdhsa_workgroup_processor_mode 1
		.amdhsa_memory_ordered 1
		.amdhsa_forward_progress 0
		.amdhsa_shared_vgpr_count 0
		.amdhsa_exception_fp_ieee_invalid_op 0
		.amdhsa_exception_fp_denorm_src 0
		.amdhsa_exception_fp_ieee_div_zero 0
		.amdhsa_exception_fp_ieee_overflow 0
		.amdhsa_exception_fp_ieee_underflow 0
		.amdhsa_exception_fp_ieee_inexact 0
		.amdhsa_exception_int_div_zero 0
	.end_amdhsa_kernel
	.section	.text._ZN9rocsparseL38bsrgemm_block_per_row_atomic_multipassILj256ELj64ELj4Eii21rocsparse_complex_numIdEEEv20rocsparse_direction_T3_S4_PKS4_S6_NS_24const_host_device_scalarIT4_EEPKT2_S6_PKS8_SC_S6_SE_S9_SC_S6_SE_SC_PS4_PS8_PSA_21rocsparse_index_base_SI_SI_SI_bbb,"axG",@progbits,_ZN9rocsparseL38bsrgemm_block_per_row_atomic_multipassILj256ELj64ELj4Eii21rocsparse_complex_numIdEEEv20rocsparse_direction_T3_S4_PKS4_S6_NS_24const_host_device_scalarIT4_EEPKT2_S6_PKS8_SC_S6_SE_S9_SC_S6_SE_SC_PS4_PS8_PSA_21rocsparse_index_base_SI_SI_SI_bbb,comdat
.Lfunc_end75:
	.size	_ZN9rocsparseL38bsrgemm_block_per_row_atomic_multipassILj256ELj64ELj4Eii21rocsparse_complex_numIdEEEv20rocsparse_direction_T3_S4_PKS4_S6_NS_24const_host_device_scalarIT4_EEPKT2_S6_PKS8_SC_S6_SE_S9_SC_S6_SE_SC_PS4_PS8_PSA_21rocsparse_index_base_SI_SI_SI_bbb, .Lfunc_end75-_ZN9rocsparseL38bsrgemm_block_per_row_atomic_multipassILj256ELj64ELj4Eii21rocsparse_complex_numIdEEEv20rocsparse_direction_T3_S4_PKS4_S6_NS_24const_host_device_scalarIT4_EEPKT2_S6_PKS8_SC_S6_SE_S9_SC_S6_SE_SC_PS4_PS8_PSA_21rocsparse_index_base_SI_SI_SI_bbb
                                        ; -- End function
	.section	.AMDGPU.csdata,"",@progbits
; Kernel info:
; codeLenInByte = 3924
; NumSgprs: 62
; NumVgprs: 63
; ScratchSize: 24
; MemoryBound: 0
; FloatMode: 240
; IeeeMode: 1
; LDSByteSize: 20744 bytes/workgroup (compile time only)
; SGPRBlocks: 7
; VGPRBlocks: 7
; NumSGPRsForWavesPerEU: 62
; NumVGPRsForWavesPerEU: 63
; Occupancy: 12
; WaveLimiterHint : 1
; COMPUTE_PGM_RSRC2:SCRATCH_EN: 1
; COMPUTE_PGM_RSRC2:USER_SGPR: 15
; COMPUTE_PGM_RSRC2:TRAP_HANDLER: 0
; COMPUTE_PGM_RSRC2:TGID_X_EN: 1
; COMPUTE_PGM_RSRC2:TGID_Y_EN: 0
; COMPUTE_PGM_RSRC2:TGID_Z_EN: 0
; COMPUTE_PGM_RSRC2:TIDIG_COMP_CNT: 0
	.section	.text._ZN9rocsparseL38bsrgemm_block_per_row_atomic_multipassILj256ELj128ELj4Eii21rocsparse_complex_numIdEEEv20rocsparse_direction_T3_S4_PKS4_S6_NS_24const_host_device_scalarIT4_EEPKT2_S6_PKS8_SC_S6_SE_S9_SC_S6_SE_SC_PS4_PS8_PSA_21rocsparse_index_base_SI_SI_SI_bbb,"axG",@progbits,_ZN9rocsparseL38bsrgemm_block_per_row_atomic_multipassILj256ELj128ELj4Eii21rocsparse_complex_numIdEEEv20rocsparse_direction_T3_S4_PKS4_S6_NS_24const_host_device_scalarIT4_EEPKT2_S6_PKS8_SC_S6_SE_S9_SC_S6_SE_SC_PS4_PS8_PSA_21rocsparse_index_base_SI_SI_SI_bbb,comdat
	.globl	_ZN9rocsparseL38bsrgemm_block_per_row_atomic_multipassILj256ELj128ELj4Eii21rocsparse_complex_numIdEEEv20rocsparse_direction_T3_S4_PKS4_S6_NS_24const_host_device_scalarIT4_EEPKT2_S6_PKS8_SC_S6_SE_S9_SC_S6_SE_SC_PS4_PS8_PSA_21rocsparse_index_base_SI_SI_SI_bbb ; -- Begin function _ZN9rocsparseL38bsrgemm_block_per_row_atomic_multipassILj256ELj128ELj4Eii21rocsparse_complex_numIdEEEv20rocsparse_direction_T3_S4_PKS4_S6_NS_24const_host_device_scalarIT4_EEPKT2_S6_PKS8_SC_S6_SE_S9_SC_S6_SE_SC_PS4_PS8_PSA_21rocsparse_index_base_SI_SI_SI_bbb
	.p2align	8
	.type	_ZN9rocsparseL38bsrgemm_block_per_row_atomic_multipassILj256ELj128ELj4Eii21rocsparse_complex_numIdEEEv20rocsparse_direction_T3_S4_PKS4_S6_NS_24const_host_device_scalarIT4_EEPKT2_S6_PKS8_SC_S6_SE_S9_SC_S6_SE_SC_PS4_PS8_PSA_21rocsparse_index_base_SI_SI_SI_bbb,@function
_ZN9rocsparseL38bsrgemm_block_per_row_atomic_multipassILj256ELj128ELj4Eii21rocsparse_complex_numIdEEEv20rocsparse_direction_T3_S4_PKS4_S6_NS_24const_host_device_scalarIT4_EEPKT2_S6_PKS8_SC_S6_SE_S9_SC_S6_SE_SC_PS4_PS8_PSA_21rocsparse_index_base_SI_SI_SI_bbb: ; @_ZN9rocsparseL38bsrgemm_block_per_row_atomic_multipassILj256ELj128ELj4Eii21rocsparse_complex_numIdEEEv20rocsparse_direction_T3_S4_PKS4_S6_NS_24const_host_device_scalarIT4_EEPKT2_S6_PKS8_SC_S6_SE_S9_SC_S6_SE_SC_PS4_PS8_PSA_21rocsparse_index_base_SI_SI_SI_bbb
; %bb.0:
	s_load_b32 s13, s[2:3], 0xb8
	s_load_b64 s[16:17], s[0:1], 0x4
	v_dual_mov_b32 v12, 0 :: v_dual_and_b32 v1, 0x3ff, v0
	s_clause 0x1
	s_load_b128 s[8:11], s[2:3], 0x20
	s_load_b128 s[4:7], s[2:3], 0x60
	v_bfe_u32 v3, v0, 10, 10
	s_load_b128 s[36:39], s[2:3], 0xa8
	v_bfe_u32 v0, v0, 20, 10
	v_mov_b32_e32 v13, 0
	s_mov_b32 s12, s15
	s_waitcnt lgkmcnt(0)
	s_bitcmp1_b32 s13, 0
	s_cselect_b32 s14, -1, 0
	s_bitcmp1_b32 s13, 16
	v_mov_b32_e32 v4, s4
	s_cselect_b32 s0, -1, 0
	s_lshr_b32 s1, s16, 16
	s_delay_alu instid0(SALU_CYCLE_1) | instskip(NEXT) | instid1(SALU_CYCLE_1)
	s_mul_i32 s1, s1, s17
	v_mul_lo_u32 v2, s1, v1
	s_xor_b32 s1, s0, -1
	s_bitcmp0_b32 s13, 0
	v_cndmask_b32_e64 v6, 0, 1, s1
	s_delay_alu instid0(VALU_DEP_2) | instskip(NEXT) | instid1(VALU_DEP_2)
	v_mad_u32_u24 v2, v3, s17, v2
	v_cmp_ne_u32_e32 vcc_lo, 1, v6
	s_delay_alu instid0(VALU_DEP_2) | instskip(SKIP_3) | instid1(VALU_DEP_4)
	v_add_lshl_u32 v0, v2, v0, 3
	v_dual_mov_b32 v2, s8 :: v_dual_mov_b32 v3, s9
	v_mov_b32_e32 v5, s5
	v_dual_mov_b32 v15, v13 :: v_dual_mov_b32 v14, v12
	v_dual_mov_b32 v17, v13 :: v_dual_add_nc_u32 v6, 8, v0
	v_mov_b32_e32 v16, v12
	ds_store_2addr_stride64_b64 v6, v[4:5], v[2:3] offset0:73 offset1:77
	s_cbranch_scc1 .LBB76_3
; %bb.1:
	s_mov_b64 s[16:17], src_shared_base
	s_and_b32 s15, s0, exec_lo
	s_cselect_b32 s15, s17, s9
	s_delay_alu instid0(SALU_CYCLE_1) | instskip(SKIP_2) | instid1(VALU_DEP_2)
	v_dual_mov_b32 v3, s15 :: v_dual_add_nc_u32 v2, 0x9a08, v0
	v_dual_mov_b32 v17, s11 :: v_dual_mov_b32 v16, s10
	s_and_b32 vcc_lo, exec_lo, vcc_lo
	v_cndmask_b32_e64 v2, s8, v2, s0
	flat_load_b64 v[14:15], v[2:3]
	s_cbranch_vccnz .LBB76_3
; %bb.2:
	v_dual_mov_b32 v2, s8 :: v_dual_mov_b32 v3, s9
	flat_load_b64 v[16:17], v[2:3] offset:8
.LBB76_3:
	s_load_b64 s[8:9], s[2:3], 0x18
	s_bitcmp1_b32 s13, 8
	v_dual_mov_b32 v19, v13 :: v_dual_mov_b32 v18, v12
	s_cselect_b32 s33, -1, 0
	s_bfe_u32 s10, s13, 0x10008
	s_delay_alu instid0(SALU_CYCLE_1)
	s_cmp_eq_u32 s10, 0
	s_cbranch_scc1 .LBB76_6
; %bb.4:
	s_mov_b64 s[10:11], src_shared_base
	s_and_b32 s10, s0, exec_lo
	s_cselect_b32 s10, s11, s5
	s_delay_alu instid0(SALU_CYCLE_1) | instskip(SKIP_2) | instid1(VALU_DEP_2)
	v_dual_mov_b32 v3, s10 :: v_dual_add_nc_u32 v0, 0x9208, v0
	v_dual_mov_b32 v13, s7 :: v_dual_mov_b32 v12, s6
	s_and_not1_b32 vcc_lo, exec_lo, s1
	v_cndmask_b32_e64 v2, s4, v0, s0
	flat_load_b64 v[18:19], v[2:3]
	s_cbranch_vccnz .LBB76_6
; %bb.5:
	v_dual_mov_b32 v2, s4 :: v_dual_mov_b32 v3, s5
	flat_load_b64 v[12:13], v[2:3] offset:8
.LBB76_6:
	s_load_b64 s[0:1], s[2:3], 0x30
	s_waitcnt lgkmcnt(0)
	s_cmp_eq_u64 s[8:9], 0
	s_cbranch_scc1 .LBB76_8
; %bb.7:
	s_load_b64 s[4:5], s[2:3], 0x10
	s_waitcnt lgkmcnt(0)
	s_load_b32 s4, s[4:5], 0x0
	s_mov_b32 s5, 0
	s_waitcnt lgkmcnt(0)
	s_add_i32 s4, s4, s12
	s_delay_alu instid0(SALU_CYCLE_1) | instskip(NEXT) | instid1(SALU_CYCLE_1)
	s_lshl_b64 s[4:5], s[4:5], 2
	s_add_u32 s4, s8, s4
	s_addc_u32 s5, s9, s5
	s_load_b32 s12, s[4:5], 0x0
.LBB76_8:
	s_mov_b32 s54, 0
	s_and_not1_b32 vcc_lo, exec_lo, s14
	s_mov_b32 s55, 0
	s_cbranch_vccz .LBB76_11
; %bb.9:
	s_and_not1_b32 vcc_lo, exec_lo, s14
	s_cbranch_vccz .LBB76_12
.LBB76_10:
	s_load_b128 s[40:43], s[2:3], 0x0
	s_waitcnt lgkmcnt(0)
	s_cmp_lt_i32 s41, 1
	s_cbranch_scc0 .LBB76_13
	s_branch .LBB76_104
.LBB76_11:
	s_waitcnt lgkmcnt(0)
	s_ashr_i32 s13, s12, 31
	s_delay_alu instid0(SALU_CYCLE_1) | instskip(NEXT) | instid1(SALU_CYCLE_1)
	s_lshl_b64 s[4:5], s[12:13], 2
	s_add_u32 s4, s0, s4
	s_addc_u32 s5, s1, s5
	s_load_b32 s4, s[4:5], 0x0
	s_waitcnt lgkmcnt(0)
	s_sub_i32 s55, s4, s36
	s_and_not1_b32 vcc_lo, exec_lo, s14
	s_cbranch_vccnz .LBB76_10
.LBB76_12:
	s_waitcnt lgkmcnt(0)
	s_ashr_i32 s13, s12, 31
	s_delay_alu instid0(SALU_CYCLE_1) | instskip(NEXT) | instid1(SALU_CYCLE_1)
	s_lshl_b64 s[4:5], s[12:13], 2
	s_add_u32 s0, s0, s4
	s_addc_u32 s1, s1, s5
	s_load_b32 s0, s[0:1], 0x4
	s_waitcnt lgkmcnt(0)
	s_sub_i32 s54, s0, s36
	s_load_b128 s[40:43], s[2:3], 0x0
	s_waitcnt lgkmcnt(0)
	s_cmp_lt_i32 s41, 1
	s_cbranch_scc1 .LBB76_104
.LBB76_13:
	s_clause 0x4
	s_load_b256 s[16:23], s[2:3], 0x70
	s_load_b64 s[34:35], s[2:3], 0xa0
	s_load_b128 s[44:47], s[2:3], 0x90
	s_load_b64 s[52:53], s[2:3], 0x58
	s_load_b256 s[24:31], s[2:3], 0x38
	s_ashr_i32 s13, s12, 31
	s_mov_b32 s48, 0
	s_lshl_b64 s[12:13], s[12:13], 2
	s_mov_b32 s49, s48
	s_mov_b32 s50, s48
	;; [unrolled: 1-line block ×3, first 2 shown]
	v_and_b32_e32 v2, 0x7f, v1
	v_bfe_u32 v21, v1, 2, 2
	v_lshrrev_b32_e32 v30, 4, v1
	v_cmp_gt_u32_e64 s0, 0x80, v1
	v_cmp_eq_u32_e64 s1, 0, v1
	v_lshlrev_b32_e32 v31, 4, v1
	v_and_b32_e32 v32, 12, v1
	v_lshl_or_b32 v33, v1, 2, 0x9000
	v_subrev_nc_u32_e32 v35, s39, v30
	s_waitcnt lgkmcnt(0)
	s_add_u32 s2, s22, s12
	s_addc_u32 s3, s23, s13
	v_add_co_u32 v4, s22, v2, -1
	s_load_b32 s11, s[2:3], 0x0
	v_lshl_or_b32 v46, v30, 2, 0x9000
	v_mov_b32_e32 v49, 1
	s_delay_alu instid0(VALU_DEP_3)
	v_lshl_add_u32 v37, v4, 2, 0x9000
	v_dual_mov_b32 v4, s48 :: v_dual_mov_b32 v5, s49
	v_mov_b32_e32 v7, s51
	v_cmp_ne_u32_e64 s3, 0, v2
	v_cmp_lt_u32_e64 s4, 1, v2
	v_cmp_lt_u32_e64 s5, 3, v2
	;; [unrolled: 1-line block ×5, first 2 shown]
	v_mov_b32_e32 v52, 0x80
	v_mov_b32_e32 v48, 0
	v_dual_mov_b32 v6, s50 :: v_dual_mov_b32 v51, 0
	s_mul_i32 s50, s42, s42
	s_waitcnt lgkmcnt(0)
	s_sub_i32 s15, s11, s38
	s_cmp_lt_i32 s55, s54
	v_dual_mov_b32 v47, s15 :: v_dual_and_b32 v20, 3, v1
	s_cselect_b32 s43, -1, 0
	s_cmp_eq_u32 s40, 0
	v_cmp_lt_u32_e64 s11, 63, v2
	s_cselect_b32 vcc_lo, -1, 0
	v_dual_cndmask_b32 v23, v21, v20 :: v_dual_and_b32 v0, 15, v1
	s_cmp_lg_u32 s40, 0
	v_max_i32_e32 v3, v20, v21
	s_cselect_b32 s23, -1, 0
	s_delay_alu instid0(VALU_DEP_2)
	v_cmp_eq_u32_e64 s2, 15, v0
	v_lshlrev_b32_e32 v0, 2, v2
	s_cmp_gt_i32 s42, 0
	v_lshlrev_b32_e32 v2, 4, v21
	s_cselect_b32 s40, -1, 0
	s_add_u32 s16, s16, s12
	v_or_b32_e32 v36, 0x9000, v0
	v_add_nc_u32_e32 v38, 0x8ff8, v0
	v_dual_cndmask_b32 v22, v20, v21 :: v_dual_add_nc_u32 v39, 0x8ff0, v0
	v_add_nc_u32_e32 v40, 0x8fe0, v0
	v_add_nc_u32_e32 v41, 0x8fc0, v0
	;; [unrolled: 1-line block ×4, first 2 shown]
	v_or_b32_e32 v0, 0x400, v1
	v_lshlrev_b32_e32 v1, 8, v30
	s_addc_u32 s17, s17, s13
	s_movk_i32 s13, 0xfc0
	v_cmp_gt_i32_e64 s9, s42, v3
	v_cmp_le_i32_e64 s10, s42, v3
	v_cmp_gt_u32_e64 s12, 0x700, v0
	v_or3_b32 v44, v1, v2, 0x8000
	v_mov_b32_e32 v0, 0
	v_or_b32_e32 v34, 0x8000, v31
	v_and_or_b32 v45, v31, s13, 0x8000
	v_cndmask_b32_e64 v50, 0, 1, s40
	s_and_b32 s43, s14, s43
	s_add_u32 s48, s28, 4
	s_addc_u32 s49, s29, 0
	s_branch .LBB76_15
.LBB76_14:                              ;   in Loop: Header=BB76_15 Depth=1
	s_set_inst_prefetch_distance 0x2
	s_or_b32 exec_lo, exec_lo, s13
	s_waitcnt_vscnt null, 0x0
	s_barrier
	buffer_gl0_inv
	ds_load_b32 v51, v48 offset:37376
	v_add_nc_u32_e32 v47, v3, v47
	s_waitcnt lgkmcnt(0)
	s_barrier
	buffer_gl0_inv
	v_cmp_le_i32_e32 vcc_lo, s41, v51
	v_add_nc_u32_e32 v52, 0x80, v51
	s_cbranch_vccnz .LBB76_104
.LBB76_15:                              ; =>This Loop Header: Depth=1
                                        ;     Child Loop BB76_24 Depth 2
                                        ;       Child Loop BB76_37 Depth 3
                                        ;         Child Loop BB76_46 Depth 4
                                        ;         Child Loop BB76_51 Depth 4
                                        ;         Child Loop BB76_53 Depth 4
                                        ;         Child Loop BB76_55 Depth 4
                                        ;     Child Loop BB76_66 Depth 2
                                        ;       Child Loop BB76_71 Depth 3
                                        ;       Child Loop BB76_73 Depth 3
                                        ;     Child Loop BB76_78 Depth 2
                                        ;     Child Loop BB76_101 Depth 2
	s_and_saveexec_b32 s13, s0
	s_cbranch_execz .LBB76_17
; %bb.16:                               ;   in Loop: Header=BB76_15 Depth=1
	ds_store_b32 v33, v48
.LBB76_17:                              ;   in Loop: Header=BB76_15 Depth=1
	s_or_b32 exec_lo, exec_lo, s13
	ds_store_b128 v31, v[4:7]
	ds_store_b128 v31, v[4:7] offset:4096
	ds_store_b128 v31, v[4:7] offset:8192
	;; [unrolled: 1-line block ×4, first 2 shown]
	s_and_saveexec_b32 s13, s12
	s_delay_alu instid0(SALU_CYCLE_1)
	s_xor_b32 s13, exec_lo, s13
	s_cbranch_execz .LBB76_19
; %bb.18:                               ;   in Loop: Header=BB76_15 Depth=1
	ds_store_b128 v31, v[4:7] offset:20480
	ds_store_b128 v31, v[4:7] offset:24576
	;; [unrolled: 1-line block ×3, first 2 shown]
.LBB76_19:                              ;   in Loop: Header=BB76_15 Depth=1
	s_or_b32 exec_lo, exec_lo, s13
	s_and_saveexec_b32 s13, s1
	s_cbranch_execz .LBB76_21
; %bb.20:                               ;   in Loop: Header=BB76_15 Depth=1
	v_mov_b32_e32 v1, s41
	ds_store_b32 v48, v1 offset:37376
.LBB76_21:                              ;   in Loop: Header=BB76_15 Depth=1
	s_or_b32 exec_lo, exec_lo, s13
	v_mov_b32_e32 v53, s41
	s_and_not1_b32 vcc_lo, exec_lo, s43
	s_waitcnt vmcnt(0) lgkmcnt(0)
	s_barrier
	buffer_gl0_inv
	s_cbranch_vccnz .LBB76_61
; %bb.22:                               ;   in Loop: Header=BB76_15 Depth=1
	v_cmp_ne_u32_e64 s13, 0, v51
	v_mov_b32_e32 v53, s41
	s_mov_b32 s51, s55
	s_branch .LBB76_24
.LBB76_23:                              ;   in Loop: Header=BB76_24 Depth=2
	s_or_b32 exec_lo, exec_lo, s15
	s_add_i32 s51, s51, 16
	s_delay_alu instid0(SALU_CYCLE_1)
	s_cmp_lt_i32 s51, s54
	s_cbranch_scc0 .LBB76_61
.LBB76_24:                              ;   Parent Loop BB76_15 Depth=1
                                        ; =>  This Loop Header: Depth=2
                                        ;       Child Loop BB76_37 Depth 3
                                        ;         Child Loop BB76_46 Depth 4
                                        ;         Child Loop BB76_51 Depth 4
	;; [unrolled: 1-line block ×4, first 2 shown]
	v_add_nc_u32_e32 v8, s51, v30
	s_waitcnt_vscnt null, 0x0
	s_barrier
	buffer_gl0_inv
	v_cmp_gt_i32_e64 s14, s54, v8
	s_delay_alu instid0(VALU_DEP_1)
	s_and_saveexec_b32 s15, s14
	s_cbranch_execz .LBB76_29
; %bb.25:                               ;   in Loop: Header=BB76_24 Depth=2
	s_and_saveexec_b32 s56, s10
	s_delay_alu instid0(SALU_CYCLE_1)
	s_xor_b32 s56, exec_lo, s56
	s_cbranch_execz .LBB76_27
; %bb.26:                               ;   in Loop: Header=BB76_24 Depth=2
	v_mov_b32_e32 v1, v0
	v_mov_b32_e32 v2, v0
	v_mov_b32_e32 v3, v0
	ds_store_b128 v34, v[0:3]
.LBB76_27:                              ;   in Loop: Header=BB76_24 Depth=2
	s_and_not1_saveexec_b32 s56, s56
	s_cbranch_execz .LBB76_29
; %bb.28:                               ;   in Loop: Header=BB76_24 Depth=2
	v_mad_u64_u32 v[1:2], null, v8, s42, v[21:22]
	s_delay_alu instid0(VALU_DEP_1) | instskip(NEXT) | instid1(VALU_DEP_1)
	v_mad_u64_u32 v[2:3], null, v1, s42, v[20:21]
	v_ashrrev_i32_e32 v3, 31, v2
	s_delay_alu instid0(VALU_DEP_1) | instskip(NEXT) | instid1(VALU_DEP_1)
	v_lshlrev_b64 v[1:2], 4, v[2:3]
	v_add_co_u32 v1, vcc_lo, s26, v1
	s_delay_alu instid0(VALU_DEP_2)
	v_add_co_ci_u32_e32 v2, vcc_lo, s27, v2, vcc_lo
	global_load_b128 v[24:27], v[1:2], off
	s_waitcnt vmcnt(0)
	ds_store_2addr_b64 v34, v[24:25], v[26:27] offset1:1
.LBB76_29:                              ;   in Loop: Header=BB76_24 Depth=2
	s_or_b32 exec_lo, exec_lo, s15
	v_mov_b32_e32 v54, 0
	v_ashrrev_i32_e32 v9, 31, v8
	s_waitcnt lgkmcnt(0)
	s_barrier
	buffer_gl0_inv
	s_and_saveexec_b32 s56, s14
	s_cbranch_execz .LBB76_58
; %bb.30:                               ;   in Loop: Header=BB76_24 Depth=2
	v_lshlrev_b64 v[10:11], 2, v[8:9]
	s_delay_alu instid0(VALU_DEP_1) | instskip(NEXT) | instid1(VALU_DEP_2)
	v_add_co_u32 v1, vcc_lo, s24, v10
	v_add_co_ci_u32_e32 v2, vcc_lo, s25, v11, vcc_lo
	s_and_b32 vcc_lo, exec_lo, s13
	global_load_b32 v1, v[1:2], off
	s_waitcnt vmcnt(0)
	v_subrev_nc_u32_e32 v1, s36, v1
	s_delay_alu instid0(VALU_DEP_1)
	v_ashrrev_i32_e32 v2, 31, v1
	s_cbranch_vccz .LBB76_60
; %bb.31:                               ;   in Loop: Header=BB76_24 Depth=2
	v_add_co_u32 v10, vcc_lo, s34, v10
	v_add_co_ci_u32_e32 v11, vcc_lo, s35, v11, vcc_lo
	global_load_b32 v54, v[10:11], off
	s_cbranch_execnz .LBB76_33
.LBB76_32:                              ;   in Loop: Header=BB76_24 Depth=2
	s_delay_alu instid0(VALU_DEP_1) | instskip(NEXT) | instid1(VALU_DEP_1)
	v_lshlrev_b64 v[10:11], 2, v[1:2]
	v_add_co_u32 v10, vcc_lo, s28, v10
	s_delay_alu instid0(VALU_DEP_2)
	v_add_co_ci_u32_e32 v11, vcc_lo, s29, v11, vcc_lo
	global_load_b32 v3, v[10:11], off
	s_waitcnt vmcnt(0)
	v_subrev_nc_u32_e32 v54, s37, v3
.LBB76_33:                              ;   in Loop: Header=BB76_24 Depth=2
	v_lshlrev_b64 v[1:2], 2, v[1:2]
	s_mov_b32 s57, exec_lo
	s_delay_alu instid0(VALU_DEP_1) | instskip(NEXT) | instid1(VALU_DEP_2)
	v_add_co_u32 v1, vcc_lo, s48, v1
	v_add_co_ci_u32_e32 v2, vcc_lo, s49, v2, vcc_lo
	global_load_b32 v1, v[1:2], off
	s_waitcnt vmcnt(0)
	v_subrev_nc_u32_e32 v55, s37, v1
	s_delay_alu instid0(VALU_DEP_1)
	v_cmpx_lt_i32_e64 v54, v55
	s_cbranch_execz .LBB76_57
; %bb.34:                               ;   in Loop: Header=BB76_24 Depth=2
	v_mad_u64_u32 v[1:2], null, s42, v54, v[20:21]
	s_mov_b32 s58, 0
	s_delay_alu instid0(VALU_DEP_1)
	v_mul_lo_u32 v56, s42, v1
	v_mad_u64_u32 v[1:2], null, s50, v54, v[20:21]
	v_mov_b32_e32 v2, v54
	s_branch .LBB76_37
.LBB76_35:                              ;   in Loop: Header=BB76_37 Depth=3
	s_or_b32 exec_lo, exec_lo, s61
	s_delay_alu instid0(SALU_CYCLE_1)
	s_or_b32 s59, s59, exec_lo
.LBB76_36:                              ;   in Loop: Header=BB76_37 Depth=3
	s_or_b32 exec_lo, exec_lo, s60
	v_add_nc_u32_e32 v2, 1, v2
	s_xor_b32 s15, s59, -1
	v_add_nc_u32_e32 v56, s50, v56
	v_add_nc_u32_e32 v1, s50, v1
	s_delay_alu instid0(VALU_DEP_3) | instskip(SKIP_1) | instid1(SALU_CYCLE_1)
	v_cmp_ge_i32_e32 vcc_lo, v2, v55
	s_or_b32 s15, s15, vcc_lo
	s_and_b32 s15, exec_lo, s15
	s_delay_alu instid0(SALU_CYCLE_1) | instskip(NEXT) | instid1(SALU_CYCLE_1)
	s_or_b32 s58, s15, s58
	s_and_not1_b32 exec_lo, exec_lo, s58
	s_cbranch_execz .LBB76_56
.LBB76_37:                              ;   Parent Loop BB76_15 Depth=1
                                        ;     Parent Loop BB76_24 Depth=2
                                        ; =>    This Loop Header: Depth=3
                                        ;         Child Loop BB76_46 Depth 4
                                        ;         Child Loop BB76_51 Depth 4
	;; [unrolled: 1-line block ×4, first 2 shown]
	s_delay_alu instid0(VALU_DEP_1) | instskip(NEXT) | instid1(VALU_DEP_1)
	v_ashrrev_i32_e32 v3, 31, v2
                                        ; implicit-def: $sgpr59
	v_lshlrev_b64 v[10:11], 2, v[2:3]
	s_delay_alu instid0(VALU_DEP_1) | instskip(NEXT) | instid1(VALU_DEP_2)
	v_add_co_u32 v10, vcc_lo, s30, v10
	v_add_co_ci_u32_e32 v11, vcc_lo, s31, v11, vcc_lo
	global_load_b32 v3, v[10:11], off
	s_waitcnt vmcnt(0)
	v_subrev_nc_u32_e32 v3, s37, v3
	s_delay_alu instid0(VALU_DEP_1) | instskip(SKIP_1) | instid1(VALU_DEP_2)
	v_cmp_lt_i32_e64 s15, v3, v51
	v_cmp_ge_i32_e32 vcc_lo, v3, v52
	s_or_b32 s15, s15, vcc_lo
	s_delay_alu instid0(SALU_CYCLE_1) | instskip(NEXT) | instid1(SALU_CYCLE_1)
	s_and_saveexec_b32 s60, s15
	s_xor_b32 s15, exec_lo, s60
	s_cbranch_execz .LBB76_41
; %bb.38:                               ;   in Loop: Header=BB76_37 Depth=3
	s_mov_b32 s59, -1
	s_and_saveexec_b32 s60, vcc_lo
; %bb.39:                               ;   in Loop: Header=BB76_37 Depth=3
	v_min_i32_e32 v53, v3, v53
	v_mov_b32_e32 v54, v2
	s_xor_b32 s59, exec_lo, -1
; %bb.40:                               ;   in Loop: Header=BB76_37 Depth=3
	s_or_b32 exec_lo, exec_lo, s60
	s_delay_alu instid0(SALU_CYCLE_1)
	s_and_b32 s59, s59, exec_lo
                                        ; implicit-def: $vgpr3
.LBB76_41:                              ;   in Loop: Header=BB76_37 Depth=3
	s_and_not1_saveexec_b32 s60, s15
	s_cbranch_execz .LBB76_36
; %bb.42:                               ;   in Loop: Header=BB76_37 Depth=3
	v_sub_nc_u32_e32 v3, v3, v51
	s_delay_alu instid0(VALU_DEP_1)
	v_lshlrev_b32_e32 v10, 2, v3
	ds_store_b32 v10, v49 offset:36864
	s_and_saveexec_b32 s61, s9
	s_cbranch_execz .LBB76_35
; %bb.43:                               ;   in Loop: Header=BB76_37 Depth=3
	v_cmp_ne_u32_e64 s15, 1, v50
	s_and_not1_b32 vcc_lo, exec_lo, s23
	s_cbranch_vccnz .LBB76_48
; %bb.44:                               ;   in Loop: Header=BB76_37 Depth=3
	v_mov_b32_e32 v10, 0
	v_mov_b32_e32 v11, 0
	s_and_b32 vcc_lo, exec_lo, s15
	s_delay_alu instid0(VALU_DEP_1)
	v_dual_mov_b32 v25, v11 :: v_dual_mov_b32 v24, v10
	s_cbranch_vccnz .LBB76_47
; %bb.45:                               ;   in Loop: Header=BB76_37 Depth=3
	v_mov_b32_e32 v10, 0
	v_dual_mov_b32 v11, 0 :: v_dual_mov_b32 v26, v56
	v_mov_b32_e32 v28, v44
	s_mov_b32 s15, s42
	s_delay_alu instid0(VALU_DEP_2)
	v_dual_mov_b32 v25, v11 :: v_dual_mov_b32 v24, v10
	.p2align	6
.LBB76_46:                              ;   Parent Loop BB76_15 Depth=1
                                        ;     Parent Loop BB76_24 Depth=2
                                        ;       Parent Loop BB76_37 Depth=3
                                        ; =>      This Inner Loop Header: Depth=4
	s_delay_alu instid0(VALU_DEP_3) | instskip(SKIP_3) | instid1(SALU_CYCLE_1)
	v_ashrrev_i32_e32 v27, 31, v26
	ds_load_b128 v[61:64], v28
	v_add_nc_u32_e32 v28, 64, v28
	s_add_i32 s15, s15, -1
	s_cmp_lg_u32 s15, 0
	v_lshlrev_b64 v[57:58], 4, v[26:27]
	v_add_nc_u32_e32 v26, 1, v26
	s_delay_alu instid0(VALU_DEP_2) | instskip(NEXT) | instid1(VALU_DEP_3)
	v_add_co_u32 v57, vcc_lo, s52, v57
	v_add_co_ci_u32_e32 v58, vcc_lo, s53, v58, vcc_lo
	global_load_b128 v[57:60], v[57:58], off
	s_waitcnt vmcnt(0) lgkmcnt(0)
	v_fma_f64 v[10:11], v[61:62], v[57:58], v[10:11]
	v_fma_f64 v[24:25], v[63:64], v[57:58], v[24:25]
	s_delay_alu instid0(VALU_DEP_2) | instskip(NEXT) | instid1(VALU_DEP_2)
	v_fma_f64 v[10:11], -v[63:64], v[59:60], v[10:11]
	v_fma_f64 v[24:25], v[61:62], v[59:60], v[24:25]
	s_cbranch_scc1 .LBB76_46
.LBB76_47:                              ;   in Loop: Header=BB76_37 Depth=3
	s_cbranch_execz .LBB76_49
	s_branch .LBB76_52
.LBB76_48:                              ;   in Loop: Header=BB76_37 Depth=3
                                        ; implicit-def: $vgpr10_vgpr11
                                        ; implicit-def: $vgpr24_vgpr25
.LBB76_49:                              ;   in Loop: Header=BB76_37 Depth=3
	v_mov_b32_e32 v10, 0
	v_mov_b32_e32 v11, 0
	s_and_not1_b32 vcc_lo, exec_lo, s40
	s_delay_alu instid0(VALU_DEP_1)
	v_dual_mov_b32 v25, v11 :: v_dual_mov_b32 v24, v10
	s_cbranch_vccnz .LBB76_52
; %bb.50:                               ;   in Loop: Header=BB76_37 Depth=3
	v_mov_b32_e32 v10, 0
	v_dual_mov_b32 v11, 0 :: v_dual_mov_b32 v28, v45
	v_mov_b32_e32 v26, v1
	s_mov_b32 s15, s42
	s_delay_alu instid0(VALU_DEP_2)
	v_dual_mov_b32 v25, v11 :: v_dual_mov_b32 v24, v10
	.p2align	6
.LBB76_51:                              ;   Parent Loop BB76_15 Depth=1
                                        ;     Parent Loop BB76_24 Depth=2
                                        ;       Parent Loop BB76_37 Depth=3
                                        ; =>      This Inner Loop Header: Depth=4
	s_delay_alu instid0(VALU_DEP_2) | instskip(SKIP_3) | instid1(SALU_CYCLE_1)
	v_ashrrev_i32_e32 v27, 31, v26
	ds_load_b128 v[61:64], v28
	v_add_nc_u32_e32 v28, 16, v28
	s_add_i32 s15, s15, -1
	s_cmp_eq_u32 s15, 0
	v_lshlrev_b64 v[57:58], 4, v[26:27]
	v_add_nc_u32_e32 v26, s42, v26
	s_delay_alu instid0(VALU_DEP_2) | instskip(NEXT) | instid1(VALU_DEP_3)
	v_add_co_u32 v57, vcc_lo, s52, v57
	v_add_co_ci_u32_e32 v58, vcc_lo, s53, v58, vcc_lo
	global_load_b128 v[57:60], v[57:58], off
	s_waitcnt vmcnt(0) lgkmcnt(0)
	v_fma_f64 v[10:11], v[61:62], v[57:58], v[10:11]
	v_fma_f64 v[24:25], v[63:64], v[57:58], v[24:25]
	s_delay_alu instid0(VALU_DEP_2) | instskip(NEXT) | instid1(VALU_DEP_2)
	v_fma_f64 v[10:11], -v[63:64], v[59:60], v[10:11]
	v_fma_f64 v[24:25], v[61:62], v[59:60], v[24:25]
	s_cbranch_scc0 .LBB76_51
.LBB76_52:                              ;   in Loop: Header=BB76_37 Depth=3
	s_delay_alu instid0(VALU_DEP_1) | instskip(SKIP_2) | instid1(VALU_DEP_1)
	v_mul_f64 v[26:27], v[24:25], -v[16:17]
	v_lshlrev_b32_e32 v3, 4, v3
	s_mov_b32 s15, 0
	v_or3_b32 v3, v3, v32, v20
	s_delay_alu instid0(VALU_DEP_1)
	v_lshlrev_b32_e32 v3, 4, v3
	ds_load_b64 v[28:29], v3
	v_fma_f64 v[26:27], v[14:15], v[10:11], v[26:27]
.LBB76_53:                              ;   Parent Loop BB76_15 Depth=1
                                        ;     Parent Loop BB76_24 Depth=2
                                        ;       Parent Loop BB76_37 Depth=3
                                        ; =>      This Inner Loop Header: Depth=4
	s_waitcnt lgkmcnt(0)
	s_delay_alu instid0(VALU_DEP_1)
	v_add_f64 v[57:58], v[28:29], v[26:27]
	ds_cmpstore_rtn_b64 v[57:58], v3, v[57:58], v[28:29]
	s_waitcnt lgkmcnt(0)
	v_cmp_eq_u64_e32 vcc_lo, v[57:58], v[28:29]
	v_dual_mov_b32 v28, v57 :: v_dual_mov_b32 v29, v58
	s_or_b32 s15, vcc_lo, s15
	s_delay_alu instid0(SALU_CYCLE_1)
	s_and_not1_b32 exec_lo, exec_lo, s15
	s_cbranch_execnz .LBB76_53
; %bb.54:                               ;   in Loop: Header=BB76_37 Depth=3
	s_or_b32 exec_lo, exec_lo, s15
	v_mul_f64 v[24:25], v[14:15], v[24:25]
	s_mov_b32 s15, 0
	s_delay_alu instid0(VALU_DEP_1)
	v_fma_f64 v[10:11], v[16:17], v[10:11], v[24:25]
	ds_load_b64 v[24:25], v3 offset:8
.LBB76_55:                              ;   Parent Loop BB76_15 Depth=1
                                        ;     Parent Loop BB76_24 Depth=2
                                        ;       Parent Loop BB76_37 Depth=3
                                        ; =>      This Inner Loop Header: Depth=4
	s_waitcnt lgkmcnt(0)
	v_add_f64 v[26:27], v[24:25], v[10:11]
	ds_cmpstore_rtn_b64 v[26:27], v3, v[26:27], v[24:25] offset:8
	s_waitcnt lgkmcnt(0)
	v_cmp_eq_u64_e32 vcc_lo, v[26:27], v[24:25]
	v_dual_mov_b32 v24, v26 :: v_dual_mov_b32 v25, v27
	s_or_b32 s15, vcc_lo, s15
	s_delay_alu instid0(SALU_CYCLE_1)
	s_and_not1_b32 exec_lo, exec_lo, s15
	s_cbranch_execnz .LBB76_55
	s_branch .LBB76_35
.LBB76_56:                              ;   in Loop: Header=BB76_24 Depth=2
	s_or_b32 exec_lo, exec_lo, s58
.LBB76_57:                              ;   in Loop: Header=BB76_24 Depth=2
	s_delay_alu instid0(SALU_CYCLE_1)
	s_or_b32 exec_lo, exec_lo, s57
.LBB76_58:                              ;   in Loop: Header=BB76_24 Depth=2
	s_delay_alu instid0(SALU_CYCLE_1)
	s_or_b32 exec_lo, exec_lo, s56
	s_waitcnt lgkmcnt(0)
	s_barrier
	buffer_gl0_inv
	s_and_saveexec_b32 s15, s14
	s_cbranch_execz .LBB76_23
; %bb.59:                               ;   in Loop: Header=BB76_24 Depth=2
	v_lshlrev_b64 v[1:2], 2, v[8:9]
	s_delay_alu instid0(VALU_DEP_1) | instskip(NEXT) | instid1(VALU_DEP_2)
	v_add_co_u32 v1, vcc_lo, s34, v1
	v_add_co_ci_u32_e32 v2, vcc_lo, s35, v2, vcc_lo
	global_store_b32 v[1:2], v54, off
	s_branch .LBB76_23
.LBB76_60:                              ;   in Loop: Header=BB76_24 Depth=2
                                        ; implicit-def: $vgpr54
	s_branch .LBB76_32
.LBB76_61:                              ;   in Loop: Header=BB76_15 Depth=1
	s_and_not1_b32 vcc_lo, exec_lo, s33
	s_cbranch_vccnz .LBB76_76
; %bb.62:                               ;   in Loop: Header=BB76_15 Depth=1
	s_load_b64 s[14:15], s[16:17], 0x0
	s_waitcnt lgkmcnt(0)
	v_add_nc_u32_e32 v1, s14, v35
	s_sub_i32 s51, s15, s39
	s_mov_b32 s15, exec_lo
	s_delay_alu instid0(VALU_DEP_1)
	v_cmpx_gt_i32_e64 s51, v1
	s_cbranch_execz .LBB76_75
; %bb.63:                               ;   in Loop: Header=BB76_15 Depth=1
	s_mov_b32 s56, 0
	s_branch .LBB76_66
.LBB76_64:                              ;   in Loop: Header=BB76_66 Depth=2
	s_or_b32 exec_lo, exec_lo, s57
	s_delay_alu instid0(SALU_CYCLE_1)
	s_or_b32 s13, s13, exec_lo
.LBB76_65:                              ;   in Loop: Header=BB76_66 Depth=2
	s_or_b32 exec_lo, exec_lo, s14
	v_add_nc_u32_e32 v1, 16, v1
	s_xor_b32 s13, s13, -1
	s_delay_alu instid0(VALU_DEP_1) | instskip(SKIP_1) | instid1(SALU_CYCLE_1)
	v_cmp_le_i32_e32 vcc_lo, s51, v1
	s_or_b32 s13, vcc_lo, s13
	s_and_b32 s13, exec_lo, s13
	s_delay_alu instid0(SALU_CYCLE_1) | instskip(NEXT) | instid1(SALU_CYCLE_1)
	s_or_b32 s56, s13, s56
	s_and_not1_b32 exec_lo, exec_lo, s56
	s_cbranch_execz .LBB76_74
.LBB76_66:                              ;   Parent Loop BB76_15 Depth=1
                                        ; =>  This Loop Header: Depth=2
                                        ;       Child Loop BB76_71 Depth 3
                                        ;       Child Loop BB76_73 Depth 3
	v_ashrrev_i32_e32 v2, 31, v1
	s_delay_alu instid0(VALU_DEP_1) | instskip(NEXT) | instid1(VALU_DEP_1)
	v_lshlrev_b64 v[2:3], 2, v[1:2]
	v_add_co_u32 v2, vcc_lo, s18, v2
	s_delay_alu instid0(VALU_DEP_2) | instskip(SKIP_3) | instid1(VALU_DEP_1)
	v_add_co_ci_u32_e32 v3, vcc_lo, s19, v3, vcc_lo
	global_load_b32 v2, v[2:3], off
	s_waitcnt vmcnt(0)
	v_subrev_nc_u32_e32 v2, s39, v2
	v_cmp_lt_i32_e64 s13, v2, v51
	v_cmp_ge_i32_e64 s14, v2, v52
	v_cmp_lt_i32_e32 vcc_lo, v2, v52
	s_delay_alu instid0(VALU_DEP_2) | instskip(NEXT) | instid1(SALU_CYCLE_1)
	s_or_b32 s14, s13, s14
                                        ; implicit-def: $sgpr13
	s_and_saveexec_b32 s57, s14
	s_delay_alu instid0(SALU_CYCLE_1)
	s_xor_b32 s14, exec_lo, s57
; %bb.67:                               ;   in Loop: Header=BB76_66 Depth=2
	v_min_i32_e32 v2, v2, v53
	s_and_b32 s13, vcc_lo, exec_lo
	s_delay_alu instid0(VALU_DEP_1)
	v_cndmask_b32_e32 v53, v2, v53, vcc_lo
                                        ; implicit-def: $vgpr2
; %bb.68:                               ;   in Loop: Header=BB76_66 Depth=2
	s_and_not1_saveexec_b32 s14, s14
	s_cbranch_execz .LBB76_65
; %bb.69:                               ;   in Loop: Header=BB76_66 Depth=2
	v_sub_nc_u32_e32 v24, v2, v51
	s_delay_alu instid0(VALU_DEP_1)
	v_lshlrev_b32_e32 v2, 2, v24
	ds_store_b32 v2, v49 offset:36864
	s_and_saveexec_b32 s57, s9
	s_cbranch_execz .LBB76_64
; %bb.70:                               ;   in Loop: Header=BB76_66 Depth=2
	v_mad_u64_u32 v[2:3], null, v1, s42, v[22:23]
	s_mov_b32 s58, 0
	s_delay_alu instid0(VALU_DEP_1) | instskip(SKIP_1) | instid1(VALU_DEP_1)
	v_mad_u64_u32 v[8:9], null, v2, s42, v[23:24]
	v_lshlrev_b32_e32 v24, 4, v24
	v_or3_b32 v24, v24, v32, v20
	s_delay_alu instid0(VALU_DEP_3) | instskip(NEXT) | instid1(VALU_DEP_2)
	v_ashrrev_i32_e32 v9, 31, v8
	v_lshlrev_b32_e32 v26, 4, v24
	s_delay_alu instid0(VALU_DEP_2)
	v_lshlrev_b64 v[2:3], 4, v[8:9]
	ds_load_b64 v[24:25], v26
	v_add_co_u32 v2, vcc_lo, s20, v2
	v_add_co_ci_u32_e32 v3, vcc_lo, s21, v3, vcc_lo
	global_load_b128 v[8:11], v[2:3], off
	s_waitcnt vmcnt(0)
	v_mul_f64 v[2:3], v[10:11], -v[12:13]
	s_delay_alu instid0(VALU_DEP_1)
	v_fma_f64 v[2:3], v[18:19], v[8:9], v[2:3]
.LBB76_71:                              ;   Parent Loop BB76_15 Depth=1
                                        ;     Parent Loop BB76_66 Depth=2
                                        ; =>    This Inner Loop Header: Depth=3
	s_waitcnt lgkmcnt(0)
	s_delay_alu instid0(VALU_DEP_1)
	v_add_f64 v[27:28], v[24:25], v[2:3]
	ds_cmpstore_rtn_b64 v[27:28], v26, v[27:28], v[24:25]
	s_waitcnt lgkmcnt(0)
	v_cmp_eq_u64_e32 vcc_lo, v[27:28], v[24:25]
	v_dual_mov_b32 v24, v27 :: v_dual_mov_b32 v25, v28
	s_or_b32 s58, vcc_lo, s58
	s_delay_alu instid0(SALU_CYCLE_1)
	s_and_not1_b32 exec_lo, exec_lo, s58
	s_cbranch_execnz .LBB76_71
; %bb.72:                               ;   in Loop: Header=BB76_66 Depth=2
	s_or_b32 exec_lo, exec_lo, s58
	v_mul_f64 v[2:3], v[18:19], v[10:11]
	s_mov_b32 s58, 0
	s_delay_alu instid0(VALU_DEP_1)
	v_fma_f64 v[2:3], v[12:13], v[8:9], v[2:3]
	ds_load_b64 v[8:9], v26 offset:8
.LBB76_73:                              ;   Parent Loop BB76_15 Depth=1
                                        ;     Parent Loop BB76_66 Depth=2
                                        ; =>    This Inner Loop Header: Depth=3
	s_waitcnt lgkmcnt(0)
	v_add_f64 v[10:11], v[8:9], v[2:3]
	ds_cmpstore_rtn_b64 v[10:11], v26, v[10:11], v[8:9] offset:8
	s_waitcnt lgkmcnt(0)
	v_cmp_eq_u64_e32 vcc_lo, v[10:11], v[8:9]
	v_dual_mov_b32 v8, v10 :: v_dual_mov_b32 v9, v11
	s_or_b32 s58, vcc_lo, s58
	s_delay_alu instid0(SALU_CYCLE_1)
	s_and_not1_b32 exec_lo, exec_lo, s58
	s_cbranch_execnz .LBB76_73
	s_branch .LBB76_64
.LBB76_74:                              ;   in Loop: Header=BB76_15 Depth=1
	s_or_b32 exec_lo, exec_lo, s56
.LBB76_75:                              ;   in Loop: Header=BB76_15 Depth=1
	s_delay_alu instid0(SALU_CYCLE_1)
	s_or_b32 exec_lo, exec_lo, s15
.LBB76_76:                              ;   in Loop: Header=BB76_15 Depth=1
	s_and_saveexec_b32 s13, s2
	s_cbranch_execz .LBB76_81
; %bb.77:                               ;   in Loop: Header=BB76_15 Depth=1
	s_mov_b32 s15, exec_lo
	s_brev_b32 s14, -2
.LBB76_78:                              ;   Parent Loop BB76_15 Depth=1
                                        ; =>  This Inner Loop Header: Depth=2
	s_ctz_i32_b32 s51, s15
	s_delay_alu instid0(SALU_CYCLE_1) | instskip(SKIP_1) | instid1(SALU_CYCLE_1)
	v_readlane_b32 s56, v53, s51
	s_lshl_b32 s51, 1, s51
	s_and_not1_b32 s15, s15, s51
	s_delay_alu instid0(VALU_DEP_1)
	s_min_i32 s14, s14, s56
	s_cmp_lg_u32 s15, 0
	s_cbranch_scc1 .LBB76_78
; %bb.79:                               ;   in Loop: Header=BB76_15 Depth=1
	v_mbcnt_lo_u32_b32 v1, exec_lo, 0
	s_mov_b32 s15, exec_lo
	s_delay_alu instid0(VALU_DEP_1)
	v_cmpx_eq_u32_e32 0, v1
	s_xor_b32 s15, exec_lo, s15
	s_cbranch_execz .LBB76_81
; %bb.80:                               ;   in Loop: Header=BB76_15 Depth=1
	v_mov_b32_e32 v1, s14
	ds_min_i32 v48, v1 offset:37376
.LBB76_81:                              ;   in Loop: Header=BB76_15 Depth=1
	s_or_b32 exec_lo, exec_lo, s13
	s_waitcnt lgkmcnt(0)
	s_waitcnt_vscnt null, 0x0
	s_barrier
	buffer_gl0_inv
	ds_load_b32 v1, v36
	s_waitcnt lgkmcnt(0)
	s_barrier
	buffer_gl0_inv
	s_and_saveexec_b32 s13, s3
	s_cbranch_execz .LBB76_83
; %bb.82:                               ;   in Loop: Header=BB76_15 Depth=1
	ds_load_b32 v2, v37
	s_waitcnt lgkmcnt(0)
	v_add_nc_u32_e32 v1, v2, v1
.LBB76_83:                              ;   in Loop: Header=BB76_15 Depth=1
	s_or_b32 exec_lo, exec_lo, s13
	s_barrier
	buffer_gl0_inv
	ds_store_b32 v36, v1
	s_waitcnt lgkmcnt(0)
	s_barrier
	buffer_gl0_inv
	s_and_saveexec_b32 s13, s4
	s_cbranch_execz .LBB76_85
; %bb.84:                               ;   in Loop: Header=BB76_15 Depth=1
	ds_load_b32 v2, v38
	s_waitcnt lgkmcnt(0)
	v_add_nc_u32_e32 v1, v2, v1
.LBB76_85:                              ;   in Loop: Header=BB76_15 Depth=1
	s_or_b32 exec_lo, exec_lo, s13
	s_barrier
	buffer_gl0_inv
	ds_store_b32 v36, v1
	;; [unrolled: 14-line block ×7, first 2 shown]
	s_waitcnt lgkmcnt(0)
	s_barrier
	buffer_gl0_inv
	ds_load_b32 v3, v48 offset:37372
	v_mov_b32_e32 v2, 0
	s_and_saveexec_b32 s13, s22
	s_cbranch_execz .LBB76_97
; %bb.96:                               ;   in Loop: Header=BB76_15 Depth=1
	ds_load_b32 v2, v37
.LBB76_97:                              ;   in Loop: Header=BB76_15 Depth=1
	s_or_b32 exec_lo, exec_lo, s13
	s_waitcnt lgkmcnt(0)
	v_cmp_eq_u32_e32 vcc_lo, v1, v2
	s_barrier
	buffer_gl0_inv
	s_and_b32 s14, s22, vcc_lo
	s_delay_alu instid0(SALU_CYCLE_1)
	s_and_saveexec_b32 s13, s14
	s_cbranch_execz .LBB76_99
; %bb.98:                               ;   in Loop: Header=BB76_15 Depth=1
	ds_store_b32 v36, v48
.LBB76_99:                              ;   in Loop: Header=BB76_15 Depth=1
	s_or_b32 exec_lo, exec_lo, s13
	v_dual_mov_b32 v11, v31 :: v_dual_add_nc_u32 v8, -1, v47
	v_dual_mov_b32 v10, v46 :: v_dual_add_nc_u32 v9, s38, v51
	v_mov_b32_e32 v24, v30
	s_mov_b32 s13, 0
	s_waitcnt lgkmcnt(0)
	s_barrier
	buffer_gl0_inv
	s_set_inst_prefetch_distance 0x1
	s_branch .LBB76_101
	.p2align	6
.LBB76_100:                             ;   in Loop: Header=BB76_101 Depth=2
	s_or_b32 exec_lo, exec_lo, s14
	v_add_nc_u32_e32 v1, 16, v24
	v_cmp_lt_u32_e32 vcc_lo, 0x6f, v24
	v_add_nc_u32_e32 v11, 0x1000, v11
	v_add_nc_u32_e32 v10, 64, v10
	s_delay_alu instid0(VALU_DEP_4) | instskip(SKIP_1) | instid1(SALU_CYCLE_1)
	v_mov_b32_e32 v24, v1
	s_or_b32 s13, vcc_lo, s13
	s_and_not1_b32 exec_lo, exec_lo, s13
	s_cbranch_execz .LBB76_14
.LBB76_101:                             ;   Parent Loop BB76_15 Depth=1
                                        ; =>  This Inner Loop Header: Depth=2
	ds_load_b32 v1, v10
	s_mov_b32 s14, exec_lo
	s_waitcnt lgkmcnt(0)
	v_cmpx_ne_u32_e32 0, v1
	s_cbranch_execz .LBB76_100
; %bb.102:                              ;   in Loop: Header=BB76_101 Depth=2
	v_add_nc_u32_e32 v1, v8, v1
	s_delay_alu instid0(VALU_DEP_1) | instskip(NEXT) | instid1(VALU_DEP_1)
	v_ashrrev_i32_e32 v2, 31, v1
	v_lshlrev_b64 v[25:26], 2, v[1:2]
	v_add_nc_u32_e32 v2, v9, v24
	s_delay_alu instid0(VALU_DEP_2) | instskip(NEXT) | instid1(VALU_DEP_3)
	v_add_co_u32 v25, vcc_lo, s44, v25
	v_add_co_ci_u32_e32 v26, vcc_lo, s45, v26, vcc_lo
	global_store_b32 v[25:26], v2, off
	s_and_b32 exec_lo, exec_lo, s9
	s_cbranch_execz .LBB76_100
; %bb.103:                              ;   in Loop: Header=BB76_101 Depth=2
	v_mad_u64_u32 v[25:26], null, v1, s42, v[22:23]
	s_delay_alu instid0(VALU_DEP_1) | instskip(SKIP_2) | instid1(VALU_DEP_1)
	v_mad_u64_u32 v[1:2], null, v25, s42, v[23:24]
	ds_load_2addr_b64 v[25:28], v11 offset1:1
	v_ashrrev_i32_e32 v2, 31, v1
	v_lshlrev_b64 v[1:2], 4, v[1:2]
	s_delay_alu instid0(VALU_DEP_1) | instskip(NEXT) | instid1(VALU_DEP_2)
	v_add_co_u32 v1, vcc_lo, s46, v1
	v_add_co_ci_u32_e32 v2, vcc_lo, s47, v2, vcc_lo
	s_waitcnt lgkmcnt(0)
	global_store_b128 v[1:2], v[25:28], off
	s_branch .LBB76_100
.LBB76_104:
	s_endpgm
	.section	.rodata,"a",@progbits
	.p2align	6, 0x0
	.amdhsa_kernel _ZN9rocsparseL38bsrgemm_block_per_row_atomic_multipassILj256ELj128ELj4Eii21rocsparse_complex_numIdEEEv20rocsparse_direction_T3_S4_PKS4_S6_NS_24const_host_device_scalarIT4_EEPKT2_S6_PKS8_SC_S6_SE_S9_SC_S6_SE_SC_PS4_PS8_PSA_21rocsparse_index_base_SI_SI_SI_bbb
		.amdhsa_group_segment_fixed_size 41480
		.amdhsa_private_segment_fixed_size 0
		.amdhsa_kernarg_size 188
		.amdhsa_user_sgpr_count 15
		.amdhsa_user_sgpr_dispatch_ptr 1
		.amdhsa_user_sgpr_queue_ptr 0
		.amdhsa_user_sgpr_kernarg_segment_ptr 1
		.amdhsa_user_sgpr_dispatch_id 0
		.amdhsa_user_sgpr_private_segment_size 0
		.amdhsa_wavefront_size32 1
		.amdhsa_uses_dynamic_stack 0
		.amdhsa_enable_private_segment 0
		.amdhsa_system_sgpr_workgroup_id_x 1
		.amdhsa_system_sgpr_workgroup_id_y 0
		.amdhsa_system_sgpr_workgroup_id_z 0
		.amdhsa_system_sgpr_workgroup_info 0
		.amdhsa_system_vgpr_workitem_id 2
		.amdhsa_next_free_vgpr 65
		.amdhsa_next_free_sgpr 62
		.amdhsa_reserve_vcc 1
		.amdhsa_float_round_mode_32 0
		.amdhsa_float_round_mode_16_64 0
		.amdhsa_float_denorm_mode_32 3
		.amdhsa_float_denorm_mode_16_64 3
		.amdhsa_dx10_clamp 1
		.amdhsa_ieee_mode 1
		.amdhsa_fp16_overflow 0
		.amdhsa_workgroup_processor_mode 1
		.amdhsa_memory_ordered 1
		.amdhsa_forward_progress 0
		.amdhsa_shared_vgpr_count 0
		.amdhsa_exception_fp_ieee_invalid_op 0
		.amdhsa_exception_fp_denorm_src 0
		.amdhsa_exception_fp_ieee_div_zero 0
		.amdhsa_exception_fp_ieee_overflow 0
		.amdhsa_exception_fp_ieee_underflow 0
		.amdhsa_exception_fp_ieee_inexact 0
		.amdhsa_exception_int_div_zero 0
	.end_amdhsa_kernel
	.section	.text._ZN9rocsparseL38bsrgemm_block_per_row_atomic_multipassILj256ELj128ELj4Eii21rocsparse_complex_numIdEEEv20rocsparse_direction_T3_S4_PKS4_S6_NS_24const_host_device_scalarIT4_EEPKT2_S6_PKS8_SC_S6_SE_S9_SC_S6_SE_SC_PS4_PS8_PSA_21rocsparse_index_base_SI_SI_SI_bbb,"axG",@progbits,_ZN9rocsparseL38bsrgemm_block_per_row_atomic_multipassILj256ELj128ELj4Eii21rocsparse_complex_numIdEEEv20rocsparse_direction_T3_S4_PKS4_S6_NS_24const_host_device_scalarIT4_EEPKT2_S6_PKS8_SC_S6_SE_S9_SC_S6_SE_SC_PS4_PS8_PSA_21rocsparse_index_base_SI_SI_SI_bbb,comdat
.Lfunc_end76:
	.size	_ZN9rocsparseL38bsrgemm_block_per_row_atomic_multipassILj256ELj128ELj4Eii21rocsparse_complex_numIdEEEv20rocsparse_direction_T3_S4_PKS4_S6_NS_24const_host_device_scalarIT4_EEPKT2_S6_PKS8_SC_S6_SE_S9_SC_S6_SE_SC_PS4_PS8_PSA_21rocsparse_index_base_SI_SI_SI_bbb, .Lfunc_end76-_ZN9rocsparseL38bsrgemm_block_per_row_atomic_multipassILj256ELj128ELj4Eii21rocsparse_complex_numIdEEEv20rocsparse_direction_T3_S4_PKS4_S6_NS_24const_host_device_scalarIT4_EEPKT2_S6_PKS8_SC_S6_SE_S9_SC_S6_SE_SC_PS4_PS8_PSA_21rocsparse_index_base_SI_SI_SI_bbb
                                        ; -- End function
	.section	.AMDGPU.csdata,"",@progbits
; Kernel info:
; codeLenInByte = 4164
; NumSgprs: 64
; NumVgprs: 65
; ScratchSize: 0
; MemoryBound: 0
; FloatMode: 240
; IeeeMode: 1
; LDSByteSize: 41480 bytes/workgroup (compile time only)
; SGPRBlocks: 7
; VGPRBlocks: 8
; NumSGPRsForWavesPerEU: 64
; NumVGPRsForWavesPerEU: 65
; Occupancy: 6
; WaveLimiterHint : 1
; COMPUTE_PGM_RSRC2:SCRATCH_EN: 0
; COMPUTE_PGM_RSRC2:USER_SGPR: 15
; COMPUTE_PGM_RSRC2:TRAP_HANDLER: 0
; COMPUTE_PGM_RSRC2:TGID_X_EN: 1
; COMPUTE_PGM_RSRC2:TGID_Y_EN: 0
; COMPUTE_PGM_RSRC2:TGID_Z_EN: 0
; COMPUTE_PGM_RSRC2:TIDIG_COMP_CNT: 2
	.section	.text._ZN9rocsparseL23bsrgemm_fill_wf_per_rowILj256ELj64ELj8ELj137ELj8Eii21rocsparse_complex_numIdEEEv20rocsparse_direction_T5_S4_S4_PKS4_S6_NS_24const_host_device_scalarIT6_EEPKT4_S6_PKS8_SC_S6_SE_S9_SC_S6_SE_SC_PS4_PS8_21rocsparse_index_base_SH_SH_SH_bbb,"axG",@progbits,_ZN9rocsparseL23bsrgemm_fill_wf_per_rowILj256ELj64ELj8ELj137ELj8Eii21rocsparse_complex_numIdEEEv20rocsparse_direction_T5_S4_S4_PKS4_S6_NS_24const_host_device_scalarIT6_EEPKT4_S6_PKS8_SC_S6_SE_S9_SC_S6_SE_SC_PS4_PS8_21rocsparse_index_base_SH_SH_SH_bbb,comdat
	.globl	_ZN9rocsparseL23bsrgemm_fill_wf_per_rowILj256ELj64ELj8ELj137ELj8Eii21rocsparse_complex_numIdEEEv20rocsparse_direction_T5_S4_S4_PKS4_S6_NS_24const_host_device_scalarIT6_EEPKT4_S6_PKS8_SC_S6_SE_S9_SC_S6_SE_SC_PS4_PS8_21rocsparse_index_base_SH_SH_SH_bbb ; -- Begin function _ZN9rocsparseL23bsrgemm_fill_wf_per_rowILj256ELj64ELj8ELj137ELj8Eii21rocsparse_complex_numIdEEEv20rocsparse_direction_T5_S4_S4_PKS4_S6_NS_24const_host_device_scalarIT6_EEPKT4_S6_PKS8_SC_S6_SE_S9_SC_S6_SE_SC_PS4_PS8_21rocsparse_index_base_SH_SH_SH_bbb
	.p2align	8
	.type	_ZN9rocsparseL23bsrgemm_fill_wf_per_rowILj256ELj64ELj8ELj137ELj8Eii21rocsparse_complex_numIdEEEv20rocsparse_direction_T5_S4_S4_PKS4_S6_NS_24const_host_device_scalarIT6_EEPKT4_S6_PKS8_SC_S6_SE_S9_SC_S6_SE_SC_PS4_PS8_21rocsparse_index_base_SH_SH_SH_bbb,@function
_ZN9rocsparseL23bsrgemm_fill_wf_per_rowILj256ELj64ELj8ELj137ELj8Eii21rocsparse_complex_numIdEEEv20rocsparse_direction_T5_S4_S4_PKS4_S6_NS_24const_host_device_scalarIT6_EEPKT4_S6_PKS8_SC_S6_SE_S9_SC_S6_SE_SC_PS4_PS8_21rocsparse_index_base_SH_SH_SH_bbb: ; @_ZN9rocsparseL23bsrgemm_fill_wf_per_rowILj256ELj64ELj8ELj137ELj8Eii21rocsparse_complex_numIdEEEv20rocsparse_direction_T5_S4_S4_PKS4_S6_NS_24const_host_device_scalarIT6_EEPKT4_S6_PKS8_SC_S6_SE_S9_SC_S6_SE_SC_PS4_PS8_21rocsparse_index_base_SH_SH_SH_bbb
; %bb.0:
	s_load_b32 s13, s[2:3], 0xb0
	s_load_b64 s[16:17], s[0:1], 0x4
	v_dual_mov_b32 v4, 0 :: v_dual_and_b32 v33, 0x3ff, v0
	s_clause 0x1
	s_load_b128 s[8:11], s[2:3], 0x20
	s_load_b128 s[4:7], s[2:3], 0x60
	v_bfe_u32 v2, v0, 10, 10
	v_bfe_u32 v0, v0, 20, 10
	v_mov_b32_e32 v5, 0
	s_waitcnt lgkmcnt(0)
	s_bitcmp1_b32 s13, 0
	s_cselect_b32 s1, -1, 0
	s_bitcmp1_b32 s13, 16
	s_cselect_b32 s0, -1, 0
	s_lshr_b32 s12, s16, 16
	s_xor_b32 s14, s0, -1
	s_mul_i32 s12, s12, s17
	v_cndmask_b32_e64 v3, 0, 1, s14
	v_mul_lo_u32 v1, s12, v33
	s_bitcmp0_b32 s13, 0
	s_delay_alu instid0(VALU_DEP_2) | instskip(NEXT) | instid1(VALU_DEP_2)
	v_cmp_ne_u32_e32 vcc_lo, 1, v3
	v_mad_u32_u24 v1, v2, s17, v1
	s_delay_alu instid0(VALU_DEP_1)
	v_add_lshl_u32 v0, v1, v0, 3
	v_dual_mov_b32 v1, s8 :: v_dual_mov_b32 v2, s9
	v_mov_b32_e32 v7, s5
	v_dual_mov_b32 v11, v5 :: v_dual_mov_b32 v10, v4
	v_dual_mov_b32 v13, v5 :: v_dual_mov_b32 v6, s4
	v_dual_mov_b32 v12, v4 :: v_dual_add_nc_u32 v3, 0x80, v0
	ds_store_2addr_stride64_b64 v3, v[6:7], v[1:2] offset0:64 offset1:68
	s_cbranch_scc1 .LBB77_3
; %bb.1:
	s_mov_b64 s[16:17], src_shared_base
	s_and_b32 s12, s0, exec_lo
	s_cselect_b32 s12, s17, s9
	s_delay_alu instid0(SALU_CYCLE_1) | instskip(SKIP_2) | instid1(VALU_DEP_2)
	v_dual_mov_b32 v2, s12 :: v_dual_add_nc_u32 v1, 0x8880, v0
	v_dual_mov_b32 v13, s11 :: v_dual_mov_b32 v12, s10
	s_and_b32 vcc_lo, exec_lo, vcc_lo
	v_cndmask_b32_e64 v1, s8, v1, s0
	flat_load_b64 v[10:11], v[1:2]
	s_cbranch_vccnz .LBB77_3
; %bb.2:
	v_dual_mov_b32 v1, s8 :: v_dual_mov_b32 v2, s9
	flat_load_b64 v[12:13], v[1:2] offset:8
.LBB77_3:
	s_load_b128 s[36:39], s[2:3], 0xa0
	s_bitcmp1_b32 s13, 8
	v_dual_mov_b32 v7, v5 :: v_dual_mov_b32 v6, v4
	s_cselect_b32 s12, -1, 0
	s_bfe_u32 s8, s13, 0x10008
	s_delay_alu instid0(SALU_CYCLE_1)
	s_cmp_eq_u32 s8, 0
	s_cbranch_scc1 .LBB77_6
; %bb.4:
	s_mov_b64 s[8:9], src_shared_base
	s_and_b32 s8, s0, exec_lo
	s_cselect_b32 s8, s9, s5
	s_delay_alu instid0(SALU_CYCLE_1) | instskip(SKIP_2) | instid1(VALU_DEP_2)
	v_dual_mov_b32 v1, s8 :: v_dual_add_nc_u32 v0, 0x8080, v0
	v_dual_mov_b32 v4, s6 :: v_dual_mov_b32 v5, s7
	s_and_not1_b32 vcc_lo, exec_lo, s14
	v_cndmask_b32_e64 v0, s4, v0, s0
	flat_load_b64 v[6:7], v[0:1]
	s_cbranch_vccnz .LBB77_6
; %bb.5:
	v_dual_mov_b32 v0, s4 :: v_dual_mov_b32 v1, s5
	flat_load_b64 v[4:5], v[0:1] offset:8
.LBB77_6:
	s_clause 0x4
	s_load_b128 s[40:43], s[2:3], 0x90
	s_load_b256 s[16:23], s[2:3], 0x70
	s_load_b128 s[44:47], s[2:3], 0x50
	s_load_b256 s[4:11], s[2:3], 0x0
	s_load_b256 s[24:31], s[2:3], 0x30
	v_lshrrev_b32_e32 v8, 6, v33
	v_and_b32_e32 v9, 63, v33
	s_mov_b32 s0, exec_lo
	s_delay_alu instid0(VALU_DEP_2) | instskip(NEXT) | instid1(VALU_DEP_2)
	v_lshl_or_b32 v34, v8, 5, 0x8000
	v_cmpx_gt_u32_e32 8, v9
	s_cbranch_execz .LBB77_8
; %bb.7:
	s_delay_alu instid0(VALU_DEP_2)
	v_lshl_add_u32 v0, v9, 2, v34
	s_waitcnt lgkmcnt(0)
	v_mov_b32_e32 v1, s6
	ds_store_b32 v0, v1
.LBB77_8:
	s_or_b32 exec_lo, exec_lo, s0
	v_dual_mov_b32 v0, 0 :: v_dual_lshlrev_b32 v35, 4, v9
	v_or_b32_e32 v14, 0xffffffc0, v9
	s_mov_b32 s0, 0
	s_delay_alu instid0(VALU_DEP_2) | instskip(NEXT) | instid1(VALU_DEP_3)
	v_lshl_or_b32 v15, v8, 13, v35
	v_mov_b32_e32 v1, v0
	v_mov_b32_e32 v2, v0
	;; [unrolled: 1-line block ×3, first 2 shown]
.LBB77_9:                               ; =>This Inner Loop Header: Depth=1
	v_add_nc_u32_e32 v14, 64, v14
	ds_store_b128 v15, v[0:3]
	v_add_nc_u32_e32 v15, 0x400, v15
	v_cmp_lt_u32_e32 vcc_lo, 0x1bf, v14
	s_or_b32 s0, vcc_lo, s0
	s_delay_alu instid0(SALU_CYCLE_1)
	s_and_not1_b32 exec_lo, exec_lo, s0
	s_cbranch_execnz .LBB77_9
; %bb.10:
	s_or_b32 exec_lo, exec_lo, s0
	v_lshl_or_b32 v0, s15, 2, v8
	s_waitcnt vmcnt(0) lgkmcnt(0)
	s_barrier
	buffer_gl0_inv
	s_mov_b32 s0, exec_lo
	v_cmpx_gt_i32_e64 s5, v0
	s_cbranch_execz .LBB77_101
; %bb.11:
	s_cmp_eq_u64 s[10:11], 0
	s_cbranch_scc1 .LBB77_13
; %bb.12:
	s_load_b32 s0, s[8:9], 0x0
	s_waitcnt lgkmcnt(0)
	v_add_nc_u32_e32 v0, s0, v0
	s_delay_alu instid0(VALU_DEP_1) | instskip(NEXT) | instid1(VALU_DEP_1)
	v_ashrrev_i32_e32 v1, 31, v0
	v_lshlrev_b64 v[0:1], 2, v[0:1]
	s_delay_alu instid0(VALU_DEP_1) | instskip(NEXT) | instid1(VALU_DEP_2)
	v_add_co_u32 v0, vcc_lo, s10, v0
	v_add_co_ci_u32_e32 v1, vcc_lo, s11, v1, vcc_lo
	global_load_b32 v0, v[0:1], off
.LBB77_13:
	s_waitcnt vmcnt(0)
	v_ashrrev_i32_e32 v1, 31, v0
	v_lshlrev_b32_e32 v2, 7, v33
	v_and_b32_e32 v8, 7, v33
	v_lshrrev_b32_e32 v9, 3, v9
	s_and_not1_b32 vcc_lo, exec_lo, s1
	v_lshlrev_b64 v[0:1], 2, v[0:1]
	v_and_b32_e32 v32, 0x6000, v2
	s_cbranch_vccnz .LBB77_51
; %bb.14:
	s_delay_alu instid0(VALU_DEP_2) | instskip(NEXT) | instid1(VALU_DEP_3)
	v_add_co_u32 v2, vcc_lo, s24, v0
	v_add_co_ci_u32_e32 v3, vcc_lo, s25, v1, vcc_lo
	s_mov_b32 s2, exec_lo
	global_load_b64 v[2:3], v[2:3], off
	s_waitcnt vmcnt(0)
	v_cmpx_lt_i32_e64 v2, v3
	s_cbranch_execz .LBB77_50
; %bb.15:
	v_subrev_nc_u32_e32 v2, s36, v2
	v_max_i32_e32 v14, v8, v9
	s_cmp_lg_u32 s4, 0
	s_mul_i32 s9, s7, s7
	s_cselect_b32 s3, -1, 0
	v_mad_u64_u32 v[16:17], null, s7, v2, v[9:10]
	v_cmp_gt_i32_e64 s0, s7, v14
	s_cmp_gt_i32 s7, 0
	v_mad_u64_u32 v[14:15], null, s9, v2, v[9:10]
	s_cselect_b32 s8, -1, 0
	v_subrev_nc_u32_e32 v36, s36, v3
	s_delay_alu instid0(VALU_DEP_4)
	v_mul_lo_u32 v15, s7, v16
	s_add_u32 s10, s46, 8
	v_cndmask_b32_e64 v37, 0, 1, s8
	s_addc_u32 s11, s47, 0
	s_add_u32 s13, s28, 8
	s_mov_b32 s5, 0
	s_addc_u32 s14, s29, 0
	s_branch .LBB77_17
.LBB77_16:                              ;   in Loop: Header=BB77_17 Depth=1
	s_or_b32 exec_lo, exec_lo, s15
	v_add_nc_u32_e32 v2, 1, v2
	v_add_nc_u32_e32 v14, s9, v14
	;; [unrolled: 1-line block ×3, first 2 shown]
	s_delay_alu instid0(VALU_DEP_3) | instskip(SKIP_1) | instid1(SALU_CYCLE_1)
	v_cmp_ge_i32_e32 vcc_lo, v2, v36
	s_or_b32 s5, vcc_lo, s5
	s_and_not1_b32 exec_lo, exec_lo, s5
	s_cbranch_execz .LBB77_50
.LBB77_17:                              ; =>This Loop Header: Depth=1
                                        ;     Child Loop BB77_20 Depth 2
                                        ;       Child Loop BB77_24 Depth 3
                                        ;       Child Loop BB77_29 Depth 3
	;; [unrolled: 1-line block ×3, first 2 shown]
                                        ;         Child Loop BB77_38 Depth 4
                                        ;         Child Loop BB77_40 Depth 4
	;; [unrolled: 1-line block ×4, first 2 shown]
	v_ashrrev_i32_e32 v3, 31, v2
	s_mov_b32 s15, exec_lo
	s_delay_alu instid0(VALU_DEP_1) | instskip(NEXT) | instid1(VALU_DEP_1)
	v_lshlrev_b64 v[16:17], 2, v[2:3]
	v_add_co_u32 v16, vcc_lo, s26, v16
	s_delay_alu instid0(VALU_DEP_2) | instskip(SKIP_3) | instid1(VALU_DEP_1)
	v_add_co_ci_u32_e32 v17, vcc_lo, s27, v17, vcc_lo
	global_load_b32 v3, v[16:17], off
	s_waitcnt vmcnt(0)
	v_subrev_nc_u32_e32 v16, s36, v3
	v_ashrrev_i32_e32 v17, 31, v16
	s_delay_alu instid0(VALU_DEP_1) | instskip(NEXT) | instid1(VALU_DEP_1)
	v_lshlrev_b64 v[16:17], 2, v[16:17]
	v_add_co_u32 v16, vcc_lo, s30, v16
	s_delay_alu instid0(VALU_DEP_2)
	v_add_co_ci_u32_e32 v17, vcc_lo, s31, v17, vcc_lo
	global_load_b64 v[17:18], v[16:17], off
	s_waitcnt vmcnt(0)
	v_cmpx_lt_i32_e64 v17, v18
	s_cbranch_execz .LBB77_16
; %bb.18:                               ;   in Loop: Header=BB77_17 Depth=1
	v_subrev_nc_u32_e32 v17, s37, v17
	v_ashrrev_i32_e32 v16, 31, v15
	v_subrev_nc_u32_e32 v3, s37, v18
	s_mov_b32 s24, 0
	s_delay_alu instid0(VALU_DEP_3) | instskip(NEXT) | instid1(VALU_DEP_3)
	v_mad_u64_u32 v[21:22], null, s7, v17, v[8:9]
	v_lshlrev_b64 v[22:23], 4, v[15:16]
	v_mad_u64_u32 v[19:20], null, s9, v17, v[8:9]
	s_delay_alu instid0(VALU_DEP_2) | instskip(NEXT) | instid1(VALU_DEP_4)
	v_add_co_u32 v22, vcc_lo, s13, v22
	v_mul_lo_u32 v20, s7, v21
	s_delay_alu instid0(VALU_DEP_4)
	v_add_co_ci_u32_e32 v23, vcc_lo, s14, v23, vcc_lo
	s_branch .LBB77_20
.LBB77_19:                              ;   in Loop: Header=BB77_20 Depth=2
	s_or_b32 exec_lo, exec_lo, s25
	v_add_nc_u32_e32 v17, 1, v17
	s_delay_alu instid0(VALU_DEP_3) | instskip(SKIP_1) | instid1(VALU_DEP_3)
	v_add_nc_u32_e32 v20, s9, v20
	v_add_nc_u32_e32 v19, s9, v19
	v_cmp_ge_i32_e32 vcc_lo, v17, v3
	s_or_b32 s24, vcc_lo, s24
	s_delay_alu instid0(SALU_CYCLE_1)
	s_and_not1_b32 exec_lo, exec_lo, s24
	s_cbranch_execz .LBB77_16
.LBB77_20:                              ;   Parent Loop BB77_17 Depth=1
                                        ; =>  This Loop Header: Depth=2
                                        ;       Child Loop BB77_24 Depth 3
                                        ;       Child Loop BB77_29 Depth 3
	;; [unrolled: 1-line block ×3, first 2 shown]
                                        ;         Child Loop BB77_38 Depth 4
                                        ;         Child Loop BB77_40 Depth 4
	;; [unrolled: 1-line block ×4, first 2 shown]
	s_and_saveexec_b32 s25, s0
	s_cbranch_execz .LBB77_19
; %bb.21:                               ;   in Loop: Header=BB77_20 Depth=2
	v_ashrrev_i32_e32 v18, 31, v17
	v_cmp_ne_u32_e64 s1, 1, v37
	s_delay_alu instid0(VALU_DEP_2) | instskip(NEXT) | instid1(VALU_DEP_1)
	v_lshlrev_b64 v[24:25], 2, v[17:18]
	v_add_co_u32 v24, vcc_lo, s44, v24
	s_delay_alu instid0(VALU_DEP_2)
	v_add_co_ci_u32_e32 v25, vcc_lo, s45, v25, vcc_lo
	s_and_not1_b32 vcc_lo, exec_lo, s3
	global_load_b32 v16, v[24:25], off
	s_cbranch_vccnz .LBB77_26
; %bb.22:                               ;   in Loop: Header=BB77_20 Depth=2
	v_mov_b32_e32 v26, 0
	v_mov_b32_e32 v27, 0
	s_delay_alu instid0(VALU_DEP_2) | instskip(SKIP_1) | instid1(VALU_DEP_2)
	v_mov_b32_e32 v24, v26
	s_and_b32 vcc_lo, exec_lo, s1
	v_mov_b32_e32 v25, v27
	s_cbranch_vccnz .LBB77_25
; %bb.23:                               ;   in Loop: Header=BB77_20 Depth=2
	v_ashrrev_i32_e32 v21, 31, v20
	v_mov_b32_e32 v26, 0
	v_dual_mov_b32 v27, 0 :: v_dual_mov_b32 v28, v14
	s_mov_b32 s1, s7
	s_delay_alu instid0(VALU_DEP_3) | instskip(NEXT) | instid1(VALU_DEP_1)
	v_lshlrev_b64 v[24:25], 4, v[20:21]
	v_add_co_u32 v30, vcc_lo, s10, v24
	s_delay_alu instid0(VALU_DEP_2)
	v_add_co_ci_u32_e32 v31, vcc_lo, s11, v25, vcc_lo
	v_dual_mov_b32 v24, v26 :: v_dual_mov_b32 v25, v27
	.p2align	6
.LBB77_24:                              ;   Parent Loop BB77_17 Depth=1
                                        ;     Parent Loop BB77_20 Depth=2
                                        ; =>    This Inner Loop Header: Depth=3
	v_ashrrev_i32_e32 v29, 31, v28
	s_add_i32 s1, s1, -1
	s_delay_alu instid0(SALU_CYCLE_1) | instskip(NEXT) | instid1(VALU_DEP_1)
	s_cmp_lg_u32 s1, 0
	v_lshlrev_b64 v[38:39], 4, v[28:29]
	v_add_nc_u32_e32 v28, s7, v28
	s_delay_alu instid0(VALU_DEP_2) | instskip(NEXT) | instid1(VALU_DEP_3)
	v_add_co_u32 v42, vcc_lo, s28, v38
	v_add_co_ci_u32_e32 v43, vcc_lo, s29, v39, vcc_lo
	global_load_b128 v[38:41], v[30:31], off offset:-8
	global_load_b128 v[42:45], v[42:43], off
	v_add_co_u32 v30, vcc_lo, v30, 16
	v_add_co_ci_u32_e32 v31, vcc_lo, 0, v31, vcc_lo
	s_waitcnt vmcnt(0)
	v_fma_f64 v[26:27], v[42:43], v[38:39], v[26:27]
	v_fma_f64 v[24:25], v[44:45], v[38:39], v[24:25]
	s_delay_alu instid0(VALU_DEP_2) | instskip(NEXT) | instid1(VALU_DEP_2)
	v_fma_f64 v[26:27], -v[44:45], v[40:41], v[26:27]
	v_fma_f64 v[24:25], v[42:43], v[40:41], v[24:25]
	s_cbranch_scc1 .LBB77_24
.LBB77_25:                              ;   in Loop: Header=BB77_20 Depth=2
	s_cbranch_execz .LBB77_27
	s_branch .LBB77_30
.LBB77_26:                              ;   in Loop: Header=BB77_20 Depth=2
                                        ; implicit-def: $vgpr26_vgpr27
                                        ; implicit-def: $vgpr24_vgpr25
.LBB77_27:                              ;   in Loop: Header=BB77_20 Depth=2
	v_mov_b32_e32 v26, 0
	v_mov_b32_e32 v27, 0
	s_delay_alu instid0(VALU_DEP_2) | instskip(SKIP_1) | instid1(VALU_DEP_2)
	v_mov_b32_e32 v24, v26
	s_and_not1_b32 vcc_lo, exec_lo, s8
	v_mov_b32_e32 v25, v27
	s_cbranch_vccnz .LBB77_30
; %bb.28:                               ;   in Loop: Header=BB77_20 Depth=2
	v_dual_mov_b32 v26, 0 :: v_dual_mov_b32 v29, v23
	v_dual_mov_b32 v27, 0 :: v_dual_mov_b32 v28, v22
	v_mov_b32_e32 v30, v19
	s_delay_alu instid0(VALU_DEP_3) | instskip(SKIP_1) | instid1(VALU_DEP_3)
	v_mov_b32_e32 v24, v26
	s_mov_b32 s1, s7
	v_mov_b32_e32 v25, v27
	.p2align	6
.LBB77_29:                              ;   Parent Loop BB77_17 Depth=1
                                        ;     Parent Loop BB77_20 Depth=2
                                        ; =>    This Inner Loop Header: Depth=3
	s_delay_alu instid0(VALU_DEP_3) | instskip(SKIP_1) | instid1(SALU_CYCLE_1)
	v_ashrrev_i32_e32 v31, 31, v30
	s_add_i32 s1, s1, -1
	s_cmp_eq_u32 s1, 0
	s_delay_alu instid0(VALU_DEP_1) | instskip(SKIP_1) | instid1(VALU_DEP_2)
	v_lshlrev_b64 v[38:39], 4, v[30:31]
	v_add_nc_u32_e32 v30, s7, v30
	v_add_co_u32 v42, vcc_lo, s46, v38
	s_delay_alu instid0(VALU_DEP_3)
	v_add_co_ci_u32_e32 v43, vcc_lo, s47, v39, vcc_lo
	global_load_b128 v[38:41], v[28:29], off offset:-8
	global_load_b128 v[42:45], v[42:43], off
	v_add_co_u32 v28, vcc_lo, v28, 16
	v_add_co_ci_u32_e32 v29, vcc_lo, 0, v29, vcc_lo
	s_waitcnt vmcnt(0)
	v_fma_f64 v[26:27], v[38:39], v[42:43], v[26:27]
	v_fma_f64 v[24:25], v[40:41], v[42:43], v[24:25]
	s_delay_alu instid0(VALU_DEP_2) | instskip(NEXT) | instid1(VALU_DEP_2)
	v_fma_f64 v[26:27], -v[40:41], v[44:45], v[26:27]
	v_fma_f64 v[24:25], v[38:39], v[44:45], v[24:25]
	s_cbranch_scc0 .LBB77_29
.LBB77_30:                              ;   in Loop: Header=BB77_20 Depth=2
	s_delay_alu instid0(VALU_DEP_1) | instskip(SKIP_4) | instid1(VALU_DEP_1)
	v_mul_f64 v[28:29], v[24:25], -v[12:13]
	v_mul_f64 v[30:31], v[10:11], v[24:25]
	s_waitcnt vmcnt(0)
	v_subrev_nc_u32_e32 v16, s37, v16
	s_mov_b32 s1, 0
	v_and_b32_e32 v18, 7, v16
	s_delay_alu instid0(VALU_DEP_4) | instskip(NEXT) | instid1(VALU_DEP_4)
	v_fma_f64 v[24:25], v[10:11], v[26:27], v[28:29]
	v_fma_f64 v[26:27], v[12:13], v[26:27], v[30:31]
	s_branch .LBB77_32
.LBB77_31:                              ;   in Loop: Header=BB77_32 Depth=3
	s_or_b32 exec_lo, exec_lo, s33
	s_xor_b32 s33, s34, -1
	s_delay_alu instid0(SALU_CYCLE_1) | instskip(NEXT) | instid1(SALU_CYCLE_1)
	s_and_b32 s33, exec_lo, s33
	s_or_b32 s1, s33, s1
	s_delay_alu instid0(SALU_CYCLE_1)
	s_and_not1_b32 exec_lo, exec_lo, s1
	s_cbranch_execz .LBB77_19
.LBB77_32:                              ;   Parent Loop BB77_17 Depth=1
                                        ;     Parent Loop BB77_20 Depth=2
                                        ; =>    This Loop Header: Depth=3
                                        ;         Child Loop BB77_38 Depth 4
                                        ;         Child Loop BB77_40 Depth 4
	;; [unrolled: 1-line block ×4, first 2 shown]
	s_delay_alu instid0(VALU_DEP_3)
	v_lshl_add_u32 v21, v18, 2, v34
	s_mov_b32 s33, exec_lo
                                        ; implicit-def: $sgpr34
	ds_load_b32 v28, v21
	s_waitcnt lgkmcnt(0)
	v_cmpx_ne_u32_e64 v28, v16
	s_xor_b32 s33, exec_lo, s33
	s_cbranch_execz .LBB77_44
; %bb.33:                               ;   in Loop: Header=BB77_32 Depth=3
	s_mov_b32 s35, exec_lo
                                        ; implicit-def: $sgpr34
	v_cmpx_ne_u32_e64 s6, v28
	s_xor_b32 s35, exec_lo, s35
; %bb.34:                               ;   in Loop: Header=BB77_32 Depth=3
	v_add_nc_u32_e32 v18, 1, v18
	s_mov_b32 s34, -1
                                        ; implicit-def: $vgpr21
	s_delay_alu instid0(VALU_DEP_1)
	v_and_b32_e32 v18, 7, v18
; %bb.35:                               ;   in Loop: Header=BB77_32 Depth=3
	s_and_not1_saveexec_b32 s35, s35
	s_cbranch_execz .LBB77_43
; %bb.36:                               ;   in Loop: Header=BB77_32 Depth=3
	v_mov_b32_e32 v28, s6
	s_mov_b32 s49, -1
	s_mov_b32 s48, exec_lo
	ds_cmpstore_rtn_b32 v21, v21, v16, v28
	s_waitcnt lgkmcnt(0)
	v_cmpx_eq_u32_e64 s6, v21
	s_cbranch_execz .LBB77_42
; %bb.37:                               ;   in Loop: Header=BB77_32 Depth=3
	v_lshl_or_b32 v21, v18, 10, v35
	s_mov_b32 s49, 0
	s_delay_alu instid0(VALU_DEP_1)
	v_add_nc_u32_e32 v21, v32, v21
	ds_load_b64 v[28:29], v21
.LBB77_38:                              ;   Parent Loop BB77_17 Depth=1
                                        ;     Parent Loop BB77_20 Depth=2
                                        ;       Parent Loop BB77_32 Depth=3
                                        ; =>      This Inner Loop Header: Depth=4
	s_waitcnt lgkmcnt(0)
	v_add_f64 v[30:31], v[28:29], v[24:25]
	ds_cmpstore_rtn_b64 v[30:31], v21, v[30:31], v[28:29]
	s_waitcnt lgkmcnt(0)
	v_cmp_eq_u64_e32 vcc_lo, v[30:31], v[28:29]
	v_dual_mov_b32 v28, v30 :: v_dual_mov_b32 v29, v31
	s_or_b32 s49, vcc_lo, s49
	s_delay_alu instid0(SALU_CYCLE_1)
	s_and_not1_b32 exec_lo, exec_lo, s49
	s_cbranch_execnz .LBB77_38
; %bb.39:                               ;   in Loop: Header=BB77_32 Depth=3
	s_or_b32 exec_lo, exec_lo, s49
	ds_load_b64 v[28:29], v21 offset:8
	s_mov_b32 s49, 0
.LBB77_40:                              ;   Parent Loop BB77_17 Depth=1
                                        ;     Parent Loop BB77_20 Depth=2
                                        ;       Parent Loop BB77_32 Depth=3
                                        ; =>      This Inner Loop Header: Depth=4
	s_waitcnt lgkmcnt(0)
	v_add_f64 v[30:31], v[28:29], v[26:27]
	ds_cmpstore_rtn_b64 v[30:31], v21, v[30:31], v[28:29] offset:8
	s_waitcnt lgkmcnt(0)
	v_cmp_eq_u64_e32 vcc_lo, v[30:31], v[28:29]
	v_dual_mov_b32 v28, v30 :: v_dual_mov_b32 v29, v31
	s_or_b32 s49, vcc_lo, s49
	s_delay_alu instid0(SALU_CYCLE_1)
	s_and_not1_b32 exec_lo, exec_lo, s49
	s_cbranch_execnz .LBB77_40
; %bb.41:                               ;   in Loop: Header=BB77_32 Depth=3
	s_or_b32 exec_lo, exec_lo, s49
	s_delay_alu instid0(SALU_CYCLE_1)
	s_xor_b32 s49, exec_lo, -1
.LBB77_42:                              ;   in Loop: Header=BB77_32 Depth=3
	s_or_b32 exec_lo, exec_lo, s48
	s_delay_alu instid0(SALU_CYCLE_1) | instskip(SKIP_1) | instid1(SALU_CYCLE_1)
	s_and_not1_b32 s34, s34, exec_lo
	s_and_b32 s48, s49, exec_lo
	s_or_b32 s34, s34, s48
.LBB77_43:                              ;   in Loop: Header=BB77_32 Depth=3
	s_or_b32 exec_lo, exec_lo, s35
	s_delay_alu instid0(SALU_CYCLE_1)
	s_and_b32 s34, s34, exec_lo
.LBB77_44:                              ;   in Loop: Header=BB77_32 Depth=3
	s_and_not1_saveexec_b32 s33, s33
	s_cbranch_execz .LBB77_31
; %bb.45:                               ;   in Loop: Header=BB77_32 Depth=3
	v_lshl_or_b32 v21, v18, 10, v35
	s_mov_b32 s35, 0
	s_delay_alu instid0(VALU_DEP_1)
	v_add_nc_u32_e32 v21, v32, v21
	ds_load_b64 v[28:29], v21
.LBB77_46:                              ;   Parent Loop BB77_17 Depth=1
                                        ;     Parent Loop BB77_20 Depth=2
                                        ;       Parent Loop BB77_32 Depth=3
                                        ; =>      This Inner Loop Header: Depth=4
	s_waitcnt lgkmcnt(0)
	v_add_f64 v[30:31], v[28:29], v[24:25]
	ds_cmpstore_rtn_b64 v[30:31], v21, v[30:31], v[28:29]
	s_waitcnt lgkmcnt(0)
	v_cmp_eq_u64_e32 vcc_lo, v[30:31], v[28:29]
	v_dual_mov_b32 v28, v30 :: v_dual_mov_b32 v29, v31
	s_or_b32 s35, vcc_lo, s35
	s_delay_alu instid0(SALU_CYCLE_1)
	s_and_not1_b32 exec_lo, exec_lo, s35
	s_cbranch_execnz .LBB77_46
; %bb.47:                               ;   in Loop: Header=BB77_32 Depth=3
	s_or_b32 exec_lo, exec_lo, s35
	ds_load_b64 v[28:29], v21 offset:8
	s_mov_b32 s35, 0
.LBB77_48:                              ;   Parent Loop BB77_17 Depth=1
                                        ;     Parent Loop BB77_20 Depth=2
                                        ;       Parent Loop BB77_32 Depth=3
                                        ; =>      This Inner Loop Header: Depth=4
	s_waitcnt lgkmcnt(0)
	v_add_f64 v[30:31], v[28:29], v[26:27]
	ds_cmpstore_rtn_b64 v[30:31], v21, v[30:31], v[28:29] offset:8
	s_waitcnt lgkmcnt(0)
	v_cmp_eq_u64_e32 vcc_lo, v[30:31], v[28:29]
	v_dual_mov_b32 v28, v30 :: v_dual_mov_b32 v29, v31
	s_or_b32 s35, vcc_lo, s35
	s_delay_alu instid0(SALU_CYCLE_1)
	s_and_not1_b32 exec_lo, exec_lo, s35
	s_cbranch_execnz .LBB77_48
; %bb.49:                               ;   in Loop: Header=BB77_32 Depth=3
	s_or_b32 exec_lo, exec_lo, s35
	s_delay_alu instid0(SALU_CYCLE_1)
	s_and_not1_b32 s34, s34, exec_lo
	s_branch .LBB77_31
.LBB77_50:
	s_or_b32 exec_lo, exec_lo, s2
.LBB77_51:
	s_delay_alu instid0(SALU_CYCLE_1)
	s_and_not1_b32 vcc_lo, exec_lo, s12
	s_barrier
	buffer_gl0_inv
	s_cbranch_vccnz .LBB77_77
; %bb.52:
	v_add_co_u32 v2, vcc_lo, s16, v0
	v_add_co_ci_u32_e32 v3, vcc_lo, s17, v1, vcc_lo
	s_mov_b32 s1, exec_lo
	global_load_b64 v[2:3], v[2:3], off
	s_waitcnt vmcnt(0)
	v_cmpx_lt_i32_e64 v2, v3
	s_cbranch_execz .LBB77_76
; %bb.53:
	v_max_i32_e32 v10, v8, v9
	s_cmp_eq_u32 s4, 0
	v_subrev_nc_u32_e32 v18, s39, v3
	s_cselect_b32 s0, -1, 0
	v_subrev_nc_u32_e32 v2, s39, v2
	v_cmp_gt_i32_e32 vcc_lo, s7, v10
	v_cndmask_b32_e64 v10, v8, v9, s0
	v_cndmask_b32_e64 v11, v9, v8, s0
	s_mov_b32 s2, 0
	s_branch .LBB77_55
.LBB77_54:                              ;   in Loop: Header=BB77_55 Depth=1
	s_or_b32 exec_lo, exec_lo, s3
	v_add_nc_u32_e32 v2, 1, v2
	s_delay_alu instid0(VALU_DEP_1) | instskip(NEXT) | instid1(VALU_DEP_1)
	v_cmp_ge_i32_e64 s0, v2, v18
	s_or_b32 s2, s0, s2
	s_delay_alu instid0(SALU_CYCLE_1)
	s_and_not1_b32 exec_lo, exec_lo, s2
	s_cbranch_execz .LBB77_76
.LBB77_55:                              ; =>This Loop Header: Depth=1
                                        ;     Child Loop BB77_58 Depth 2
                                        ;       Child Loop BB77_64 Depth 3
                                        ;       Child Loop BB77_66 Depth 3
	;; [unrolled: 1-line block ×4, first 2 shown]
	s_and_saveexec_b32 s3, vcc_lo
	s_cbranch_execz .LBB77_54
; %bb.56:                               ;   in Loop: Header=BB77_55 Depth=1
	v_mad_u64_u32 v[12:13], null, v2, s7, v[10:11]
	v_ashrrev_i32_e32 v3, 31, v2
	s_mov_b32 s5, 0
	s_delay_alu instid0(VALU_DEP_2) | instskip(NEXT) | instid1(VALU_DEP_1)
	v_mad_u64_u32 v[13:14], null, v12, s7, v[11:12]
	v_ashrrev_i32_e32 v14, 31, v13
	s_delay_alu instid0(VALU_DEP_1) | instskip(NEXT) | instid1(VALU_DEP_1)
	v_lshlrev_b64 v[12:13], 4, v[13:14]
	v_add_co_u32 v12, s0, s20, v12
	s_delay_alu instid0(VALU_DEP_1) | instskip(SKIP_2) | instid1(VALU_DEP_1)
	v_add_co_ci_u32_e64 v13, s0, s21, v13, s0
	global_load_b128 v[14:17], v[12:13], off
	v_lshlrev_b64 v[12:13], 2, v[2:3]
	v_add_co_u32 v12, s0, s18, v12
	s_delay_alu instid0(VALU_DEP_1)
	v_add_co_ci_u32_e64 v13, s0, s19, v13, s0
	global_load_b32 v3, v[12:13], off
	s_waitcnt vmcnt(1)
	v_mul_f64 v[12:13], v[16:17], -v[4:5]
	v_mul_f64 v[16:17], v[6:7], v[16:17]
	s_waitcnt vmcnt(0)
	v_subrev_nc_u32_e32 v3, s39, v3
	s_delay_alu instid0(VALU_DEP_1) | instskip(NEXT) | instid1(VALU_DEP_4)
	v_and_b32_e32 v19, 7, v3
	v_fma_f64 v[12:13], v[6:7], v[14:15], v[12:13]
	s_delay_alu instid0(VALU_DEP_4)
	v_fma_f64 v[14:15], v[4:5], v[14:15], v[16:17]
	s_branch .LBB77_58
.LBB77_57:                              ;   in Loop: Header=BB77_58 Depth=2
	s_or_b32 exec_lo, exec_lo, s8
	s_xor_b32 s0, s9, -1
	s_delay_alu instid0(SALU_CYCLE_1) | instskip(NEXT) | instid1(SALU_CYCLE_1)
	s_and_b32 s0, exec_lo, s0
	s_or_b32 s5, s0, s5
	s_delay_alu instid0(SALU_CYCLE_1)
	s_and_not1_b32 exec_lo, exec_lo, s5
	s_cbranch_execz .LBB77_54
.LBB77_58:                              ;   Parent Loop BB77_55 Depth=1
                                        ; =>  This Loop Header: Depth=2
                                        ;       Child Loop BB77_64 Depth 3
                                        ;       Child Loop BB77_66 Depth 3
	;; [unrolled: 1-line block ×4, first 2 shown]
	s_delay_alu instid0(VALU_DEP_3)
	v_lshl_add_u32 v16, v19, 2, v34
	s_mov_b32 s8, exec_lo
                                        ; implicit-def: $sgpr9
	ds_load_b32 v17, v16
	s_waitcnt lgkmcnt(0)
	v_cmpx_ne_u32_e64 v17, v3
	s_xor_b32 s8, exec_lo, s8
	s_cbranch_execz .LBB77_70
; %bb.59:                               ;   in Loop: Header=BB77_58 Depth=2
	v_cmp_ne_u32_e64 s0, s6, v17
                                        ; implicit-def: $sgpr9
	s_delay_alu instid0(VALU_DEP_1) | instskip(NEXT) | instid1(SALU_CYCLE_1)
	s_and_saveexec_b32 s10, s0
	s_xor_b32 s0, exec_lo, s10
; %bb.60:                               ;   in Loop: Header=BB77_58 Depth=2
	v_add_nc_u32_e32 v16, 1, v19
	s_mov_b32 s9, -1
	s_delay_alu instid0(VALU_DEP_1)
	v_and_b32_e32 v19, 7, v16
                                        ; implicit-def: $vgpr16
; %bb.61:                               ;   in Loop: Header=BB77_58 Depth=2
	s_and_not1_saveexec_b32 s10, s0
	s_cbranch_execz .LBB77_69
; %bb.62:                               ;   in Loop: Header=BB77_58 Depth=2
	v_mov_b32_e32 v17, s6
	s_mov_b32 s12, -1
	s_mov_b32 s11, exec_lo
	ds_cmpstore_rtn_b32 v16, v16, v3, v17
	s_waitcnt lgkmcnt(0)
	v_cmpx_eq_u32_e64 s6, v16
	s_cbranch_execz .LBB77_68
; %bb.63:                               ;   in Loop: Header=BB77_58 Depth=2
	v_lshl_or_b32 v16, v19, 10, v35
	s_mov_b32 s12, 0
	s_delay_alu instid0(VALU_DEP_1)
	v_add_nc_u32_e32 v20, v32, v16
	ds_load_b64 v[16:17], v20
.LBB77_64:                              ;   Parent Loop BB77_55 Depth=1
                                        ;     Parent Loop BB77_58 Depth=2
                                        ; =>    This Inner Loop Header: Depth=3
	s_waitcnt lgkmcnt(0)
	v_add_f64 v[21:22], v[16:17], v[12:13]
	ds_cmpstore_rtn_b64 v[21:22], v20, v[21:22], v[16:17]
	s_waitcnt lgkmcnt(0)
	v_cmp_eq_u64_e64 s0, v[21:22], v[16:17]
	v_dual_mov_b32 v16, v21 :: v_dual_mov_b32 v17, v22
	s_delay_alu instid0(VALU_DEP_2) | instskip(NEXT) | instid1(SALU_CYCLE_1)
	s_or_b32 s12, s0, s12
	s_and_not1_b32 exec_lo, exec_lo, s12
	s_cbranch_execnz .LBB77_64
; %bb.65:                               ;   in Loop: Header=BB77_58 Depth=2
	s_or_b32 exec_lo, exec_lo, s12
	ds_load_b64 v[16:17], v20 offset:8
	s_mov_b32 s12, 0
.LBB77_66:                              ;   Parent Loop BB77_55 Depth=1
                                        ;     Parent Loop BB77_58 Depth=2
                                        ; =>    This Inner Loop Header: Depth=3
	s_waitcnt lgkmcnt(0)
	v_add_f64 v[21:22], v[16:17], v[14:15]
	ds_cmpstore_rtn_b64 v[21:22], v20, v[21:22], v[16:17] offset:8
	s_waitcnt lgkmcnt(0)
	v_cmp_eq_u64_e64 s0, v[21:22], v[16:17]
	v_dual_mov_b32 v16, v21 :: v_dual_mov_b32 v17, v22
	s_delay_alu instid0(VALU_DEP_2) | instskip(NEXT) | instid1(SALU_CYCLE_1)
	s_or_b32 s12, s0, s12
	s_and_not1_b32 exec_lo, exec_lo, s12
	s_cbranch_execnz .LBB77_66
; %bb.67:                               ;   in Loop: Header=BB77_58 Depth=2
	s_or_b32 exec_lo, exec_lo, s12
	s_delay_alu instid0(SALU_CYCLE_1)
	s_xor_b32 s12, exec_lo, -1
.LBB77_68:                              ;   in Loop: Header=BB77_58 Depth=2
	s_or_b32 exec_lo, exec_lo, s11
	s_delay_alu instid0(SALU_CYCLE_1) | instskip(SKIP_1) | instid1(SALU_CYCLE_1)
	s_and_not1_b32 s0, s9, exec_lo
	s_and_b32 s9, s12, exec_lo
	s_or_b32 s9, s0, s9
.LBB77_69:                              ;   in Loop: Header=BB77_58 Depth=2
	s_or_b32 exec_lo, exec_lo, s10
	s_delay_alu instid0(SALU_CYCLE_1)
	s_and_b32 s9, s9, exec_lo
.LBB77_70:                              ;   in Loop: Header=BB77_58 Depth=2
	s_and_not1_saveexec_b32 s8, s8
	s_cbranch_execz .LBB77_57
; %bb.71:                               ;   in Loop: Header=BB77_58 Depth=2
	v_lshl_or_b32 v16, v19, 10, v35
	s_mov_b32 s10, 0
	s_delay_alu instid0(VALU_DEP_1)
	v_add_nc_u32_e32 v20, v32, v16
	ds_load_b64 v[16:17], v20
.LBB77_72:                              ;   Parent Loop BB77_55 Depth=1
                                        ;     Parent Loop BB77_58 Depth=2
                                        ; =>    This Inner Loop Header: Depth=3
	s_waitcnt lgkmcnt(0)
	v_add_f64 v[21:22], v[16:17], v[12:13]
	ds_cmpstore_rtn_b64 v[21:22], v20, v[21:22], v[16:17]
	s_waitcnt lgkmcnt(0)
	v_cmp_eq_u64_e64 s0, v[21:22], v[16:17]
	v_dual_mov_b32 v16, v21 :: v_dual_mov_b32 v17, v22
	s_delay_alu instid0(VALU_DEP_2) | instskip(NEXT) | instid1(SALU_CYCLE_1)
	s_or_b32 s10, s0, s10
	s_and_not1_b32 exec_lo, exec_lo, s10
	s_cbranch_execnz .LBB77_72
; %bb.73:                               ;   in Loop: Header=BB77_58 Depth=2
	s_or_b32 exec_lo, exec_lo, s10
	ds_load_b64 v[16:17], v20 offset:8
	s_mov_b32 s10, 0
.LBB77_74:                              ;   Parent Loop BB77_55 Depth=1
                                        ;     Parent Loop BB77_58 Depth=2
                                        ; =>    This Inner Loop Header: Depth=3
	s_waitcnt lgkmcnt(0)
	v_add_f64 v[21:22], v[16:17], v[14:15]
	ds_cmpstore_rtn_b64 v[21:22], v20, v[21:22], v[16:17] offset:8
	s_waitcnt lgkmcnt(0)
	v_cmp_eq_u64_e64 s0, v[21:22], v[16:17]
	v_dual_mov_b32 v16, v21 :: v_dual_mov_b32 v17, v22
	s_delay_alu instid0(VALU_DEP_2) | instskip(NEXT) | instid1(SALU_CYCLE_1)
	s_or_b32 s10, s0, s10
	s_and_not1_b32 exec_lo, exec_lo, s10
	s_cbranch_execnz .LBB77_74
; %bb.75:                               ;   in Loop: Header=BB77_58 Depth=2
	s_or_b32 exec_lo, exec_lo, s10
	s_delay_alu instid0(SALU_CYCLE_1)
	s_and_not1_b32 s9, s9, exec_lo
	s_branch .LBB77_57
.LBB77_76:
	s_or_b32 exec_lo, exec_lo, s1
.LBB77_77:
	v_add_co_u32 v0, vcc_lo, s22, v0
	v_add_co_ci_u32_e32 v1, vcc_lo, s23, v1, vcc_lo
	s_barrier
	buffer_gl0_inv
	global_load_b32 v10, v[0:1], off
	ds_load_b128 v[4:7], v34
	ds_load_b128 v[0:3], v34 offset:16
	v_max_i32_e32 v11, v8, v9
	v_lshlrev_b32_e32 v12, 3, v8
	v_and_b32_e32 v13, 56, v33
	s_cmp_eq_u32 s4, 0
	s_mov_b32 s1, exec_lo
	s_cselect_b32 s0, -1, 0
	v_cmp_gt_i32_e32 vcc_lo, s7, v11
	v_cndmask_b32_e64 v12, v12, v13, s0
	v_cndmask_b32_e64 v13, v9, v8, s0
	s_waitcnt vmcnt(0)
	v_subrev_nc_u32_e32 v14, s38, v10
	s_waitcnt lgkmcnt(1)
	v_cmpx_gt_i32_e64 s6, v4
	s_cbranch_execz .LBB77_80
; %bb.78:
	v_cmp_gt_i32_e64 s0, v4, v5
	s_delay_alu instid0(VALU_DEP_1) | instskip(SKIP_1) | instid1(VALU_DEP_1)
	v_add_co_ci_u32_e64 v10, s0, 0, v14, s0
	v_cmp_gt_i32_e64 s0, v4, v6
	v_cndmask_b32_e64 v11, 0, 1, s0
	v_cmp_gt_i32_e64 s0, v4, v7
	s_delay_alu instid0(VALU_DEP_1) | instskip(SKIP_2) | instid1(VALU_DEP_1)
	v_add_co_ci_u32_e64 v10, s0, v10, v11, s0
	s_waitcnt lgkmcnt(0)
	v_cmp_gt_i32_e64 s0, v4, v0
	v_cndmask_b32_e64 v11, 0, 1, s0
	v_cmp_gt_i32_e64 s0, v4, v1
	s_delay_alu instid0(VALU_DEP_1) | instskip(SKIP_1) | instid1(VALU_DEP_1)
	v_add_co_ci_u32_e64 v10, s0, v10, v11, s0
	v_cmp_gt_i32_e64 s0, v4, v2
	v_cndmask_b32_e64 v11, 0, 1, s0
	v_cmp_gt_i32_e64 s0, v4, v3
	s_delay_alu instid0(VALU_DEP_1) | instskip(NEXT) | instid1(VALU_DEP_1)
	v_add_co_ci_u32_e64 v10, s0, v10, v11, s0
	v_ashrrev_i32_e32 v11, 31, v10
	s_delay_alu instid0(VALU_DEP_1) | instskip(SKIP_1) | instid1(VALU_DEP_2)
	v_lshlrev_b64 v[15:16], 2, v[10:11]
	v_add_nc_u32_e32 v11, s38, v4
	v_add_co_u32 v15, s0, s40, v15
	s_delay_alu instid0(VALU_DEP_1)
	v_add_co_ci_u32_e64 v16, s0, s41, v16, s0
	global_store_b32 v[15:16], v11, off
	s_and_b32 exec_lo, exec_lo, vcc_lo
	s_cbranch_execz .LBB77_80
; %bb.79:
	v_mad_u64_u32 v[15:16], null, v10, s7, v[9:10]
	v_or_b32_e32 v16, v12, v13
	s_delay_alu instid0(VALU_DEP_2) | instskip(NEXT) | instid1(VALU_DEP_2)
	v_mad_u64_u32 v[10:11], null, v15, s7, v[8:9]
	v_lshl_add_u32 v11, v16, 4, v32
	ds_load_2addr_b64 v[15:18], v11 offset1:1
	v_ashrrev_i32_e32 v11, 31, v10
	s_delay_alu instid0(VALU_DEP_1) | instskip(NEXT) | instid1(VALU_DEP_1)
	v_lshlrev_b64 v[10:11], 4, v[10:11]
	v_add_co_u32 v10, s0, s42, v10
	s_delay_alu instid0(VALU_DEP_1)
	v_add_co_ci_u32_e64 v11, s0, s43, v11, s0
	s_waitcnt lgkmcnt(0)
	global_store_b128 v[10:11], v[15:18], off
.LBB77_80:
	s_or_b32 exec_lo, exec_lo, s1
	s_delay_alu instid0(SALU_CYCLE_1)
	s_mov_b32 s1, exec_lo
	v_cmpx_gt_i32_e64 s6, v5
	s_cbranch_execz .LBB77_83
; %bb.81:
	v_cmp_gt_i32_e64 s0, v5, v4
	s_delay_alu instid0(VALU_DEP_1) | instskip(SKIP_1) | instid1(VALU_DEP_1)
	v_add_co_ci_u32_e64 v10, s0, 0, v14, s0
	v_cmp_gt_i32_e64 s0, v5, v6
	v_cndmask_b32_e64 v11, 0, 1, s0
	v_cmp_gt_i32_e64 s0, v5, v7
	s_delay_alu instid0(VALU_DEP_1) | instskip(SKIP_2) | instid1(VALU_DEP_1)
	v_add_co_ci_u32_e64 v10, s0, v10, v11, s0
	s_waitcnt lgkmcnt(0)
	v_cmp_gt_i32_e64 s0, v5, v0
	v_cndmask_b32_e64 v11, 0, 1, s0
	v_cmp_gt_i32_e64 s0, v5, v1
	s_delay_alu instid0(VALU_DEP_1) | instskip(SKIP_1) | instid1(VALU_DEP_1)
	v_add_co_ci_u32_e64 v10, s0, v10, v11, s0
	v_cmp_gt_i32_e64 s0, v5, v2
	v_cndmask_b32_e64 v11, 0, 1, s0
	v_cmp_gt_i32_e64 s0, v5, v3
	s_delay_alu instid0(VALU_DEP_1) | instskip(NEXT) | instid1(VALU_DEP_1)
	v_add_co_ci_u32_e64 v10, s0, v10, v11, s0
	v_ashrrev_i32_e32 v11, 31, v10
	s_delay_alu instid0(VALU_DEP_1) | instskip(SKIP_1) | instid1(VALU_DEP_2)
	v_lshlrev_b64 v[15:16], 2, v[10:11]
	v_add_nc_u32_e32 v11, s38, v5
	v_add_co_u32 v15, s0, s40, v15
	s_delay_alu instid0(VALU_DEP_1)
	v_add_co_ci_u32_e64 v16, s0, s41, v16, s0
	global_store_b32 v[15:16], v11, off
	s_and_b32 exec_lo, exec_lo, vcc_lo
	s_cbranch_execz .LBB77_83
; %bb.82:
	v_mad_u64_u32 v[15:16], null, v10, s7, v[9:10]
	v_or_b32_e32 v16, v12, v13
	s_delay_alu instid0(VALU_DEP_2) | instskip(NEXT) | instid1(VALU_DEP_2)
	v_mad_u64_u32 v[10:11], null, v15, s7, v[8:9]
	v_lshl_add_u32 v11, v16, 4, v32
	ds_load_2addr_b64 v[15:18], v11 offset0:128 offset1:129
	v_ashrrev_i32_e32 v11, 31, v10
	s_delay_alu instid0(VALU_DEP_1) | instskip(NEXT) | instid1(VALU_DEP_1)
	v_lshlrev_b64 v[10:11], 4, v[10:11]
	v_add_co_u32 v10, s0, s42, v10
	s_delay_alu instid0(VALU_DEP_1)
	v_add_co_ci_u32_e64 v11, s0, s43, v11, s0
	s_waitcnt lgkmcnt(0)
	global_store_b128 v[10:11], v[15:18], off
.LBB77_83:
	s_or_b32 exec_lo, exec_lo, s1
	s_delay_alu instid0(SALU_CYCLE_1)
	s_mov_b32 s1, exec_lo
	v_cmpx_gt_i32_e64 s6, v6
	s_cbranch_execz .LBB77_86
; %bb.84:
	v_cmp_gt_i32_e64 s0, v6, v4
	s_delay_alu instid0(VALU_DEP_1) | instskip(SKIP_1) | instid1(VALU_DEP_1)
	v_add_co_ci_u32_e64 v10, s0, 0, v14, s0
	v_cmp_gt_i32_e64 s0, v6, v5
	v_cndmask_b32_e64 v11, 0, 1, s0
	v_cmp_gt_i32_e64 s0, v6, v7
	s_delay_alu instid0(VALU_DEP_1) | instskip(SKIP_2) | instid1(VALU_DEP_1)
	v_add_co_ci_u32_e64 v10, s0, v10, v11, s0
	s_waitcnt lgkmcnt(0)
	v_cmp_gt_i32_e64 s0, v6, v0
	v_cndmask_b32_e64 v11, 0, 1, s0
	v_cmp_gt_i32_e64 s0, v6, v1
	s_delay_alu instid0(VALU_DEP_1) | instskip(SKIP_1) | instid1(VALU_DEP_1)
	v_add_co_ci_u32_e64 v10, s0, v10, v11, s0
	v_cmp_gt_i32_e64 s0, v6, v2
	v_cndmask_b32_e64 v11, 0, 1, s0
	v_cmp_gt_i32_e64 s0, v6, v3
	s_delay_alu instid0(VALU_DEP_1) | instskip(NEXT) | instid1(VALU_DEP_1)
	v_add_co_ci_u32_e64 v10, s0, v10, v11, s0
	v_ashrrev_i32_e32 v11, 31, v10
	s_delay_alu instid0(VALU_DEP_1) | instskip(SKIP_1) | instid1(VALU_DEP_2)
	v_lshlrev_b64 v[15:16], 2, v[10:11]
	v_add_nc_u32_e32 v11, s38, v6
	v_add_co_u32 v15, s0, s40, v15
	s_delay_alu instid0(VALU_DEP_1)
	v_add_co_ci_u32_e64 v16, s0, s41, v16, s0
	global_store_b32 v[15:16], v11, off
	s_and_b32 exec_lo, exec_lo, vcc_lo
	s_cbranch_execz .LBB77_86
; %bb.85:
	v_or_b32_e32 v11, v12, v13
	v_mad_u64_u32 v[15:16], null, v10, s7, v[9:10]
	s_delay_alu instid0(VALU_DEP_2) | instskip(NEXT) | instid1(VALU_DEP_2)
	v_lshlrev_b32_e32 v16, 4, v11
	v_mad_u64_u32 v[10:11], null, v15, s7, v[8:9]
	s_delay_alu instid0(VALU_DEP_2) | instskip(SKIP_2) | instid1(VALU_DEP_1)
	v_add3_u32 v11, v32, v16, 0x800
	ds_load_2addr_b64 v[15:18], v11 offset1:1
	v_ashrrev_i32_e32 v11, 31, v10
	v_lshlrev_b64 v[10:11], 4, v[10:11]
	s_delay_alu instid0(VALU_DEP_1) | instskip(NEXT) | instid1(VALU_DEP_1)
	v_add_co_u32 v10, s0, s42, v10
	v_add_co_ci_u32_e64 v11, s0, s43, v11, s0
	s_waitcnt lgkmcnt(0)
	global_store_b128 v[10:11], v[15:18], off
.LBB77_86:
	s_or_b32 exec_lo, exec_lo, s1
	s_delay_alu instid0(SALU_CYCLE_1)
	s_mov_b32 s1, exec_lo
	v_cmpx_gt_i32_e64 s6, v7
	s_cbranch_execz .LBB77_89
; %bb.87:
	v_cmp_gt_i32_e64 s0, v7, v4
	s_delay_alu instid0(VALU_DEP_1) | instskip(SKIP_1) | instid1(VALU_DEP_1)
	v_add_co_ci_u32_e64 v10, s0, 0, v14, s0
	v_cmp_gt_i32_e64 s0, v7, v5
	v_cndmask_b32_e64 v11, 0, 1, s0
	v_cmp_gt_i32_e64 s0, v7, v6
	s_delay_alu instid0(VALU_DEP_1) | instskip(SKIP_2) | instid1(VALU_DEP_1)
	v_add_co_ci_u32_e64 v10, s0, v10, v11, s0
	s_waitcnt lgkmcnt(0)
	v_cmp_gt_i32_e64 s0, v7, v0
	v_cndmask_b32_e64 v11, 0, 1, s0
	v_cmp_gt_i32_e64 s0, v7, v1
	s_delay_alu instid0(VALU_DEP_1) | instskip(SKIP_1) | instid1(VALU_DEP_1)
	v_add_co_ci_u32_e64 v10, s0, v10, v11, s0
	v_cmp_gt_i32_e64 s0, v7, v2
	v_cndmask_b32_e64 v11, 0, 1, s0
	v_cmp_gt_i32_e64 s0, v7, v3
	s_delay_alu instid0(VALU_DEP_1) | instskip(NEXT) | instid1(VALU_DEP_1)
	v_add_co_ci_u32_e64 v10, s0, v10, v11, s0
	v_ashrrev_i32_e32 v11, 31, v10
	s_delay_alu instid0(VALU_DEP_1) | instskip(SKIP_1) | instid1(VALU_DEP_2)
	v_lshlrev_b64 v[15:16], 2, v[10:11]
	v_add_nc_u32_e32 v11, s38, v7
	v_add_co_u32 v15, s0, s40, v15
	s_delay_alu instid0(VALU_DEP_1)
	v_add_co_ci_u32_e64 v16, s0, s41, v16, s0
	global_store_b32 v[15:16], v11, off
	s_and_b32 exec_lo, exec_lo, vcc_lo
	s_cbranch_execz .LBB77_89
; %bb.88:
	v_or_b32_e32 v11, v12, v13
	v_mad_u64_u32 v[15:16], null, v10, s7, v[9:10]
	s_delay_alu instid0(VALU_DEP_2) | instskip(NEXT) | instid1(VALU_DEP_2)
	v_lshlrev_b32_e32 v16, 4, v11
	v_mad_u64_u32 v[10:11], null, v15, s7, v[8:9]
	s_delay_alu instid0(VALU_DEP_2) | instskip(SKIP_2) | instid1(VALU_DEP_1)
	v_add3_u32 v11, v32, v16, 0xc00
	ds_load_2addr_b64 v[15:18], v11 offset1:1
	v_ashrrev_i32_e32 v11, 31, v10
	v_lshlrev_b64 v[10:11], 4, v[10:11]
	s_delay_alu instid0(VALU_DEP_1) | instskip(NEXT) | instid1(VALU_DEP_1)
	v_add_co_u32 v10, s0, s42, v10
	v_add_co_ci_u32_e64 v11, s0, s43, v11, s0
	s_waitcnt lgkmcnt(0)
	global_store_b128 v[10:11], v[15:18], off
.LBB77_89:
	s_or_b32 exec_lo, exec_lo, s1
	s_delay_alu instid0(SALU_CYCLE_1)
	s_mov_b32 s1, exec_lo
	s_waitcnt lgkmcnt(0)
	v_cmpx_gt_i32_e64 s6, v0
	s_cbranch_execz .LBB77_92
; %bb.90:
	v_cmp_gt_i32_e64 s0, v0, v4
	s_delay_alu instid0(VALU_DEP_1) | instskip(SKIP_1) | instid1(VALU_DEP_1)
	v_add_co_ci_u32_e64 v10, s0, 0, v14, s0
	v_cmp_gt_i32_e64 s0, v0, v5
	v_cndmask_b32_e64 v11, 0, 1, s0
	v_cmp_gt_i32_e64 s0, v0, v6
	s_delay_alu instid0(VALU_DEP_1) | instskip(SKIP_1) | instid1(VALU_DEP_1)
	v_add_co_ci_u32_e64 v10, s0, v10, v11, s0
	v_cmp_gt_i32_e64 s0, v0, v7
	v_cndmask_b32_e64 v11, 0, 1, s0
	;; [unrolled: 5-line block ×3, first 2 shown]
	v_cmp_gt_i32_e64 s0, v0, v3
	s_delay_alu instid0(VALU_DEP_1) | instskip(NEXT) | instid1(VALU_DEP_1)
	v_add_co_ci_u32_e64 v10, s0, v10, v11, s0
	v_ashrrev_i32_e32 v11, 31, v10
	s_delay_alu instid0(VALU_DEP_1) | instskip(SKIP_1) | instid1(VALU_DEP_2)
	v_lshlrev_b64 v[15:16], 2, v[10:11]
	v_add_nc_u32_e32 v11, s38, v0
	v_add_co_u32 v15, s0, s40, v15
	s_delay_alu instid0(VALU_DEP_1)
	v_add_co_ci_u32_e64 v16, s0, s41, v16, s0
	global_store_b32 v[15:16], v11, off
	s_and_b32 exec_lo, exec_lo, vcc_lo
	s_cbranch_execz .LBB77_92
; %bb.91:
	v_or_b32_e32 v11, v12, v13
	v_mad_u64_u32 v[15:16], null, v10, s7, v[9:10]
	s_delay_alu instid0(VALU_DEP_2) | instskip(NEXT) | instid1(VALU_DEP_2)
	v_lshlrev_b32_e32 v16, 4, v11
	v_mad_u64_u32 v[10:11], null, v15, s7, v[8:9]
	s_delay_alu instid0(VALU_DEP_2) | instskip(SKIP_2) | instid1(VALU_DEP_1)
	v_add3_u32 v11, v32, v16, 0x1000
	ds_load_2addr_b64 v[15:18], v11 offset1:1
	v_ashrrev_i32_e32 v11, 31, v10
	v_lshlrev_b64 v[10:11], 4, v[10:11]
	s_delay_alu instid0(VALU_DEP_1) | instskip(NEXT) | instid1(VALU_DEP_1)
	v_add_co_u32 v10, s0, s42, v10
	v_add_co_ci_u32_e64 v11, s0, s43, v11, s0
	s_waitcnt lgkmcnt(0)
	global_store_b128 v[10:11], v[15:18], off
.LBB77_92:
	s_or_b32 exec_lo, exec_lo, s1
	s_delay_alu instid0(SALU_CYCLE_1)
	s_mov_b32 s1, exec_lo
	v_cmpx_gt_i32_e64 s6, v1
	s_cbranch_execz .LBB77_95
; %bb.93:
	v_cmp_gt_i32_e64 s0, v1, v4
	s_delay_alu instid0(VALU_DEP_1) | instskip(SKIP_1) | instid1(VALU_DEP_1)
	v_add_co_ci_u32_e64 v10, s0, 0, v14, s0
	v_cmp_gt_i32_e64 s0, v1, v5
	v_cndmask_b32_e64 v11, 0, 1, s0
	v_cmp_gt_i32_e64 s0, v1, v6
	s_delay_alu instid0(VALU_DEP_1) | instskip(SKIP_1) | instid1(VALU_DEP_1)
	v_add_co_ci_u32_e64 v10, s0, v10, v11, s0
	v_cmp_gt_i32_e64 s0, v1, v7
	v_cndmask_b32_e64 v11, 0, 1, s0
	;; [unrolled: 5-line block ×3, first 2 shown]
	v_cmp_gt_i32_e64 s0, v1, v3
	s_delay_alu instid0(VALU_DEP_1) | instskip(NEXT) | instid1(VALU_DEP_1)
	v_add_co_ci_u32_e64 v10, s0, v10, v11, s0
	v_ashrrev_i32_e32 v11, 31, v10
	s_delay_alu instid0(VALU_DEP_1) | instskip(SKIP_1) | instid1(VALU_DEP_2)
	v_lshlrev_b64 v[15:16], 2, v[10:11]
	v_add_nc_u32_e32 v11, s38, v1
	v_add_co_u32 v15, s0, s40, v15
	s_delay_alu instid0(VALU_DEP_1)
	v_add_co_ci_u32_e64 v16, s0, s41, v16, s0
	global_store_b32 v[15:16], v11, off
	s_and_b32 exec_lo, exec_lo, vcc_lo
	s_cbranch_execz .LBB77_95
; %bb.94:
	v_or_b32_e32 v11, v12, v13
	v_mad_u64_u32 v[15:16], null, v10, s7, v[9:10]
	s_delay_alu instid0(VALU_DEP_2) | instskip(NEXT) | instid1(VALU_DEP_2)
	v_lshlrev_b32_e32 v16, 4, v11
	v_mad_u64_u32 v[10:11], null, v15, s7, v[8:9]
	s_delay_alu instid0(VALU_DEP_2) | instskip(SKIP_2) | instid1(VALU_DEP_1)
	v_add3_u32 v11, v32, v16, 0x1400
	ds_load_2addr_b64 v[15:18], v11 offset1:1
	v_ashrrev_i32_e32 v11, 31, v10
	v_lshlrev_b64 v[10:11], 4, v[10:11]
	s_delay_alu instid0(VALU_DEP_1) | instskip(NEXT) | instid1(VALU_DEP_1)
	v_add_co_u32 v10, s0, s42, v10
	v_add_co_ci_u32_e64 v11, s0, s43, v11, s0
	s_waitcnt lgkmcnt(0)
	global_store_b128 v[10:11], v[15:18], off
.LBB77_95:
	s_or_b32 exec_lo, exec_lo, s1
	s_delay_alu instid0(SALU_CYCLE_1)
	s_mov_b32 s1, exec_lo
	v_cmpx_gt_i32_e64 s6, v2
	s_cbranch_execz .LBB77_98
; %bb.96:
	v_cmp_gt_i32_e64 s0, v2, v4
	s_delay_alu instid0(VALU_DEP_1) | instskip(SKIP_1) | instid1(VALU_DEP_1)
	v_add_co_ci_u32_e64 v10, s0, 0, v14, s0
	v_cmp_gt_i32_e64 s0, v2, v5
	v_cndmask_b32_e64 v11, 0, 1, s0
	v_cmp_gt_i32_e64 s0, v2, v6
	s_delay_alu instid0(VALU_DEP_1) | instskip(SKIP_1) | instid1(VALU_DEP_1)
	v_add_co_ci_u32_e64 v10, s0, v10, v11, s0
	v_cmp_gt_i32_e64 s0, v2, v7
	v_cndmask_b32_e64 v11, 0, 1, s0
	v_cmp_gt_i32_e64 s0, v2, v0
	s_delay_alu instid0(VALU_DEP_1) | instskip(SKIP_1) | instid1(VALU_DEP_1)
	v_add_co_ci_u32_e64 v10, s0, v10, v11, s0
	v_cmp_gt_i32_e64 s0, v2, v1
	v_cndmask_b32_e64 v11, 0, 1, s0
	v_cmp_gt_i32_e64 s0, v2, v3
	s_delay_alu instid0(VALU_DEP_1) | instskip(NEXT) | instid1(VALU_DEP_1)
	v_add_co_ci_u32_e64 v10, s0, v10, v11, s0
	v_ashrrev_i32_e32 v11, 31, v10
	s_delay_alu instid0(VALU_DEP_1) | instskip(SKIP_1) | instid1(VALU_DEP_2)
	v_lshlrev_b64 v[15:16], 2, v[10:11]
	v_add_nc_u32_e32 v11, s38, v2
	v_add_co_u32 v15, s0, s40, v15
	s_delay_alu instid0(VALU_DEP_1)
	v_add_co_ci_u32_e64 v16, s0, s41, v16, s0
	global_store_b32 v[15:16], v11, off
	s_and_b32 exec_lo, exec_lo, vcc_lo
	s_cbranch_execz .LBB77_98
; %bb.97:
	v_or_b32_e32 v11, v12, v13
	v_mad_u64_u32 v[15:16], null, v10, s7, v[9:10]
	s_delay_alu instid0(VALU_DEP_2) | instskip(NEXT) | instid1(VALU_DEP_2)
	v_lshlrev_b32_e32 v16, 4, v11
	v_mad_u64_u32 v[10:11], null, v15, s7, v[8:9]
	s_delay_alu instid0(VALU_DEP_2) | instskip(SKIP_2) | instid1(VALU_DEP_1)
	v_add3_u32 v11, v32, v16, 0x1800
	ds_load_2addr_b64 v[15:18], v11 offset1:1
	v_ashrrev_i32_e32 v11, 31, v10
	v_lshlrev_b64 v[10:11], 4, v[10:11]
	s_delay_alu instid0(VALU_DEP_1) | instskip(NEXT) | instid1(VALU_DEP_1)
	v_add_co_u32 v10, s0, s42, v10
	v_add_co_ci_u32_e64 v11, s0, s43, v11, s0
	s_waitcnt lgkmcnt(0)
	global_store_b128 v[10:11], v[15:18], off
.LBB77_98:
	s_or_b32 exec_lo, exec_lo, s1
	v_cmp_gt_i32_e64 s0, s6, v3
	s_delay_alu instid0(VALU_DEP_1)
	s_and_b32 exec_lo, exec_lo, s0
	s_cbranch_execz .LBB77_101
; %bb.99:
	v_cmp_gt_i32_e64 s0, v3, v4
	s_delay_alu instid0(VALU_DEP_1) | instskip(SKIP_1) | instid1(VALU_DEP_1)
	v_add_co_ci_u32_e64 v4, s0, 0, v14, s0
	v_cmp_gt_i32_e64 s0, v3, v5
	v_cndmask_b32_e64 v5, 0, 1, s0
	v_cmp_gt_i32_e64 s0, v3, v6
	s_delay_alu instid0(VALU_DEP_1) | instskip(SKIP_1) | instid1(VALU_DEP_1)
	v_add_co_ci_u32_e64 v4, s0, v4, v5, s0
	v_cmp_gt_i32_e64 s0, v3, v7
	v_cndmask_b32_e64 v5, 0, 1, s0
	;; [unrolled: 5-line block ×3, first 2 shown]
	v_cmp_gt_i32_e64 s0, v3, v2
	v_add_nc_u32_e32 v3, s38, v3
	s_delay_alu instid0(VALU_DEP_2) | instskip(NEXT) | instid1(VALU_DEP_1)
	v_add_co_ci_u32_e64 v0, s0, v0, v1, s0
	v_ashrrev_i32_e32 v1, 31, v0
	s_delay_alu instid0(VALU_DEP_1) | instskip(NEXT) | instid1(VALU_DEP_1)
	v_lshlrev_b64 v[1:2], 2, v[0:1]
	v_add_co_u32 v1, s0, s40, v1
	s_delay_alu instid0(VALU_DEP_1)
	v_add_co_ci_u32_e64 v2, s0, s41, v2, s0
	global_store_b32 v[1:2], v3, off
	s_and_b32 exec_lo, exec_lo, vcc_lo
	s_cbranch_execz .LBB77_101
; %bb.100:
	v_or_b32_e32 v3, v12, v13
	v_mad_u64_u32 v[1:2], null, v0, s7, v[9:10]
	s_delay_alu instid0(VALU_DEP_2) | instskip(NEXT) | instid1(VALU_DEP_2)
	v_lshlrev_b32_e32 v0, 4, v3
	v_mad_u64_u32 v[4:5], null, v1, s7, v[8:9]
	s_delay_alu instid0(VALU_DEP_2) | instskip(SKIP_2) | instid1(VALU_DEP_1)
	v_add3_u32 v0, v32, v0, 0x1c00
	ds_load_2addr_b64 v[0:3], v0 offset1:1
	v_ashrrev_i32_e32 v5, 31, v4
	v_lshlrev_b64 v[4:5], 4, v[4:5]
	s_delay_alu instid0(VALU_DEP_1) | instskip(NEXT) | instid1(VALU_DEP_2)
	v_add_co_u32 v4, vcc_lo, s42, v4
	v_add_co_ci_u32_e32 v5, vcc_lo, s43, v5, vcc_lo
	s_waitcnt lgkmcnt(0)
	global_store_b128 v[4:5], v[0:3], off
.LBB77_101:
	s_nop 0
	s_sendmsg sendmsg(MSG_DEALLOC_VGPRS)
	s_endpgm
	.section	.rodata,"a",@progbits
	.p2align	6, 0x0
	.amdhsa_kernel _ZN9rocsparseL23bsrgemm_fill_wf_per_rowILj256ELj64ELj8ELj137ELj8Eii21rocsparse_complex_numIdEEEv20rocsparse_direction_T5_S4_S4_PKS4_S6_NS_24const_host_device_scalarIT6_EEPKT4_S6_PKS8_SC_S6_SE_S9_SC_S6_SE_SC_PS4_PS8_21rocsparse_index_base_SH_SH_SH_bbb
		.amdhsa_group_segment_fixed_size 36992
		.amdhsa_private_segment_fixed_size 0
		.amdhsa_kernarg_size 180
		.amdhsa_user_sgpr_count 15
		.amdhsa_user_sgpr_dispatch_ptr 1
		.amdhsa_user_sgpr_queue_ptr 0
		.amdhsa_user_sgpr_kernarg_segment_ptr 1
		.amdhsa_user_sgpr_dispatch_id 0
		.amdhsa_user_sgpr_private_segment_size 0
		.amdhsa_wavefront_size32 1
		.amdhsa_uses_dynamic_stack 0
		.amdhsa_enable_private_segment 0
		.amdhsa_system_sgpr_workgroup_id_x 1
		.amdhsa_system_sgpr_workgroup_id_y 0
		.amdhsa_system_sgpr_workgroup_id_z 0
		.amdhsa_system_sgpr_workgroup_info 0
		.amdhsa_system_vgpr_workitem_id 2
		.amdhsa_next_free_vgpr 46
		.amdhsa_next_free_sgpr 50
		.amdhsa_reserve_vcc 1
		.amdhsa_float_round_mode_32 0
		.amdhsa_float_round_mode_16_64 0
		.amdhsa_float_denorm_mode_32 3
		.amdhsa_float_denorm_mode_16_64 3
		.amdhsa_dx10_clamp 1
		.amdhsa_ieee_mode 1
		.amdhsa_fp16_overflow 0
		.amdhsa_workgroup_processor_mode 1
		.amdhsa_memory_ordered 1
		.amdhsa_forward_progress 0
		.amdhsa_shared_vgpr_count 0
		.amdhsa_exception_fp_ieee_invalid_op 0
		.amdhsa_exception_fp_denorm_src 0
		.amdhsa_exception_fp_ieee_div_zero 0
		.amdhsa_exception_fp_ieee_overflow 0
		.amdhsa_exception_fp_ieee_underflow 0
		.amdhsa_exception_fp_ieee_inexact 0
		.amdhsa_exception_int_div_zero 0
	.end_amdhsa_kernel
	.section	.text._ZN9rocsparseL23bsrgemm_fill_wf_per_rowILj256ELj64ELj8ELj137ELj8Eii21rocsparse_complex_numIdEEEv20rocsparse_direction_T5_S4_S4_PKS4_S6_NS_24const_host_device_scalarIT6_EEPKT4_S6_PKS8_SC_S6_SE_S9_SC_S6_SE_SC_PS4_PS8_21rocsparse_index_base_SH_SH_SH_bbb,"axG",@progbits,_ZN9rocsparseL23bsrgemm_fill_wf_per_rowILj256ELj64ELj8ELj137ELj8Eii21rocsparse_complex_numIdEEEv20rocsparse_direction_T5_S4_S4_PKS4_S6_NS_24const_host_device_scalarIT6_EEPKT4_S6_PKS8_SC_S6_SE_S9_SC_S6_SE_SC_PS4_PS8_21rocsparse_index_base_SH_SH_SH_bbb,comdat
.Lfunc_end77:
	.size	_ZN9rocsparseL23bsrgemm_fill_wf_per_rowILj256ELj64ELj8ELj137ELj8Eii21rocsparse_complex_numIdEEEv20rocsparse_direction_T5_S4_S4_PKS4_S6_NS_24const_host_device_scalarIT6_EEPKT4_S6_PKS8_SC_S6_SE_S9_SC_S6_SE_SC_PS4_PS8_21rocsparse_index_base_SH_SH_SH_bbb, .Lfunc_end77-_ZN9rocsparseL23bsrgemm_fill_wf_per_rowILj256ELj64ELj8ELj137ELj8Eii21rocsparse_complex_numIdEEEv20rocsparse_direction_T5_S4_S4_PKS4_S6_NS_24const_host_device_scalarIT6_EEPKT4_S6_PKS8_SC_S6_SE_S9_SC_S6_SE_SC_PS4_PS8_21rocsparse_index_base_SH_SH_SH_bbb
                                        ; -- End function
	.section	.AMDGPU.csdata,"",@progbits
; Kernel info:
; codeLenInByte = 5588
; NumSgprs: 52
; NumVgprs: 46
; ScratchSize: 0
; MemoryBound: 0
; FloatMode: 240
; IeeeMode: 1
; LDSByteSize: 36992 bytes/workgroup (compile time only)
; SGPRBlocks: 6
; VGPRBlocks: 5
; NumSGPRsForWavesPerEU: 52
; NumVGPRsForWavesPerEU: 46
; Occupancy: 6
; WaveLimiterHint : 1
; COMPUTE_PGM_RSRC2:SCRATCH_EN: 0
; COMPUTE_PGM_RSRC2:USER_SGPR: 15
; COMPUTE_PGM_RSRC2:TRAP_HANDLER: 0
; COMPUTE_PGM_RSRC2:TGID_X_EN: 1
; COMPUTE_PGM_RSRC2:TGID_Y_EN: 0
; COMPUTE_PGM_RSRC2:TGID_Z_EN: 0
; COMPUTE_PGM_RSRC2:TIDIG_COMP_CNT: 2
	.section	.text._ZN9rocsparseL38bsrgemm_block_per_row_atomic_multipassILj256ELj16ELj8Eii21rocsparse_complex_numIdEEEv20rocsparse_direction_T3_S4_PKS4_S6_NS_24const_host_device_scalarIT4_EEPKT2_S6_PKS8_SC_S6_SE_S9_SC_S6_SE_SC_PS4_PS8_PSA_21rocsparse_index_base_SI_SI_SI_bbb,"axG",@progbits,_ZN9rocsparseL38bsrgemm_block_per_row_atomic_multipassILj256ELj16ELj8Eii21rocsparse_complex_numIdEEEv20rocsparse_direction_T3_S4_PKS4_S6_NS_24const_host_device_scalarIT4_EEPKT2_S6_PKS8_SC_S6_SE_S9_SC_S6_SE_SC_PS4_PS8_PSA_21rocsparse_index_base_SI_SI_SI_bbb,comdat
	.globl	_ZN9rocsparseL38bsrgemm_block_per_row_atomic_multipassILj256ELj16ELj8Eii21rocsparse_complex_numIdEEEv20rocsparse_direction_T3_S4_PKS4_S6_NS_24const_host_device_scalarIT4_EEPKT2_S6_PKS8_SC_S6_SE_S9_SC_S6_SE_SC_PS4_PS8_PSA_21rocsparse_index_base_SI_SI_SI_bbb ; -- Begin function _ZN9rocsparseL38bsrgemm_block_per_row_atomic_multipassILj256ELj16ELj8Eii21rocsparse_complex_numIdEEEv20rocsparse_direction_T3_S4_PKS4_S6_NS_24const_host_device_scalarIT4_EEPKT2_S6_PKS8_SC_S6_SE_S9_SC_S6_SE_SC_PS4_PS8_PSA_21rocsparse_index_base_SI_SI_SI_bbb
	.p2align	8
	.type	_ZN9rocsparseL38bsrgemm_block_per_row_atomic_multipassILj256ELj16ELj8Eii21rocsparse_complex_numIdEEEv20rocsparse_direction_T3_S4_PKS4_S6_NS_24const_host_device_scalarIT4_EEPKT2_S6_PKS8_SC_S6_SE_S9_SC_S6_SE_SC_PS4_PS8_PSA_21rocsparse_index_base_SI_SI_SI_bbb,@function
_ZN9rocsparseL38bsrgemm_block_per_row_atomic_multipassILj256ELj16ELj8Eii21rocsparse_complex_numIdEEEv20rocsparse_direction_T3_S4_PKS4_S6_NS_24const_host_device_scalarIT4_EEPKT2_S6_PKS8_SC_S6_SE_S9_SC_S6_SE_SC_PS4_PS8_PSA_21rocsparse_index_base_SI_SI_SI_bbb: ; @_ZN9rocsparseL38bsrgemm_block_per_row_atomic_multipassILj256ELj16ELj8Eii21rocsparse_complex_numIdEEEv20rocsparse_direction_T3_S4_PKS4_S6_NS_24const_host_device_scalarIT4_EEPKT2_S6_PKS8_SC_S6_SE_S9_SC_S6_SE_SC_PS4_PS8_PSA_21rocsparse_index_base_SI_SI_SI_bbb
; %bb.0:
	s_clause 0x3
	s_load_b32 s12, s[0:1], 0xb8
	s_load_b128 s[8:11], s[0:1], 0x20
	s_load_b128 s[4:7], s[0:1], 0x60
	;; [unrolled: 1-line block ×3, first 2 shown]
	v_mov_b32_e32 v10, 0
	v_mov_b32_e32 v11, 0
	s_mov_b32 s46, s15
	s_waitcnt lgkmcnt(0)
	s_bitcmp1_b32 s12, 0
	v_dual_mov_b32 v1, s8 :: v_dual_mov_b32 v2, s9
	s_cselect_b32 s50, -1, 0
	s_bitcmp1_b32 s12, 16
	v_dual_mov_b32 v8, v10 :: v_dual_mov_b32 v9, v11
	s_cselect_b32 s2, -1, 0
	v_dual_mov_b32 v13, v11 :: v_dual_mov_b32 v12, v10
	s_xor_b32 s3, s2, -1
	v_dual_mov_b32 v3, s4 :: v_dual_mov_b32 v4, s5
	v_cndmask_b32_e64 v5, 0, 1, s3
	s_bitcmp0_b32 s12, 0
	s_clause 0x1
	scratch_store_b64 off, v[1:2], off
	scratch_store_b64 off, v[3:4], off offset:8
	v_cmp_ne_u32_e32 vcc_lo, 1, v5
	s_cbranch_scc1 .LBB78_3
; %bb.1:
	s_mov_b64 s[14:15], src_private_base
	s_and_b32 s13, s2, exec_lo
	s_cselect_b32 s13, s15, s9
	s_delay_alu instid0(SALU_CYCLE_1) | instskip(SKIP_2) | instid1(VALU_DEP_2)
	v_dual_mov_b32 v1, 0 :: v_dual_mov_b32 v2, s13
	v_dual_mov_b32 v13, s11 :: v_dual_mov_b32 v12, s10
	s_and_b32 vcc_lo, exec_lo, vcc_lo
	v_cndmask_b32_e64 v1, s8, v1, s2
	flat_load_b64 v[8:9], v[1:2]
	s_cbranch_vccnz .LBB78_3
; %bb.2:
	v_dual_mov_b32 v1, s8 :: v_dual_mov_b32 v2, s9
	flat_load_b64 v[12:13], v[1:2] offset:8
.LBB78_3:
	s_load_b64 s[8:9], s[0:1], 0x18
	s_bitcmp1_b32 s12, 8
	v_dual_mov_b32 v15, v11 :: v_dual_mov_b32 v14, v10
	s_cselect_b32 s33, -1, 0
	s_bfe_u32 s10, s12, 0x10008
	s_delay_alu instid0(SALU_CYCLE_1)
	s_cmp_eq_u32 s10, 0
	s_cbranch_scc1 .LBB78_6
; %bb.4:
	s_mov_b64 s[10:11], src_private_base
	s_and_b32 s10, s2, exec_lo
	s_cselect_b32 s10, s11, s5
	s_delay_alu instid0(SALU_CYCLE_1) | instskip(SKIP_2) | instid1(VALU_DEP_2)
	v_dual_mov_b32 v1, 8 :: v_dual_mov_b32 v2, s10
	v_dual_mov_b32 v11, s7 :: v_dual_mov_b32 v10, s6
	s_and_not1_b32 vcc_lo, exec_lo, s3
	v_cndmask_b32_e64 v1, s4, v1, s2
	flat_load_b64 v[14:15], v[1:2]
	s_cbranch_vccnz .LBB78_6
; %bb.5:
	v_dual_mov_b32 v1, s4 :: v_dual_mov_b32 v2, s5
	flat_load_b64 v[10:11], v[1:2] offset:8
.LBB78_6:
	s_load_b64 s[2:3], s[0:1], 0x30
	s_waitcnt lgkmcnt(0)
	s_cmp_eq_u64 s[8:9], 0
	s_cbranch_scc1 .LBB78_8
; %bb.7:
	s_load_b64 s[4:5], s[0:1], 0x10
	s_waitcnt lgkmcnt(0)
	s_load_b32 s4, s[4:5], 0x0
	s_mov_b32 s5, 0
	s_waitcnt lgkmcnt(0)
	s_add_i32 s4, s4, s46
	s_delay_alu instid0(SALU_CYCLE_1) | instskip(NEXT) | instid1(SALU_CYCLE_1)
	s_lshl_b64 s[4:5], s[4:5], 2
	s_add_u32 s4, s8, s4
	s_addc_u32 s5, s9, s5
	s_load_b32 s46, s[4:5], 0x0
.LBB78_8:
	s_mov_b32 s48, 0
	s_and_not1_b32 vcc_lo, exec_lo, s50
	s_mov_b32 s49, 0
	s_cbranch_vccz .LBB78_11
; %bb.9:
	s_and_not1_b32 vcc_lo, exec_lo, s50
	s_cbranch_vccz .LBB78_12
.LBB78_10:
	s_load_b128 s[36:39], s[0:1], 0x0
	s_waitcnt lgkmcnt(0)
	s_cmp_lt_i32 s37, 1
	s_cbranch_scc0 .LBB78_13
	s_branch .LBB78_98
.LBB78_11:
	s_waitcnt lgkmcnt(0)
	s_ashr_i32 s47, s46, 31
	s_delay_alu instid0(SALU_CYCLE_1) | instskip(NEXT) | instid1(SALU_CYCLE_1)
	s_lshl_b64 s[4:5], s[46:47], 2
	s_add_u32 s4, s2, s4
	s_addc_u32 s5, s3, s5
	s_load_b32 s4, s[4:5], 0x0
	s_waitcnt lgkmcnt(0)
	s_sub_i32 s49, s4, s28
	s_and_not1_b32 vcc_lo, exec_lo, s50
	s_cbranch_vccnz .LBB78_10
.LBB78_12:
	s_waitcnt lgkmcnt(0)
	s_ashr_i32 s47, s46, 31
	s_delay_alu instid0(SALU_CYCLE_1) | instskip(NEXT) | instid1(SALU_CYCLE_1)
	s_lshl_b64 s[4:5], s[46:47], 2
	s_add_u32 s2, s2, s4
	s_addc_u32 s3, s3, s5
	s_load_b32 s2, s[2:3], 0x4
	s_waitcnt lgkmcnt(0)
	s_sub_i32 s48, s2, s28
	s_load_b128 s[36:39], s[0:1], 0x0
	s_waitcnt lgkmcnt(0)
	s_cmp_lt_i32 s37, 1
	s_cbranch_scc1 .LBB78_98
.LBB78_13:
	s_clause 0x4
	s_load_b256 s[12:19], s[0:1], 0x70
	s_load_b64 s[34:35], s[0:1], 0xa0
	s_load_b128 s[40:43], s[0:1], 0x90
	s_load_b64 s[44:45], s[0:1], 0x58
	s_load_b256 s[20:27], s[0:1], 0x38
	s_ashr_i32 s47, s46, 31
	v_and_b32_e32 v16, 7, v0
	s_lshl_b64 s[10:11], s[46:47], 2
	v_bfe_u32 v17, v0, 3, 3
	v_lshrrev_b32_e32 v29, 6, v0
	v_cmp_gt_u32_e64 s0, 16, v0
	v_cmp_eq_u32_e64 s1, 0, v0
	v_lshlrev_b32_e32 v30, 4, v0
	v_and_b32_e32 v31, 56, v0
	v_dual_mov_b32 v45, 1 :: v_dual_and_b32 v2, 15, v0
	v_lshl_or_b32 v32, v0, 2, 0x5000
	v_or_b32_e32 v33, 0xffffff00, v0
	v_subrev_nc_u32_e32 v35, s31, v29
	s_delay_alu instid0(VALU_DEP_4)
	v_cmp_lt_u32_e64 s4, 1, v2
	s_waitcnt lgkmcnt(0)
	s_add_u32 s2, s18, s10
	s_addc_u32 s3, s19, s11
	v_add_co_u32 v3, s18, v2, -1
	s_load_b32 s9, s[2:3], 0x0
	v_cmp_ne_u32_e64 s3, 0, v2
	v_cmp_lt_u32_e64 s5, 3, v2
	v_cmp_lt_u32_e64 s6, 7, v2
	v_lshl_add_u32 v37, v3, 2, 0x5000
	v_lshl_or_b32 v43, v29, 2, 0x5000
	v_mov_b32_e32 v48, 16
	s_waitcnt lgkmcnt(0)
	s_sub_i32 s9, s9, s30
	s_cmp_lt_i32 s49, s48
	v_mov_b32_e32 v44, s9
	s_cselect_b32 s39, -1, 0
	s_cmp_eq_u32 s36, 0
	s_cselect_b32 vcc_lo, -1, 0
	v_dual_cndmask_b32 v18, v16, v17 :: v_dual_and_b32 v1, 63, v0
	v_max_i32_e32 v0, v16, v17
	s_cmp_lg_u32 s36, 0
	s_delay_alu instid0(VALU_DEP_2) | instskip(SKIP_1) | instid1(VALU_DEP_3)
	v_cmp_eq_u32_e64 s2, 63, v1
	v_lshlrev_b32_e32 v1, 2, v2
	v_cmp_gt_i32_e64 s7, s38, v0
	v_cmp_le_i32_e64 s8, s38, v0
	v_mov_b32_e32 v0, 0
	v_lshlrev_b32_e32 v4, 4, v17
	v_or_b32_e32 v36, 0x5000, v1
	v_add_nc_u32_e32 v38, 0x4ff8, v1
	v_add_nc_u32_e32 v39, 0x4ff0, v1
	v_dual_mov_b32 v1, v0 :: v_dual_add_nc_u32 v40, 0x4fe0, v1
	v_dual_cndmask_b32 v19, v17, v16 :: v_dual_lshlrev_b32 v2, 10, v29
	s_cselect_b32 s19, -1, 0
	s_cmp_gt_i32 s38, 0
	v_mov_b32_e32 v3, v0
	s_cselect_b32 s36, -1, 0
	s_add_u32 s12, s12, s10
	s_movk_i32 s10, 0xf80
	v_or_b32_e32 v34, 0x4000, v30
	v_and_or_b32 v42, v30, s10, 0x4000
	v_cndmask_b32_e64 v46, 0, 1, s36
	v_mov_b32_e32 v47, v0
	v_or3_b32 v41, v2, v4, 0x4000
	v_mov_b32_e32 v2, v0
	s_addc_u32 s13, s13, s11
	s_and_b32 s39, s50, s39
	s_add_u32 s46, s24, 4
	s_addc_u32 s47, s25, 0
	s_mul_i32 s50, s38, s38
	s_branch .LBB78_15
.LBB78_14:                              ;   in Loop: Header=BB78_15 Depth=1
	s_set_inst_prefetch_distance 0x2
	s_or_b32 exec_lo, exec_lo, s9
	s_waitcnt_vscnt null, 0x0
	s_barrier
	buffer_gl0_inv
	ds_load_b32 v47, v0 offset:20544
	v_add_nc_u32_e32 v44, v6, v44
	s_waitcnt lgkmcnt(0)
	s_barrier
	buffer_gl0_inv
	v_cmp_le_i32_e32 vcc_lo, s37, v47
	v_add_nc_u32_e32 v48, 16, v47
	s_cbranch_vccnz .LBB78_98
.LBB78_15:                              ; =>This Loop Header: Depth=1
                                        ;     Child Loop BB78_18 Depth 2
                                        ;     Child Loop BB78_24 Depth 2
                                        ;       Child Loop BB78_37 Depth 3
                                        ;         Child Loop BB78_46 Depth 4
                                        ;         Child Loop BB78_51 Depth 4
	;; [unrolled: 1-line block ×4, first 2 shown]
                                        ;     Child Loop BB78_66 Depth 2
                                        ;       Child Loop BB78_71 Depth 3
                                        ;       Child Loop BB78_73 Depth 3
                                        ;     Child Loop BB78_78 Depth 2
                                        ;     Child Loop BB78_95 Depth 2
	s_and_saveexec_b32 s9, s0
	s_cbranch_execz .LBB78_17
; %bb.16:                               ;   in Loop: Header=BB78_15 Depth=1
	ds_store_b32 v32, v0
.LBB78_17:                              ;   in Loop: Header=BB78_15 Depth=1
	s_or_b32 exec_lo, exec_lo, s9
	v_dual_mov_b32 v4, v30 :: v_dual_mov_b32 v5, v33
	s_mov_b32 s9, 0
.LBB78_18:                              ;   Parent Loop BB78_15 Depth=1
                                        ; =>  This Inner Loop Header: Depth=2
	s_delay_alu instid0(VALU_DEP_1) | instskip(SKIP_4) | instid1(SALU_CYCLE_1)
	v_add_nc_u32_e32 v5, 0x100, v5
	ds_store_b128 v4, v[0:3]
	v_add_nc_u32_e32 v4, 0x1000, v4
	v_cmp_lt_u32_e32 vcc_lo, 0x2ff, v5
	s_or_b32 s9, vcc_lo, s9
	s_and_not1_b32 exec_lo, exec_lo, s9
	s_cbranch_execnz .LBB78_18
; %bb.19:                               ;   in Loop: Header=BB78_15 Depth=1
	s_or_b32 exec_lo, exec_lo, s9
	s_and_saveexec_b32 s9, s1
	s_cbranch_execz .LBB78_21
; %bb.20:                               ;   in Loop: Header=BB78_15 Depth=1
	v_mov_b32_e32 v4, s37
	ds_store_b32 v0, v4 offset:20544
.LBB78_21:                              ;   in Loop: Header=BB78_15 Depth=1
	s_or_b32 exec_lo, exec_lo, s9
	v_mov_b32_e32 v49, s37
	s_and_not1_b32 vcc_lo, exec_lo, s39
	s_waitcnt vmcnt(0) lgkmcnt(0)
	s_waitcnt_vscnt null, 0x0
	s_barrier
	buffer_gl0_inv
	s_cbranch_vccnz .LBB78_61
; %bb.22:                               ;   in Loop: Header=BB78_15 Depth=1
	v_cmp_ne_u32_e64 s9, 0, v47
	v_mov_b32_e32 v49, s37
	s_mov_b32 s51, s49
	s_branch .LBB78_24
.LBB78_23:                              ;   in Loop: Header=BB78_24 Depth=2
	s_or_b32 exec_lo, exec_lo, s11
	s_add_i32 s51, s51, 4
	s_delay_alu instid0(SALU_CYCLE_1)
	s_cmp_lt_i32 s51, s48
	s_cbranch_scc0 .LBB78_61
.LBB78_24:                              ;   Parent Loop BB78_15 Depth=1
                                        ; =>  This Loop Header: Depth=2
                                        ;       Child Loop BB78_37 Depth 3
                                        ;         Child Loop BB78_46 Depth 4
                                        ;         Child Loop BB78_51 Depth 4
	;; [unrolled: 1-line block ×4, first 2 shown]
	v_add_nc_u32_e32 v4, s51, v29
	s_waitcnt_vscnt null, 0x0
	s_barrier
	buffer_gl0_inv
	v_cmp_gt_i32_e64 s10, s48, v4
	s_delay_alu instid0(VALU_DEP_1)
	s_and_saveexec_b32 s11, s10
	s_cbranch_execz .LBB78_29
; %bb.25:                               ;   in Loop: Header=BB78_24 Depth=2
	s_and_saveexec_b32 s52, s8
	s_delay_alu instid0(SALU_CYCLE_1)
	s_xor_b32 s52, exec_lo, s52
	s_cbranch_execz .LBB78_27
; %bb.26:                               ;   in Loop: Header=BB78_24 Depth=2
	ds_store_b128 v34, v[0:3]
.LBB78_27:                              ;   in Loop: Header=BB78_24 Depth=2
	s_and_not1_saveexec_b32 s52, s52
	s_cbranch_execz .LBB78_29
; %bb.28:                               ;   in Loop: Header=BB78_24 Depth=2
	v_mad_u64_u32 v[5:6], null, v4, s38, v[17:18]
	s_delay_alu instid0(VALU_DEP_1) | instskip(NEXT) | instid1(VALU_DEP_1)
	v_mad_u64_u32 v[6:7], null, v5, s38, v[16:17]
	v_ashrrev_i32_e32 v7, 31, v6
	s_delay_alu instid0(VALU_DEP_1) | instskip(NEXT) | instid1(VALU_DEP_1)
	v_lshlrev_b64 v[5:6], 4, v[6:7]
	v_add_co_u32 v5, vcc_lo, s22, v5
	s_delay_alu instid0(VALU_DEP_2)
	v_add_co_ci_u32_e32 v6, vcc_lo, s23, v6, vcc_lo
	global_load_b128 v[20:23], v[5:6], off
	s_waitcnt vmcnt(0)
	ds_store_2addr_b64 v34, v[20:21], v[22:23] offset1:1
.LBB78_29:                              ;   in Loop: Header=BB78_24 Depth=2
	s_or_b32 exec_lo, exec_lo, s11
	v_mov_b32_e32 v50, 0
	v_ashrrev_i32_e32 v5, 31, v4
	s_waitcnt lgkmcnt(0)
	s_barrier
	buffer_gl0_inv
	s_and_saveexec_b32 s52, s10
	s_cbranch_execz .LBB78_58
; %bb.30:                               ;   in Loop: Header=BB78_24 Depth=2
	v_lshlrev_b64 v[20:21], 2, v[4:5]
	s_delay_alu instid0(VALU_DEP_1) | instskip(NEXT) | instid1(VALU_DEP_2)
	v_add_co_u32 v6, vcc_lo, s20, v20
	v_add_co_ci_u32_e32 v7, vcc_lo, s21, v21, vcc_lo
	s_and_b32 vcc_lo, exec_lo, s9
	global_load_b32 v6, v[6:7], off
	s_waitcnt vmcnt(0)
	v_subrev_nc_u32_e32 v6, s28, v6
	s_delay_alu instid0(VALU_DEP_1)
	v_ashrrev_i32_e32 v7, 31, v6
	s_cbranch_vccz .LBB78_60
; %bb.31:                               ;   in Loop: Header=BB78_24 Depth=2
	v_add_co_u32 v20, vcc_lo, s34, v20
	v_add_co_ci_u32_e32 v21, vcc_lo, s35, v21, vcc_lo
	global_load_b32 v50, v[20:21], off
	s_cbranch_execnz .LBB78_33
.LBB78_32:                              ;   in Loop: Header=BB78_24 Depth=2
	s_delay_alu instid0(VALU_DEP_1) | instskip(NEXT) | instid1(VALU_DEP_1)
	v_lshlrev_b64 v[20:21], 2, v[6:7]
	v_add_co_u32 v20, vcc_lo, s24, v20
	s_delay_alu instid0(VALU_DEP_2)
	v_add_co_ci_u32_e32 v21, vcc_lo, s25, v21, vcc_lo
	global_load_b32 v20, v[20:21], off
	s_waitcnt vmcnt(0)
	v_subrev_nc_u32_e32 v50, s29, v20
.LBB78_33:                              ;   in Loop: Header=BB78_24 Depth=2
	v_lshlrev_b64 v[6:7], 2, v[6:7]
	s_mov_b32 s53, exec_lo
	s_delay_alu instid0(VALU_DEP_1) | instskip(NEXT) | instid1(VALU_DEP_2)
	v_add_co_u32 v6, vcc_lo, s46, v6
	v_add_co_ci_u32_e32 v7, vcc_lo, s47, v7, vcc_lo
	global_load_b32 v6, v[6:7], off
	s_waitcnt vmcnt(0)
	v_subrev_nc_u32_e32 v51, s29, v6
	s_delay_alu instid0(VALU_DEP_1)
	v_cmpx_lt_i32_e64 v50, v51
	s_cbranch_execz .LBB78_57
; %bb.34:                               ;   in Loop: Header=BB78_24 Depth=2
	v_mad_u64_u32 v[6:7], null, s38, v50, v[16:17]
	v_mov_b32_e32 v20, v50
	s_mov_b32 s54, 0
	s_delay_alu instid0(VALU_DEP_2)
	v_mul_lo_u32 v52, s38, v6
	v_mad_u64_u32 v[6:7], null, s50, v50, v[16:17]
	s_branch .LBB78_37
.LBB78_35:                              ;   in Loop: Header=BB78_37 Depth=3
	s_or_b32 exec_lo, exec_lo, s57
	s_delay_alu instid0(SALU_CYCLE_1)
	s_or_b32 s55, s55, exec_lo
.LBB78_36:                              ;   in Loop: Header=BB78_37 Depth=3
	s_or_b32 exec_lo, exec_lo, s56
	v_add_nc_u32_e32 v20, 1, v20
	s_xor_b32 s11, s55, -1
	v_add_nc_u32_e32 v52, s50, v52
	v_add_nc_u32_e32 v6, s50, v6
	s_delay_alu instid0(VALU_DEP_3) | instskip(SKIP_1) | instid1(SALU_CYCLE_1)
	v_cmp_ge_i32_e32 vcc_lo, v20, v51
	s_or_b32 s11, s11, vcc_lo
	s_and_b32 s11, exec_lo, s11
	s_delay_alu instid0(SALU_CYCLE_1) | instskip(NEXT) | instid1(SALU_CYCLE_1)
	s_or_b32 s54, s11, s54
	s_and_not1_b32 exec_lo, exec_lo, s54
	s_cbranch_execz .LBB78_56
.LBB78_37:                              ;   Parent Loop BB78_15 Depth=1
                                        ;     Parent Loop BB78_24 Depth=2
                                        ; =>    This Loop Header: Depth=3
                                        ;         Child Loop BB78_46 Depth 4
                                        ;         Child Loop BB78_51 Depth 4
	;; [unrolled: 1-line block ×4, first 2 shown]
	v_ashrrev_i32_e32 v21, 31, v20
                                        ; implicit-def: $sgpr55
	s_delay_alu instid0(VALU_DEP_1) | instskip(NEXT) | instid1(VALU_DEP_1)
	v_lshlrev_b64 v[21:22], 2, v[20:21]
	v_add_co_u32 v21, vcc_lo, s26, v21
	s_delay_alu instid0(VALU_DEP_2) | instskip(SKIP_3) | instid1(VALU_DEP_1)
	v_add_co_ci_u32_e32 v22, vcc_lo, s27, v22, vcc_lo
	global_load_b32 v7, v[21:22], off
	s_waitcnt vmcnt(0)
	v_subrev_nc_u32_e32 v7, s29, v7
	v_cmp_lt_i32_e64 s11, v7, v47
	v_cmp_ge_i32_e32 vcc_lo, v7, v48
	s_delay_alu instid0(VALU_DEP_2) | instskip(NEXT) | instid1(SALU_CYCLE_1)
	s_or_b32 s11, s11, vcc_lo
	s_and_saveexec_b32 s56, s11
	s_delay_alu instid0(SALU_CYCLE_1)
	s_xor_b32 s11, exec_lo, s56
	s_cbranch_execz .LBB78_41
; %bb.38:                               ;   in Loop: Header=BB78_37 Depth=3
	s_mov_b32 s55, -1
	s_and_saveexec_b32 s56, vcc_lo
; %bb.39:                               ;   in Loop: Header=BB78_37 Depth=3
	v_min_i32_e32 v49, v7, v49
	v_mov_b32_e32 v50, v20
	s_xor_b32 s55, exec_lo, -1
; %bb.40:                               ;   in Loop: Header=BB78_37 Depth=3
	s_or_b32 exec_lo, exec_lo, s56
	s_delay_alu instid0(SALU_CYCLE_1)
	s_and_b32 s55, s55, exec_lo
                                        ; implicit-def: $vgpr7
.LBB78_41:                              ;   in Loop: Header=BB78_37 Depth=3
	s_and_not1_saveexec_b32 s56, s11
	s_cbranch_execz .LBB78_36
; %bb.42:                               ;   in Loop: Header=BB78_37 Depth=3
	v_sub_nc_u32_e32 v7, v7, v47
	s_delay_alu instid0(VALU_DEP_1)
	v_lshlrev_b32_e32 v21, 2, v7
	ds_store_b32 v21, v45 offset:20480
	s_and_saveexec_b32 s57, s7
	s_cbranch_execz .LBB78_35
; %bb.43:                               ;   in Loop: Header=BB78_37 Depth=3
	v_cmp_ne_u32_e64 s11, 1, v46
	s_and_not1_b32 vcc_lo, exec_lo, s19
	s_cbranch_vccnz .LBB78_48
; %bb.44:                               ;   in Loop: Header=BB78_37 Depth=3
	v_mov_b32_e32 v21, 0
	v_mov_b32_e32 v22, 0
	s_and_b32 vcc_lo, exec_lo, s11
	s_delay_alu instid0(VALU_DEP_1)
	v_dual_mov_b32 v24, v22 :: v_dual_mov_b32 v23, v21
	s_cbranch_vccnz .LBB78_47
; %bb.45:                               ;   in Loop: Header=BB78_37 Depth=3
	v_mov_b32_e32 v21, 0
	v_dual_mov_b32 v22, 0 :: v_dual_mov_b32 v25, v52
	v_mov_b32_e32 v27, v41
	s_mov_b32 s11, s38
	s_delay_alu instid0(VALU_DEP_2)
	v_dual_mov_b32 v24, v22 :: v_dual_mov_b32 v23, v21
	.p2align	6
.LBB78_46:                              ;   Parent Loop BB78_15 Depth=1
                                        ;     Parent Loop BB78_24 Depth=2
                                        ;       Parent Loop BB78_37 Depth=3
                                        ; =>      This Inner Loop Header: Depth=4
	s_delay_alu instid0(VALU_DEP_3) | instskip(SKIP_3) | instid1(SALU_CYCLE_1)
	v_ashrrev_i32_e32 v26, 31, v25
	ds_load_b128 v[57:60], v27
	v_add_nc_u32_e32 v27, 0x80, v27
	s_add_i32 s11, s11, -1
	s_cmp_lg_u32 s11, 0
	v_lshlrev_b64 v[53:54], 4, v[25:26]
	v_add_nc_u32_e32 v25, 1, v25
	s_delay_alu instid0(VALU_DEP_2) | instskip(NEXT) | instid1(VALU_DEP_3)
	v_add_co_u32 v53, vcc_lo, s44, v53
	v_add_co_ci_u32_e32 v54, vcc_lo, s45, v54, vcc_lo
	global_load_b128 v[53:56], v[53:54], off
	s_waitcnt vmcnt(0) lgkmcnt(0)
	v_fma_f64 v[21:22], v[57:58], v[53:54], v[21:22]
	v_fma_f64 v[23:24], v[59:60], v[53:54], v[23:24]
	s_delay_alu instid0(VALU_DEP_2) | instskip(NEXT) | instid1(VALU_DEP_2)
	v_fma_f64 v[21:22], -v[59:60], v[55:56], v[21:22]
	v_fma_f64 v[23:24], v[57:58], v[55:56], v[23:24]
	s_cbranch_scc1 .LBB78_46
.LBB78_47:                              ;   in Loop: Header=BB78_37 Depth=3
	s_cbranch_execz .LBB78_49
	s_branch .LBB78_52
.LBB78_48:                              ;   in Loop: Header=BB78_37 Depth=3
                                        ; implicit-def: $vgpr21_vgpr22
                                        ; implicit-def: $vgpr23_vgpr24
.LBB78_49:                              ;   in Loop: Header=BB78_37 Depth=3
	v_mov_b32_e32 v21, 0
	v_mov_b32_e32 v22, 0
	s_and_not1_b32 vcc_lo, exec_lo, s36
	s_delay_alu instid0(VALU_DEP_1)
	v_dual_mov_b32 v24, v22 :: v_dual_mov_b32 v23, v21
	s_cbranch_vccnz .LBB78_52
; %bb.50:                               ;   in Loop: Header=BB78_37 Depth=3
	v_mov_b32_e32 v21, 0
	v_dual_mov_b32 v22, 0 :: v_dual_mov_b32 v27, v42
	v_mov_b32_e32 v25, v6
	s_mov_b32 s11, s38
	s_delay_alu instid0(VALU_DEP_2)
	v_dual_mov_b32 v24, v22 :: v_dual_mov_b32 v23, v21
	.p2align	6
.LBB78_51:                              ;   Parent Loop BB78_15 Depth=1
                                        ;     Parent Loop BB78_24 Depth=2
                                        ;       Parent Loop BB78_37 Depth=3
                                        ; =>      This Inner Loop Header: Depth=4
	s_delay_alu instid0(VALU_DEP_2) | instskip(SKIP_3) | instid1(SALU_CYCLE_1)
	v_ashrrev_i32_e32 v26, 31, v25
	ds_load_b128 v[57:60], v27
	v_add_nc_u32_e32 v27, 16, v27
	s_add_i32 s11, s11, -1
	s_cmp_eq_u32 s11, 0
	v_lshlrev_b64 v[53:54], 4, v[25:26]
	v_add_nc_u32_e32 v25, s38, v25
	s_delay_alu instid0(VALU_DEP_2) | instskip(NEXT) | instid1(VALU_DEP_3)
	v_add_co_u32 v53, vcc_lo, s44, v53
	v_add_co_ci_u32_e32 v54, vcc_lo, s45, v54, vcc_lo
	global_load_b128 v[53:56], v[53:54], off
	s_waitcnt vmcnt(0) lgkmcnt(0)
	v_fma_f64 v[21:22], v[57:58], v[53:54], v[21:22]
	v_fma_f64 v[23:24], v[59:60], v[53:54], v[23:24]
	s_delay_alu instid0(VALU_DEP_2) | instskip(NEXT) | instid1(VALU_DEP_2)
	v_fma_f64 v[21:22], -v[59:60], v[55:56], v[21:22]
	v_fma_f64 v[23:24], v[57:58], v[55:56], v[23:24]
	s_cbranch_scc0 .LBB78_51
.LBB78_52:                              ;   in Loop: Header=BB78_37 Depth=3
	s_delay_alu instid0(VALU_DEP_1) | instskip(SKIP_2) | instid1(VALU_DEP_1)
	v_mul_f64 v[25:26], v[23:24], -v[12:13]
	v_lshlrev_b32_e32 v7, 6, v7
	s_mov_b32 s11, 0
	v_or3_b32 v7, v7, v31, v16
	s_delay_alu instid0(VALU_DEP_1)
	v_lshlrev_b32_e32 v7, 4, v7
	ds_load_b64 v[27:28], v7
	v_fma_f64 v[25:26], v[8:9], v[21:22], v[25:26]
.LBB78_53:                              ;   Parent Loop BB78_15 Depth=1
                                        ;     Parent Loop BB78_24 Depth=2
                                        ;       Parent Loop BB78_37 Depth=3
                                        ; =>      This Inner Loop Header: Depth=4
	s_waitcnt lgkmcnt(0)
	s_delay_alu instid0(VALU_DEP_1)
	v_add_f64 v[53:54], v[27:28], v[25:26]
	ds_cmpstore_rtn_b64 v[53:54], v7, v[53:54], v[27:28]
	s_waitcnt lgkmcnt(0)
	v_cmp_eq_u64_e32 vcc_lo, v[53:54], v[27:28]
	v_dual_mov_b32 v27, v53 :: v_dual_mov_b32 v28, v54
	s_or_b32 s11, vcc_lo, s11
	s_delay_alu instid0(SALU_CYCLE_1)
	s_and_not1_b32 exec_lo, exec_lo, s11
	s_cbranch_execnz .LBB78_53
; %bb.54:                               ;   in Loop: Header=BB78_37 Depth=3
	s_or_b32 exec_lo, exec_lo, s11
	v_mul_f64 v[23:24], v[8:9], v[23:24]
	s_mov_b32 s11, 0
	s_delay_alu instid0(VALU_DEP_1)
	v_fma_f64 v[21:22], v[12:13], v[21:22], v[23:24]
	ds_load_b64 v[23:24], v7 offset:8
.LBB78_55:                              ;   Parent Loop BB78_15 Depth=1
                                        ;     Parent Loop BB78_24 Depth=2
                                        ;       Parent Loop BB78_37 Depth=3
                                        ; =>      This Inner Loop Header: Depth=4
	s_waitcnt lgkmcnt(0)
	v_add_f64 v[25:26], v[23:24], v[21:22]
	ds_cmpstore_rtn_b64 v[25:26], v7, v[25:26], v[23:24] offset:8
	s_waitcnt lgkmcnt(0)
	v_cmp_eq_u64_e32 vcc_lo, v[25:26], v[23:24]
	v_dual_mov_b32 v23, v25 :: v_dual_mov_b32 v24, v26
	s_or_b32 s11, vcc_lo, s11
	s_delay_alu instid0(SALU_CYCLE_1)
	s_and_not1_b32 exec_lo, exec_lo, s11
	s_cbranch_execnz .LBB78_55
	s_branch .LBB78_35
.LBB78_56:                              ;   in Loop: Header=BB78_24 Depth=2
	s_or_b32 exec_lo, exec_lo, s54
.LBB78_57:                              ;   in Loop: Header=BB78_24 Depth=2
	s_delay_alu instid0(SALU_CYCLE_1)
	s_or_b32 exec_lo, exec_lo, s53
.LBB78_58:                              ;   in Loop: Header=BB78_24 Depth=2
	s_delay_alu instid0(SALU_CYCLE_1)
	s_or_b32 exec_lo, exec_lo, s52
	s_waitcnt lgkmcnt(0)
	s_barrier
	buffer_gl0_inv
	s_and_saveexec_b32 s11, s10
	s_cbranch_execz .LBB78_23
; %bb.59:                               ;   in Loop: Header=BB78_24 Depth=2
	v_lshlrev_b64 v[4:5], 2, v[4:5]
	s_delay_alu instid0(VALU_DEP_1) | instskip(NEXT) | instid1(VALU_DEP_2)
	v_add_co_u32 v4, vcc_lo, s34, v4
	v_add_co_ci_u32_e32 v5, vcc_lo, s35, v5, vcc_lo
	global_store_b32 v[4:5], v50, off
	s_branch .LBB78_23
.LBB78_60:                              ;   in Loop: Header=BB78_24 Depth=2
                                        ; implicit-def: $vgpr50
	s_branch .LBB78_32
.LBB78_61:                              ;   in Loop: Header=BB78_15 Depth=1
	s_and_not1_b32 vcc_lo, exec_lo, s33
	s_cbranch_vccnz .LBB78_76
; %bb.62:                               ;   in Loop: Header=BB78_15 Depth=1
	s_load_b64 s[10:11], s[12:13], 0x0
	s_waitcnt lgkmcnt(0)
	v_add_nc_u32_e32 v20, s10, v35
	s_sub_i32 s51, s11, s31
	s_mov_b32 s11, exec_lo
	s_delay_alu instid0(VALU_DEP_1)
	v_cmpx_gt_i32_e64 s51, v20
	s_cbranch_execz .LBB78_75
; %bb.63:                               ;   in Loop: Header=BB78_15 Depth=1
	s_mov_b32 s52, 0
	s_branch .LBB78_66
.LBB78_64:                              ;   in Loop: Header=BB78_66 Depth=2
	s_or_b32 exec_lo, exec_lo, s53
	s_delay_alu instid0(SALU_CYCLE_1)
	s_or_b32 s9, s9, exec_lo
.LBB78_65:                              ;   in Loop: Header=BB78_66 Depth=2
	s_or_b32 exec_lo, exec_lo, s10
	v_add_nc_u32_e32 v20, 4, v20
	s_xor_b32 s9, s9, -1
	s_delay_alu instid0(VALU_DEP_1) | instskip(SKIP_1) | instid1(SALU_CYCLE_1)
	v_cmp_le_i32_e32 vcc_lo, s51, v20
	s_or_b32 s9, vcc_lo, s9
	s_and_b32 s9, exec_lo, s9
	s_delay_alu instid0(SALU_CYCLE_1) | instskip(NEXT) | instid1(SALU_CYCLE_1)
	s_or_b32 s52, s9, s52
	s_and_not1_b32 exec_lo, exec_lo, s52
	s_cbranch_execz .LBB78_74
.LBB78_66:                              ;   Parent Loop BB78_15 Depth=1
                                        ; =>  This Loop Header: Depth=2
                                        ;       Child Loop BB78_71 Depth 3
                                        ;       Child Loop BB78_73 Depth 3
	v_ashrrev_i32_e32 v21, 31, v20
	s_delay_alu instid0(VALU_DEP_1) | instskip(NEXT) | instid1(VALU_DEP_1)
	v_lshlrev_b64 v[4:5], 2, v[20:21]
	v_add_co_u32 v4, vcc_lo, s14, v4
	s_delay_alu instid0(VALU_DEP_2) | instskip(SKIP_3) | instid1(VALU_DEP_1)
	v_add_co_ci_u32_e32 v5, vcc_lo, s15, v5, vcc_lo
	global_load_b32 v4, v[4:5], off
	s_waitcnt vmcnt(0)
	v_subrev_nc_u32_e32 v4, s31, v4
	v_cmp_lt_i32_e64 s9, v4, v47
	v_cmp_ge_i32_e64 s10, v4, v48
	v_cmp_lt_i32_e32 vcc_lo, v4, v48
	s_delay_alu instid0(VALU_DEP_2) | instskip(NEXT) | instid1(SALU_CYCLE_1)
	s_or_b32 s10, s9, s10
                                        ; implicit-def: $sgpr9
	s_and_saveexec_b32 s53, s10
	s_delay_alu instid0(SALU_CYCLE_1)
	s_xor_b32 s10, exec_lo, s53
; %bb.67:                               ;   in Loop: Header=BB78_66 Depth=2
	v_min_i32_e32 v4, v4, v49
	s_and_b32 s9, vcc_lo, exec_lo
	s_delay_alu instid0(VALU_DEP_1)
	v_cndmask_b32_e32 v49, v4, v49, vcc_lo
                                        ; implicit-def: $vgpr4
; %bb.68:                               ;   in Loop: Header=BB78_66 Depth=2
	s_and_not1_saveexec_b32 s10, s10
	s_cbranch_execz .LBB78_65
; %bb.69:                               ;   in Loop: Header=BB78_66 Depth=2
	v_sub_nc_u32_e32 v23, v4, v47
	s_delay_alu instid0(VALU_DEP_1)
	v_lshlrev_b32_e32 v4, 2, v23
	ds_store_b32 v4, v45 offset:20480
	s_and_saveexec_b32 s53, s7
	s_cbranch_execz .LBB78_64
; %bb.70:                               ;   in Loop: Header=BB78_66 Depth=2
	v_mad_u64_u32 v[4:5], null, v20, s38, v[18:19]
	v_lshlrev_b32_e32 v23, 6, v23
	s_mov_b32 s54, 0
	s_delay_alu instid0(VALU_DEP_1) | instskip(NEXT) | instid1(VALU_DEP_3)
	v_or3_b32 v23, v23, v31, v16
	v_mad_u64_u32 v[5:6], null, v4, s38, v[19:20]
	s_delay_alu instid0(VALU_DEP_2) | instskip(NEXT) | instid1(VALU_DEP_2)
	v_lshlrev_b32_e32 v25, 4, v23
	v_ashrrev_i32_e32 v6, 31, v5
	ds_load_b64 v[23:24], v25
	v_lshlrev_b64 v[4:5], 4, v[5:6]
	s_delay_alu instid0(VALU_DEP_1) | instskip(NEXT) | instid1(VALU_DEP_2)
	v_add_co_u32 v4, vcc_lo, s16, v4
	v_add_co_ci_u32_e32 v5, vcc_lo, s17, v5, vcc_lo
	global_load_b128 v[4:7], v[4:5], off
	s_waitcnt vmcnt(0)
	v_mul_f64 v[21:22], v[6:7], -v[10:11]
	s_delay_alu instid0(VALU_DEP_1)
	v_fma_f64 v[21:22], v[14:15], v[4:5], v[21:22]
.LBB78_71:                              ;   Parent Loop BB78_15 Depth=1
                                        ;     Parent Loop BB78_66 Depth=2
                                        ; =>    This Inner Loop Header: Depth=3
	s_waitcnt lgkmcnt(0)
	s_delay_alu instid0(VALU_DEP_1)
	v_add_f64 v[26:27], v[23:24], v[21:22]
	ds_cmpstore_rtn_b64 v[26:27], v25, v[26:27], v[23:24]
	s_waitcnt lgkmcnt(0)
	v_cmp_eq_u64_e32 vcc_lo, v[26:27], v[23:24]
	v_dual_mov_b32 v23, v26 :: v_dual_mov_b32 v24, v27
	s_or_b32 s54, vcc_lo, s54
	s_delay_alu instid0(SALU_CYCLE_1)
	s_and_not1_b32 exec_lo, exec_lo, s54
	s_cbranch_execnz .LBB78_71
; %bb.72:                               ;   in Loop: Header=BB78_66 Depth=2
	s_or_b32 exec_lo, exec_lo, s54
	v_mul_f64 v[6:7], v[14:15], v[6:7]
	s_mov_b32 s54, 0
	s_delay_alu instid0(VALU_DEP_1)
	v_fma_f64 v[4:5], v[10:11], v[4:5], v[6:7]
	ds_load_b64 v[6:7], v25 offset:8
.LBB78_73:                              ;   Parent Loop BB78_15 Depth=1
                                        ;     Parent Loop BB78_66 Depth=2
                                        ; =>    This Inner Loop Header: Depth=3
	s_waitcnt lgkmcnt(0)
	v_add_f64 v[21:22], v[6:7], v[4:5]
	ds_cmpstore_rtn_b64 v[21:22], v25, v[21:22], v[6:7] offset:8
	s_waitcnt lgkmcnt(0)
	v_cmp_eq_u64_e32 vcc_lo, v[21:22], v[6:7]
	v_dual_mov_b32 v6, v21 :: v_dual_mov_b32 v7, v22
	s_or_b32 s54, vcc_lo, s54
	s_delay_alu instid0(SALU_CYCLE_1)
	s_and_not1_b32 exec_lo, exec_lo, s54
	s_cbranch_execnz .LBB78_73
	s_branch .LBB78_64
.LBB78_74:                              ;   in Loop: Header=BB78_15 Depth=1
	s_or_b32 exec_lo, exec_lo, s52
.LBB78_75:                              ;   in Loop: Header=BB78_15 Depth=1
	s_delay_alu instid0(SALU_CYCLE_1)
	s_or_b32 exec_lo, exec_lo, s11
.LBB78_76:                              ;   in Loop: Header=BB78_15 Depth=1
	s_and_saveexec_b32 s9, s2
	s_cbranch_execz .LBB78_81
; %bb.77:                               ;   in Loop: Header=BB78_15 Depth=1
	s_mov_b32 s11, exec_lo
	s_brev_b32 s10, -2
.LBB78_78:                              ;   Parent Loop BB78_15 Depth=1
                                        ; =>  This Inner Loop Header: Depth=2
	s_ctz_i32_b32 s51, s11
	s_delay_alu instid0(SALU_CYCLE_1) | instskip(SKIP_1) | instid1(SALU_CYCLE_1)
	v_readlane_b32 s52, v49, s51
	s_lshl_b32 s51, 1, s51
	s_and_not1_b32 s11, s11, s51
	s_delay_alu instid0(VALU_DEP_1)
	s_min_i32 s10, s10, s52
	s_cmp_lg_u32 s11, 0
	s_cbranch_scc1 .LBB78_78
; %bb.79:                               ;   in Loop: Header=BB78_15 Depth=1
	v_mbcnt_lo_u32_b32 v4, exec_lo, 0
	s_mov_b32 s11, exec_lo
	s_delay_alu instid0(VALU_DEP_1)
	v_cmpx_eq_u32_e32 0, v4
	s_xor_b32 s11, exec_lo, s11
	s_cbranch_execz .LBB78_81
; %bb.80:                               ;   in Loop: Header=BB78_15 Depth=1
	v_mov_b32_e32 v4, s10
	ds_min_i32 v0, v4 offset:20544
.LBB78_81:                              ;   in Loop: Header=BB78_15 Depth=1
	s_or_b32 exec_lo, exec_lo, s9
	s_waitcnt lgkmcnt(0)
	s_waitcnt_vscnt null, 0x0
	s_barrier
	buffer_gl0_inv
	ds_load_b32 v4, v36
	s_waitcnt lgkmcnt(0)
	s_barrier
	buffer_gl0_inv
	s_and_saveexec_b32 s9, s3
	s_cbranch_execz .LBB78_83
; %bb.82:                               ;   in Loop: Header=BB78_15 Depth=1
	ds_load_b32 v5, v37
	s_waitcnt lgkmcnt(0)
	v_add_nc_u32_e32 v4, v5, v4
.LBB78_83:                              ;   in Loop: Header=BB78_15 Depth=1
	s_or_b32 exec_lo, exec_lo, s9
	s_barrier
	buffer_gl0_inv
	ds_store_b32 v36, v4
	s_waitcnt lgkmcnt(0)
	s_barrier
	buffer_gl0_inv
	s_and_saveexec_b32 s9, s4
	s_cbranch_execz .LBB78_85
; %bb.84:                               ;   in Loop: Header=BB78_15 Depth=1
	ds_load_b32 v5, v38
	s_waitcnt lgkmcnt(0)
	v_add_nc_u32_e32 v4, v5, v4
.LBB78_85:                              ;   in Loop: Header=BB78_15 Depth=1
	s_or_b32 exec_lo, exec_lo, s9
	s_barrier
	buffer_gl0_inv
	ds_store_b32 v36, v4
	;; [unrolled: 14-line block ×4, first 2 shown]
	s_waitcnt lgkmcnt(0)
	s_barrier
	buffer_gl0_inv
	ds_load_b32 v6, v0 offset:20540
	v_mov_b32_e32 v5, 0
	s_and_saveexec_b32 s9, s18
	s_cbranch_execz .LBB78_91
; %bb.90:                               ;   in Loop: Header=BB78_15 Depth=1
	ds_load_b32 v5, v37
.LBB78_91:                              ;   in Loop: Header=BB78_15 Depth=1
	s_or_b32 exec_lo, exec_lo, s9
	s_waitcnt lgkmcnt(0)
	v_cmp_eq_u32_e32 vcc_lo, v4, v5
	s_barrier
	buffer_gl0_inv
	s_and_b32 s10, s18, vcc_lo
	s_delay_alu instid0(SALU_CYCLE_1)
	s_and_saveexec_b32 s9, s10
	s_cbranch_execz .LBB78_93
; %bb.92:                               ;   in Loop: Header=BB78_15 Depth=1
	ds_store_b32 v36, v0
.LBB78_93:                              ;   in Loop: Header=BB78_15 Depth=1
	s_or_b32 exec_lo, exec_lo, s9
	v_dual_mov_b32 v22, v30 :: v_dual_add_nc_u32 v7, -1, v44
	v_dual_mov_b32 v21, v43 :: v_dual_add_nc_u32 v20, s30, v47
	v_mov_b32_e32 v23, v29
	s_mov_b32 s9, 0
	s_waitcnt lgkmcnt(0)
	s_barrier
	buffer_gl0_inv
	s_set_inst_prefetch_distance 0x1
	s_branch .LBB78_95
	.p2align	6
.LBB78_94:                              ;   in Loop: Header=BB78_95 Depth=2
	s_or_b32 exec_lo, exec_lo, s10
	v_add_nc_u32_e32 v4, 4, v23
	v_cmp_lt_u32_e32 vcc_lo, 11, v23
	v_add_nc_u32_e32 v22, 0x1000, v22
	v_add_nc_u32_e32 v21, 16, v21
	s_delay_alu instid0(VALU_DEP_4) | instskip(SKIP_1) | instid1(SALU_CYCLE_1)
	v_mov_b32_e32 v23, v4
	s_or_b32 s9, vcc_lo, s9
	s_and_not1_b32 exec_lo, exec_lo, s9
	s_cbranch_execz .LBB78_14
.LBB78_95:                              ;   Parent Loop BB78_15 Depth=1
                                        ; =>  This Inner Loop Header: Depth=2
	ds_load_b32 v4, v21
	s_mov_b32 s10, exec_lo
	s_waitcnt lgkmcnt(0)
	v_cmpx_ne_u32_e32 0, v4
	s_cbranch_execz .LBB78_94
; %bb.96:                               ;   in Loop: Header=BB78_95 Depth=2
	v_add_nc_u32_e32 v4, v7, v4
	s_delay_alu instid0(VALU_DEP_1) | instskip(NEXT) | instid1(VALU_DEP_1)
	v_ashrrev_i32_e32 v5, 31, v4
	v_lshlrev_b64 v[24:25], 2, v[4:5]
	v_add_nc_u32_e32 v5, v20, v23
	s_delay_alu instid0(VALU_DEP_2) | instskip(NEXT) | instid1(VALU_DEP_3)
	v_add_co_u32 v24, vcc_lo, s40, v24
	v_add_co_ci_u32_e32 v25, vcc_lo, s41, v25, vcc_lo
	global_store_b32 v[24:25], v5, off
	s_and_b32 exec_lo, exec_lo, s7
	s_cbranch_execz .LBB78_94
; %bb.97:                               ;   in Loop: Header=BB78_95 Depth=2
	v_mad_u64_u32 v[24:25], null, v4, s38, v[18:19]
	s_delay_alu instid0(VALU_DEP_1) | instskip(SKIP_2) | instid1(VALU_DEP_1)
	v_mad_u64_u32 v[4:5], null, v24, s38, v[19:20]
	ds_load_2addr_b64 v[24:27], v22 offset1:1
	v_ashrrev_i32_e32 v5, 31, v4
	v_lshlrev_b64 v[4:5], 4, v[4:5]
	s_delay_alu instid0(VALU_DEP_1) | instskip(NEXT) | instid1(VALU_DEP_2)
	v_add_co_u32 v4, vcc_lo, s42, v4
	v_add_co_ci_u32_e32 v5, vcc_lo, s43, v5, vcc_lo
	s_waitcnt lgkmcnt(0)
	global_store_b128 v[4:5], v[24:27], off
	s_branch .LBB78_94
.LBB78_98:
	s_endpgm
	.section	.rodata,"a",@progbits
	.p2align	6, 0x0
	.amdhsa_kernel _ZN9rocsparseL38bsrgemm_block_per_row_atomic_multipassILj256ELj16ELj8Eii21rocsparse_complex_numIdEEEv20rocsparse_direction_T3_S4_PKS4_S6_NS_24const_host_device_scalarIT4_EEPKT2_S6_PKS8_SC_S6_SE_S9_SC_S6_SE_SC_PS4_PS8_PSA_21rocsparse_index_base_SI_SI_SI_bbb
		.amdhsa_group_segment_fixed_size 20552
		.amdhsa_private_segment_fixed_size 24
		.amdhsa_kernarg_size 188
		.amdhsa_user_sgpr_count 15
		.amdhsa_user_sgpr_dispatch_ptr 0
		.amdhsa_user_sgpr_queue_ptr 0
		.amdhsa_user_sgpr_kernarg_segment_ptr 1
		.amdhsa_user_sgpr_dispatch_id 0
		.amdhsa_user_sgpr_private_segment_size 0
		.amdhsa_wavefront_size32 1
		.amdhsa_uses_dynamic_stack 0
		.amdhsa_enable_private_segment 1
		.amdhsa_system_sgpr_workgroup_id_x 1
		.amdhsa_system_sgpr_workgroup_id_y 0
		.amdhsa_system_sgpr_workgroup_id_z 0
		.amdhsa_system_sgpr_workgroup_info 0
		.amdhsa_system_vgpr_workitem_id 0
		.amdhsa_next_free_vgpr 61
		.amdhsa_next_free_sgpr 58
		.amdhsa_reserve_vcc 1
		.amdhsa_float_round_mode_32 0
		.amdhsa_float_round_mode_16_64 0
		.amdhsa_float_denorm_mode_32 3
		.amdhsa_float_denorm_mode_16_64 3
		.amdhsa_dx10_clamp 1
		.amdhsa_ieee_mode 1
		.amdhsa_fp16_overflow 0
		.amdhsa_workgroup_processor_mode 1
		.amdhsa_memory_ordered 1
		.amdhsa_forward_progress 0
		.amdhsa_shared_vgpr_count 0
		.amdhsa_exception_fp_ieee_invalid_op 0
		.amdhsa_exception_fp_denorm_src 0
		.amdhsa_exception_fp_ieee_div_zero 0
		.amdhsa_exception_fp_ieee_overflow 0
		.amdhsa_exception_fp_ieee_underflow 0
		.amdhsa_exception_fp_ieee_inexact 0
		.amdhsa_exception_int_div_zero 0
	.end_amdhsa_kernel
	.section	.text._ZN9rocsparseL38bsrgemm_block_per_row_atomic_multipassILj256ELj16ELj8Eii21rocsparse_complex_numIdEEEv20rocsparse_direction_T3_S4_PKS4_S6_NS_24const_host_device_scalarIT4_EEPKT2_S6_PKS8_SC_S6_SE_S9_SC_S6_SE_SC_PS4_PS8_PSA_21rocsparse_index_base_SI_SI_SI_bbb,"axG",@progbits,_ZN9rocsparseL38bsrgemm_block_per_row_atomic_multipassILj256ELj16ELj8Eii21rocsparse_complex_numIdEEEv20rocsparse_direction_T3_S4_PKS4_S6_NS_24const_host_device_scalarIT4_EEPKT2_S6_PKS8_SC_S6_SE_S9_SC_S6_SE_SC_PS4_PS8_PSA_21rocsparse_index_base_SI_SI_SI_bbb,comdat
.Lfunc_end78:
	.size	_ZN9rocsparseL38bsrgemm_block_per_row_atomic_multipassILj256ELj16ELj8Eii21rocsparse_complex_numIdEEEv20rocsparse_direction_T3_S4_PKS4_S6_NS_24const_host_device_scalarIT4_EEPKT2_S6_PKS8_SC_S6_SE_S9_SC_S6_SE_SC_PS4_PS8_PSA_21rocsparse_index_base_SI_SI_SI_bbb, .Lfunc_end78-_ZN9rocsparseL38bsrgemm_block_per_row_atomic_multipassILj256ELj16ELj8Eii21rocsparse_complex_numIdEEEv20rocsparse_direction_T3_S4_PKS4_S6_NS_24const_host_device_scalarIT4_EEPKT2_S6_PKS8_SC_S6_SE_S9_SC_S6_SE_SC_PS4_PS8_PSA_21rocsparse_index_base_SI_SI_SI_bbb
                                        ; -- End function
	.section	.AMDGPU.csdata,"",@progbits
; Kernel info:
; codeLenInByte = 3768
; NumSgprs: 60
; NumVgprs: 61
; ScratchSize: 24
; MemoryBound: 0
; FloatMode: 240
; IeeeMode: 1
; LDSByteSize: 20552 bytes/workgroup (compile time only)
; SGPRBlocks: 7
; VGPRBlocks: 7
; NumSGPRsForWavesPerEU: 60
; NumVGPRsForWavesPerEU: 61
; Occupancy: 12
; WaveLimiterHint : 1
; COMPUTE_PGM_RSRC2:SCRATCH_EN: 1
; COMPUTE_PGM_RSRC2:USER_SGPR: 15
; COMPUTE_PGM_RSRC2:TRAP_HANDLER: 0
; COMPUTE_PGM_RSRC2:TGID_X_EN: 1
; COMPUTE_PGM_RSRC2:TGID_Y_EN: 0
; COMPUTE_PGM_RSRC2:TGID_Z_EN: 0
; COMPUTE_PGM_RSRC2:TIDIG_COMP_CNT: 0
	.section	.text._ZN9rocsparseL38bsrgemm_block_per_row_atomic_multipassILj256ELj32ELj8Eii21rocsparse_complex_numIdEEEv20rocsparse_direction_T3_S4_PKS4_S6_NS_24const_host_device_scalarIT4_EEPKT2_S6_PKS8_SC_S6_SE_S9_SC_S6_SE_SC_PS4_PS8_PSA_21rocsparse_index_base_SI_SI_SI_bbb,"axG",@progbits,_ZN9rocsparseL38bsrgemm_block_per_row_atomic_multipassILj256ELj32ELj8Eii21rocsparse_complex_numIdEEEv20rocsparse_direction_T3_S4_PKS4_S6_NS_24const_host_device_scalarIT4_EEPKT2_S6_PKS8_SC_S6_SE_S9_SC_S6_SE_SC_PS4_PS8_PSA_21rocsparse_index_base_SI_SI_SI_bbb,comdat
	.globl	_ZN9rocsparseL38bsrgemm_block_per_row_atomic_multipassILj256ELj32ELj8Eii21rocsparse_complex_numIdEEEv20rocsparse_direction_T3_S4_PKS4_S6_NS_24const_host_device_scalarIT4_EEPKT2_S6_PKS8_SC_S6_SE_S9_SC_S6_SE_SC_PS4_PS8_PSA_21rocsparse_index_base_SI_SI_SI_bbb ; -- Begin function _ZN9rocsparseL38bsrgemm_block_per_row_atomic_multipassILj256ELj32ELj8Eii21rocsparse_complex_numIdEEEv20rocsparse_direction_T3_S4_PKS4_S6_NS_24const_host_device_scalarIT4_EEPKT2_S6_PKS8_SC_S6_SE_S9_SC_S6_SE_SC_PS4_PS8_PSA_21rocsparse_index_base_SI_SI_SI_bbb
	.p2align	8
	.type	_ZN9rocsparseL38bsrgemm_block_per_row_atomic_multipassILj256ELj32ELj8Eii21rocsparse_complex_numIdEEEv20rocsparse_direction_T3_S4_PKS4_S6_NS_24const_host_device_scalarIT4_EEPKT2_S6_PKS8_SC_S6_SE_S9_SC_S6_SE_SC_PS4_PS8_PSA_21rocsparse_index_base_SI_SI_SI_bbb,@function
_ZN9rocsparseL38bsrgemm_block_per_row_atomic_multipassILj256ELj32ELj8Eii21rocsparse_complex_numIdEEEv20rocsparse_direction_T3_S4_PKS4_S6_NS_24const_host_device_scalarIT4_EEPKT2_S6_PKS8_SC_S6_SE_S9_SC_S6_SE_SC_PS4_PS8_PSA_21rocsparse_index_base_SI_SI_SI_bbb: ; @_ZN9rocsparseL38bsrgemm_block_per_row_atomic_multipassILj256ELj32ELj8Eii21rocsparse_complex_numIdEEEv20rocsparse_direction_T3_S4_PKS4_S6_NS_24const_host_device_scalarIT4_EEPKT2_S6_PKS8_SC_S6_SE_S9_SC_S6_SE_SC_PS4_PS8_PSA_21rocsparse_index_base_SI_SI_SI_bbb
; %bb.0:
	s_mov_b32 s46, s15
	s_load_b32 s12, s[2:3], 0xb8
	s_load_b64 s[14:15], s[0:1], 0x4
	v_dual_mov_b32 v12, 0 :: v_dual_and_b32 v1, 0x3ff, v0
	s_clause 0x1
	s_load_b128 s[8:11], s[2:3], 0x20
	s_load_b128 s[4:7], s[2:3], 0x60
	v_bfe_u32 v3, v0, 10, 10
	s_load_b128 s[28:31], s[2:3], 0xa8
	v_bfe_u32 v0, v0, 20, 10
	v_mov_b32_e32 v13, 0
	s_waitcnt lgkmcnt(0)
	s_bitcmp1_b32 s12, 0
	s_cselect_b32 s53, -1, 0
	s_bitcmp1_b32 s12, 16
	v_mov_b32_e32 v4, s4
	s_cselect_b32 s0, -1, 0
	s_lshr_b32 s1, s14, 16
	s_delay_alu instid0(SALU_CYCLE_1) | instskip(NEXT) | instid1(SALU_CYCLE_1)
	s_mul_i32 s1, s1, s15
	v_mul_lo_u32 v2, s1, v1
	s_xor_b32 s1, s0, -1
	s_bitcmp0_b32 s12, 0
	v_cndmask_b32_e64 v6, 0, 1, s1
	s_delay_alu instid0(VALU_DEP_2) | instskip(NEXT) | instid1(VALU_DEP_2)
	v_mad_u32_u24 v2, v3, s15, v2
	v_cmp_ne_u32_e32 vcc_lo, 1, v6
	s_delay_alu instid0(VALU_DEP_2) | instskip(SKIP_3) | instid1(VALU_DEP_4)
	v_add_lshl_u32 v0, v2, v0, 3
	v_dual_mov_b32 v2, s8 :: v_dual_mov_b32 v3, s9
	v_mov_b32_e32 v5, s5
	v_dual_mov_b32 v15, v13 :: v_dual_mov_b32 v14, v12
	v_dual_mov_b32 v17, v13 :: v_dual_add_nc_u32 v6, 0x88, v0
	v_mov_b32_e32 v16, v12
	ds_store_2addr_stride64_b64 v6, v[4:5], v[2:3] offset0:72 offset1:76
	s_cbranch_scc1 .LBB79_3
; %bb.1:
	s_mov_b64 s[14:15], src_shared_base
	s_and_b32 s13, s0, exec_lo
	s_cselect_b32 s13, s15, s9
	s_delay_alu instid0(SALU_CYCLE_1) | instskip(SKIP_2) | instid1(VALU_DEP_2)
	v_dual_mov_b32 v3, s13 :: v_dual_add_nc_u32 v2, 0x9888, v0
	v_dual_mov_b32 v17, s11 :: v_dual_mov_b32 v16, s10
	s_and_b32 vcc_lo, exec_lo, vcc_lo
	v_cndmask_b32_e64 v2, s8, v2, s0
	flat_load_b64 v[14:15], v[2:3]
	s_cbranch_vccnz .LBB79_3
; %bb.2:
	v_dual_mov_b32 v2, s8 :: v_dual_mov_b32 v3, s9
	flat_load_b64 v[16:17], v[2:3] offset:8
.LBB79_3:
	s_load_b64 s[8:9], s[2:3], 0x18
	s_bitcmp1_b32 s12, 8
	v_dual_mov_b32 v19, v13 :: v_dual_mov_b32 v18, v12
	s_cselect_b32 s33, -1, 0
	s_bfe_u32 s10, s12, 0x10008
	s_delay_alu instid0(SALU_CYCLE_1)
	s_cmp_eq_u32 s10, 0
	s_cbranch_scc1 .LBB79_6
; %bb.4:
	s_mov_b64 s[10:11], src_shared_base
	s_and_b32 s10, s0, exec_lo
	s_cselect_b32 s10, s11, s5
	s_delay_alu instid0(SALU_CYCLE_1) | instskip(SKIP_2) | instid1(VALU_DEP_2)
	v_dual_mov_b32 v3, s10 :: v_dual_add_nc_u32 v0, 0x9088, v0
	v_dual_mov_b32 v13, s7 :: v_dual_mov_b32 v12, s6
	s_and_not1_b32 vcc_lo, exec_lo, s1
	v_cndmask_b32_e64 v2, s4, v0, s0
	flat_load_b64 v[18:19], v[2:3]
	s_cbranch_vccnz .LBB79_6
; %bb.5:
	v_dual_mov_b32 v2, s4 :: v_dual_mov_b32 v3, s5
	flat_load_b64 v[12:13], v[2:3] offset:8
.LBB79_6:
	s_load_b64 s[0:1], s[2:3], 0x30
	s_waitcnt lgkmcnt(0)
	s_cmp_eq_u64 s[8:9], 0
	s_cbranch_scc1 .LBB79_8
; %bb.7:
	s_load_b64 s[4:5], s[2:3], 0x10
	s_waitcnt lgkmcnt(0)
	s_load_b32 s4, s[4:5], 0x0
	s_mov_b32 s5, 0
	s_waitcnt lgkmcnt(0)
	s_add_i32 s4, s4, s46
	s_delay_alu instid0(SALU_CYCLE_1) | instskip(NEXT) | instid1(SALU_CYCLE_1)
	s_lshl_b64 s[4:5], s[4:5], 2
	s_add_u32 s4, s8, s4
	s_addc_u32 s5, s9, s5
	s_load_b32 s46, s[4:5], 0x0
.LBB79_8:
	s_mov_b32 s50, 0
	s_and_not1_b32 vcc_lo, exec_lo, s53
	s_mov_b32 s51, 0
	s_cbranch_vccz .LBB79_11
; %bb.9:
	s_and_not1_b32 vcc_lo, exec_lo, s53
	s_cbranch_vccz .LBB79_12
.LBB79_10:
	s_load_b128 s[36:39], s[2:3], 0x0
	s_waitcnt lgkmcnt(0)
	s_cmp_lt_i32 s37, 1
	s_cbranch_scc0 .LBB79_13
	s_branch .LBB79_100
.LBB79_11:
	s_waitcnt lgkmcnt(0)
	s_ashr_i32 s47, s46, 31
	s_delay_alu instid0(SALU_CYCLE_1) | instskip(NEXT) | instid1(SALU_CYCLE_1)
	s_lshl_b64 s[4:5], s[46:47], 2
	s_add_u32 s4, s0, s4
	s_addc_u32 s5, s1, s5
	s_load_b32 s4, s[4:5], 0x0
	s_waitcnt lgkmcnt(0)
	s_sub_i32 s51, s4, s28
	s_and_not1_b32 vcc_lo, exec_lo, s53
	s_cbranch_vccnz .LBB79_10
.LBB79_12:
	s_waitcnt lgkmcnt(0)
	s_ashr_i32 s47, s46, 31
	s_delay_alu instid0(SALU_CYCLE_1) | instskip(NEXT) | instid1(SALU_CYCLE_1)
	s_lshl_b64 s[4:5], s[46:47], 2
	s_add_u32 s0, s0, s4
	s_addc_u32 s1, s1, s5
	s_load_b32 s0, s[0:1], 0x4
	s_waitcnt lgkmcnt(0)
	s_sub_i32 s50, s0, s28
	s_load_b128 s[36:39], s[2:3], 0x0
	s_waitcnt lgkmcnt(0)
	s_cmp_lt_i32 s37, 1
	s_cbranch_scc1 .LBB79_100
.LBB79_13:
	s_clause 0x4
	s_load_b256 s[12:19], s[2:3], 0x70
	s_load_b64 s[34:35], s[2:3], 0xa0
	s_load_b128 s[40:43], s[2:3], 0x90
	s_load_b64 s[48:49], s[2:3], 0x58
	s_load_b256 s[20:27], s[2:3], 0x38
	s_ashr_i32 s47, s46, 31
	s_mov_b32 s44, 0
	s_lshl_b64 s[10:11], s[46:47], 2
	s_mov_b32 s46, s44
	s_mov_b32 s47, s44
	v_bfe_u32 v21, v1, 3, 3
	v_lshrrev_b32_e32 v30, 6, v1
	v_cmp_gt_u32_e64 s0, 32, v1
	v_cmp_eq_u32_e64 s1, 0, v1
	v_lshlrev_b32_e32 v31, 4, v1
	v_lshl_or_b32 v33, v1, 2, 0x9000
	v_subrev_nc_u32_e32 v35, s31, v30
	v_lshl_or_b32 v44, v30, 2, 0x9000
	v_dual_mov_b32 v46, 0 :: v_dual_mov_b32 v47, 1
	s_waitcnt lgkmcnt(0)
	s_add_u32 s2, s18, s10
	s_addc_u32 s3, s19, s11
	v_mov_b32_e32 v49, 0
	s_load_b32 s18, s[2:3], 0x0
	v_mov_b32_e32 v50, 32
	s_waitcnt lgkmcnt(0)
	s_sub_i32 s45, s18, s30
	s_delay_alu instid0(SALU_CYCLE_1)
	v_dual_mov_b32 v45, s45 :: v_dual_and_b32 v20, 7, v1
	s_mov_b32 s45, s44
	v_and_b32_e32 v2, 31, v1
	s_cmp_lt_i32 s51, s50
	v_and_b32_e32 v32, 56, v1
	s_cselect_b32 s54, -1, 0
	s_cmp_eq_u32 s36, 0
	v_add_co_u32 v4, s39, v2, -1
	s_cselect_b32 vcc_lo, -1, 0
	v_dual_cndmask_b32 v23, v21, v20 :: v_dual_and_b32 v0, 63, v1
	s_delay_alu instid0(VALU_DEP_2) | instskip(SKIP_1) | instid1(VALU_DEP_3)
	v_lshl_add_u32 v37, v4, 2, 0x9000
	v_dual_mov_b32 v4, s44 :: v_dual_mov_b32 v7, s47
	v_cmp_eq_u32_e64 s2, 63, v0
	v_lshlrev_b32_e32 v0, 2, v2
	s_cmp_lg_u32 s36, 0
	v_or_b32_e32 v1, 0x400, v1
	v_max_i32_e32 v3, v20, v21
	v_cmp_ne_u32_e64 s3, 0, v2
	v_cmp_lt_u32_e64 s4, 1, v2
	v_cmp_lt_u32_e64 s5, 3, v2
	;; [unrolled: 1-line block ×4, first 2 shown]
	v_lshlrev_b32_e32 v2, 10, v30
	v_or_b32_e32 v36, 0x9000, v0
	v_add_nc_u32_e32 v38, 0x8ff8, v0
	v_dual_cndmask_b32 v22, v20, v21 :: v_dual_add_nc_u32 v39, 0x8ff0, v0
	v_add_nc_u32_e32 v40, 0x8fe0, v0
	s_cselect_b32 s36, -1, 0
	s_cmp_gt_i32 s38, 0
	v_add_nc_u32_e32 v41, 0x8fc0, v0
	v_lshlrev_b32_e32 v0, 4, v21
	s_cselect_b32 s52, -1, 0
	s_add_u32 s18, s12, s10
	s_addc_u32 s19, s13, s11
	s_movk_i32 s11, 0xf80
	v_cmp_gt_i32_e64 s8, s38, v3
	v_cmp_le_i32_e64 s9, s38, v3
	v_cmp_gt_u32_e64 s10, 0x700, v1
	v_or3_b32 v42, v2, v0, 0x8000
	v_mov_b32_e32 v0, 0
	v_or_b32_e32 v34, 0x8000, v31
	v_and_or_b32 v43, v31, s11, 0x8000
	v_dual_mov_b32 v5, s45 :: v_dual_mov_b32 v6, s46
	v_cndmask_b32_e64 v48, 0, 1, s52
	s_and_b32 s44, s53, s54
	s_add_u32 s45, s24, 4
	s_addc_u32 s46, s25, 0
	s_mul_i32 s47, s38, s38
	s_branch .LBB79_15
.LBB79_14:                              ;   in Loop: Header=BB79_15 Depth=1
	s_set_inst_prefetch_distance 0x2
	s_or_b32 exec_lo, exec_lo, s11
	s_waitcnt_vscnt null, 0x0
	s_barrier
	buffer_gl0_inv
	ds_load_b32 v49, v46 offset:36992
	v_add_nc_u32_e32 v45, v3, v45
	s_waitcnt lgkmcnt(0)
	s_barrier
	buffer_gl0_inv
	v_cmp_le_i32_e32 vcc_lo, s37, v49
	v_add_nc_u32_e32 v50, 32, v49
	s_cbranch_vccnz .LBB79_100
.LBB79_15:                              ; =>This Loop Header: Depth=1
                                        ;     Child Loop BB79_24 Depth 2
                                        ;       Child Loop BB79_37 Depth 3
                                        ;         Child Loop BB79_46 Depth 4
                                        ;         Child Loop BB79_51 Depth 4
	;; [unrolled: 1-line block ×4, first 2 shown]
                                        ;     Child Loop BB79_66 Depth 2
                                        ;       Child Loop BB79_71 Depth 3
                                        ;       Child Loop BB79_73 Depth 3
                                        ;     Child Loop BB79_78 Depth 2
                                        ;     Child Loop BB79_97 Depth 2
	s_and_saveexec_b32 s11, s0
	s_cbranch_execz .LBB79_17
; %bb.16:                               ;   in Loop: Header=BB79_15 Depth=1
	ds_store_b32 v33, v46
.LBB79_17:                              ;   in Loop: Header=BB79_15 Depth=1
	s_or_b32 exec_lo, exec_lo, s11
	ds_store_b128 v31, v[4:7]
	ds_store_b128 v31, v[4:7] offset:4096
	ds_store_b128 v31, v[4:7] offset:8192
	;; [unrolled: 1-line block ×4, first 2 shown]
	s_and_saveexec_b32 s11, s10
	s_delay_alu instid0(SALU_CYCLE_1)
	s_xor_b32 s11, exec_lo, s11
	s_cbranch_execz .LBB79_19
; %bb.18:                               ;   in Loop: Header=BB79_15 Depth=1
	ds_store_b128 v31, v[4:7] offset:20480
	ds_store_b128 v31, v[4:7] offset:24576
	;; [unrolled: 1-line block ×3, first 2 shown]
.LBB79_19:                              ;   in Loop: Header=BB79_15 Depth=1
	s_or_b32 exec_lo, exec_lo, s11
	s_and_saveexec_b32 s11, s1
	s_cbranch_execz .LBB79_21
; %bb.20:                               ;   in Loop: Header=BB79_15 Depth=1
	v_mov_b32_e32 v1, s37
	ds_store_b32 v46, v1 offset:36992
.LBB79_21:                              ;   in Loop: Header=BB79_15 Depth=1
	s_or_b32 exec_lo, exec_lo, s11
	v_mov_b32_e32 v51, s37
	s_and_not1_b32 vcc_lo, exec_lo, s44
	s_waitcnt vmcnt(0) lgkmcnt(0)
	s_barrier
	buffer_gl0_inv
	s_cbranch_vccnz .LBB79_61
; %bb.22:                               ;   in Loop: Header=BB79_15 Depth=1
	v_cmp_ne_u32_e64 s11, 0, v49
	v_mov_b32_e32 v51, s37
	s_mov_b32 s53, s51
	s_branch .LBB79_24
.LBB79_23:                              ;   in Loop: Header=BB79_24 Depth=2
	s_or_b32 exec_lo, exec_lo, s13
	s_add_i32 s53, s53, 4
	s_delay_alu instid0(SALU_CYCLE_1)
	s_cmp_lt_i32 s53, s50
	s_cbranch_scc0 .LBB79_61
.LBB79_24:                              ;   Parent Loop BB79_15 Depth=1
                                        ; =>  This Loop Header: Depth=2
                                        ;       Child Loop BB79_37 Depth 3
                                        ;         Child Loop BB79_46 Depth 4
                                        ;         Child Loop BB79_51 Depth 4
	;; [unrolled: 1-line block ×4, first 2 shown]
	v_add_nc_u32_e32 v8, s53, v30
	s_waitcnt_vscnt null, 0x0
	s_barrier
	buffer_gl0_inv
	v_cmp_gt_i32_e64 s12, s50, v8
	s_delay_alu instid0(VALU_DEP_1)
	s_and_saveexec_b32 s13, s12
	s_cbranch_execz .LBB79_29
; %bb.25:                               ;   in Loop: Header=BB79_24 Depth=2
	s_and_saveexec_b32 s54, s9
	s_delay_alu instid0(SALU_CYCLE_1)
	s_xor_b32 s54, exec_lo, s54
	s_cbranch_execz .LBB79_27
; %bb.26:                               ;   in Loop: Header=BB79_24 Depth=2
	v_mov_b32_e32 v1, v0
	v_mov_b32_e32 v2, v0
	;; [unrolled: 1-line block ×3, first 2 shown]
	ds_store_b128 v34, v[0:3]
.LBB79_27:                              ;   in Loop: Header=BB79_24 Depth=2
	s_and_not1_saveexec_b32 s54, s54
	s_cbranch_execz .LBB79_29
; %bb.28:                               ;   in Loop: Header=BB79_24 Depth=2
	v_mad_u64_u32 v[1:2], null, v8, s38, v[21:22]
	s_delay_alu instid0(VALU_DEP_1) | instskip(NEXT) | instid1(VALU_DEP_1)
	v_mad_u64_u32 v[2:3], null, v1, s38, v[20:21]
	v_ashrrev_i32_e32 v3, 31, v2
	s_delay_alu instid0(VALU_DEP_1) | instskip(NEXT) | instid1(VALU_DEP_1)
	v_lshlrev_b64 v[1:2], 4, v[2:3]
	v_add_co_u32 v1, vcc_lo, s22, v1
	s_delay_alu instid0(VALU_DEP_2)
	v_add_co_ci_u32_e32 v2, vcc_lo, s23, v2, vcc_lo
	global_load_b128 v[24:27], v[1:2], off
	s_waitcnt vmcnt(0)
	ds_store_2addr_b64 v34, v[24:25], v[26:27] offset1:1
.LBB79_29:                              ;   in Loop: Header=BB79_24 Depth=2
	s_or_b32 exec_lo, exec_lo, s13
	v_mov_b32_e32 v52, 0
	v_ashrrev_i32_e32 v9, 31, v8
	s_waitcnt lgkmcnt(0)
	s_barrier
	buffer_gl0_inv
	s_and_saveexec_b32 s54, s12
	s_cbranch_execz .LBB79_58
; %bb.30:                               ;   in Loop: Header=BB79_24 Depth=2
	v_lshlrev_b64 v[10:11], 2, v[8:9]
	s_delay_alu instid0(VALU_DEP_1) | instskip(NEXT) | instid1(VALU_DEP_2)
	v_add_co_u32 v1, vcc_lo, s20, v10
	v_add_co_ci_u32_e32 v2, vcc_lo, s21, v11, vcc_lo
	s_and_b32 vcc_lo, exec_lo, s11
	global_load_b32 v1, v[1:2], off
	s_waitcnt vmcnt(0)
	v_subrev_nc_u32_e32 v1, s28, v1
	s_delay_alu instid0(VALU_DEP_1)
	v_ashrrev_i32_e32 v2, 31, v1
	s_cbranch_vccz .LBB79_60
; %bb.31:                               ;   in Loop: Header=BB79_24 Depth=2
	v_add_co_u32 v10, vcc_lo, s34, v10
	v_add_co_ci_u32_e32 v11, vcc_lo, s35, v11, vcc_lo
	global_load_b32 v52, v[10:11], off
	s_cbranch_execnz .LBB79_33
.LBB79_32:                              ;   in Loop: Header=BB79_24 Depth=2
	s_delay_alu instid0(VALU_DEP_1) | instskip(NEXT) | instid1(VALU_DEP_1)
	v_lshlrev_b64 v[10:11], 2, v[1:2]
	v_add_co_u32 v10, vcc_lo, s24, v10
	s_delay_alu instid0(VALU_DEP_2)
	v_add_co_ci_u32_e32 v11, vcc_lo, s25, v11, vcc_lo
	global_load_b32 v3, v[10:11], off
	s_waitcnt vmcnt(0)
	v_subrev_nc_u32_e32 v52, s29, v3
.LBB79_33:                              ;   in Loop: Header=BB79_24 Depth=2
	v_lshlrev_b64 v[1:2], 2, v[1:2]
	s_mov_b32 s55, exec_lo
	s_delay_alu instid0(VALU_DEP_1) | instskip(NEXT) | instid1(VALU_DEP_2)
	v_add_co_u32 v1, vcc_lo, s45, v1
	v_add_co_ci_u32_e32 v2, vcc_lo, s46, v2, vcc_lo
	global_load_b32 v1, v[1:2], off
	s_waitcnt vmcnt(0)
	v_subrev_nc_u32_e32 v53, s29, v1
	s_delay_alu instid0(VALU_DEP_1)
	v_cmpx_lt_i32_e64 v52, v53
	s_cbranch_execz .LBB79_57
; %bb.34:                               ;   in Loop: Header=BB79_24 Depth=2
	v_mad_u64_u32 v[1:2], null, s38, v52, v[20:21]
	s_mov_b32 s56, 0
	s_delay_alu instid0(VALU_DEP_1)
	v_mul_lo_u32 v54, s38, v1
	v_mad_u64_u32 v[1:2], null, s47, v52, v[20:21]
	v_mov_b32_e32 v2, v52
	s_branch .LBB79_37
.LBB79_35:                              ;   in Loop: Header=BB79_37 Depth=3
	s_or_b32 exec_lo, exec_lo, s59
	s_delay_alu instid0(SALU_CYCLE_1)
	s_or_b32 s57, s57, exec_lo
.LBB79_36:                              ;   in Loop: Header=BB79_37 Depth=3
	s_or_b32 exec_lo, exec_lo, s58
	v_add_nc_u32_e32 v2, 1, v2
	s_xor_b32 s13, s57, -1
	v_add_nc_u32_e32 v54, s47, v54
	v_add_nc_u32_e32 v1, s47, v1
	s_delay_alu instid0(VALU_DEP_3) | instskip(SKIP_1) | instid1(SALU_CYCLE_1)
	v_cmp_ge_i32_e32 vcc_lo, v2, v53
	s_or_b32 s13, s13, vcc_lo
	s_and_b32 s13, exec_lo, s13
	s_delay_alu instid0(SALU_CYCLE_1) | instskip(NEXT) | instid1(SALU_CYCLE_1)
	s_or_b32 s56, s13, s56
	s_and_not1_b32 exec_lo, exec_lo, s56
	s_cbranch_execz .LBB79_56
.LBB79_37:                              ;   Parent Loop BB79_15 Depth=1
                                        ;     Parent Loop BB79_24 Depth=2
                                        ; =>    This Loop Header: Depth=3
                                        ;         Child Loop BB79_46 Depth 4
                                        ;         Child Loop BB79_51 Depth 4
	;; [unrolled: 1-line block ×4, first 2 shown]
	s_delay_alu instid0(VALU_DEP_1) | instskip(NEXT) | instid1(VALU_DEP_1)
	v_ashrrev_i32_e32 v3, 31, v2
                                        ; implicit-def: $sgpr57
	v_lshlrev_b64 v[10:11], 2, v[2:3]
	s_delay_alu instid0(VALU_DEP_1) | instskip(NEXT) | instid1(VALU_DEP_2)
	v_add_co_u32 v10, vcc_lo, s26, v10
	v_add_co_ci_u32_e32 v11, vcc_lo, s27, v11, vcc_lo
	global_load_b32 v3, v[10:11], off
	s_waitcnt vmcnt(0)
	v_subrev_nc_u32_e32 v3, s29, v3
	s_delay_alu instid0(VALU_DEP_1) | instskip(SKIP_1) | instid1(VALU_DEP_2)
	v_cmp_lt_i32_e64 s13, v3, v49
	v_cmp_ge_i32_e32 vcc_lo, v3, v50
	s_or_b32 s13, s13, vcc_lo
	s_delay_alu instid0(SALU_CYCLE_1) | instskip(NEXT) | instid1(SALU_CYCLE_1)
	s_and_saveexec_b32 s58, s13
	s_xor_b32 s13, exec_lo, s58
	s_cbranch_execz .LBB79_41
; %bb.38:                               ;   in Loop: Header=BB79_37 Depth=3
	s_mov_b32 s57, -1
	s_and_saveexec_b32 s58, vcc_lo
; %bb.39:                               ;   in Loop: Header=BB79_37 Depth=3
	v_min_i32_e32 v51, v3, v51
	v_mov_b32_e32 v52, v2
	s_xor_b32 s57, exec_lo, -1
; %bb.40:                               ;   in Loop: Header=BB79_37 Depth=3
	s_or_b32 exec_lo, exec_lo, s58
	s_delay_alu instid0(SALU_CYCLE_1)
	s_and_b32 s57, s57, exec_lo
                                        ; implicit-def: $vgpr3
.LBB79_41:                              ;   in Loop: Header=BB79_37 Depth=3
	s_and_not1_saveexec_b32 s58, s13
	s_cbranch_execz .LBB79_36
; %bb.42:                               ;   in Loop: Header=BB79_37 Depth=3
	v_sub_nc_u32_e32 v3, v3, v49
	s_delay_alu instid0(VALU_DEP_1)
	v_lshlrev_b32_e32 v10, 2, v3
	ds_store_b32 v10, v47 offset:36864
	s_and_saveexec_b32 s59, s8
	s_cbranch_execz .LBB79_35
; %bb.43:                               ;   in Loop: Header=BB79_37 Depth=3
	v_cmp_ne_u32_e64 s13, 1, v48
	s_and_not1_b32 vcc_lo, exec_lo, s36
	s_cbranch_vccnz .LBB79_48
; %bb.44:                               ;   in Loop: Header=BB79_37 Depth=3
	v_mov_b32_e32 v10, 0
	v_mov_b32_e32 v11, 0
	s_and_b32 vcc_lo, exec_lo, s13
	s_delay_alu instid0(VALU_DEP_1)
	v_dual_mov_b32 v25, v11 :: v_dual_mov_b32 v24, v10
	s_cbranch_vccnz .LBB79_47
; %bb.45:                               ;   in Loop: Header=BB79_37 Depth=3
	v_mov_b32_e32 v10, 0
	v_dual_mov_b32 v11, 0 :: v_dual_mov_b32 v26, v54
	v_mov_b32_e32 v28, v42
	s_mov_b32 s13, s38
	s_delay_alu instid0(VALU_DEP_2)
	v_dual_mov_b32 v25, v11 :: v_dual_mov_b32 v24, v10
	.p2align	6
.LBB79_46:                              ;   Parent Loop BB79_15 Depth=1
                                        ;     Parent Loop BB79_24 Depth=2
                                        ;       Parent Loop BB79_37 Depth=3
                                        ; =>      This Inner Loop Header: Depth=4
	s_delay_alu instid0(VALU_DEP_3) | instskip(SKIP_3) | instid1(SALU_CYCLE_1)
	v_ashrrev_i32_e32 v27, 31, v26
	ds_load_b128 v[59:62], v28
	v_add_nc_u32_e32 v28, 0x80, v28
	s_add_i32 s13, s13, -1
	s_cmp_lg_u32 s13, 0
	v_lshlrev_b64 v[55:56], 4, v[26:27]
	v_add_nc_u32_e32 v26, 1, v26
	s_delay_alu instid0(VALU_DEP_2) | instskip(NEXT) | instid1(VALU_DEP_3)
	v_add_co_u32 v55, vcc_lo, s48, v55
	v_add_co_ci_u32_e32 v56, vcc_lo, s49, v56, vcc_lo
	global_load_b128 v[55:58], v[55:56], off
	s_waitcnt vmcnt(0) lgkmcnt(0)
	v_fma_f64 v[10:11], v[59:60], v[55:56], v[10:11]
	v_fma_f64 v[24:25], v[61:62], v[55:56], v[24:25]
	s_delay_alu instid0(VALU_DEP_2) | instskip(NEXT) | instid1(VALU_DEP_2)
	v_fma_f64 v[10:11], -v[61:62], v[57:58], v[10:11]
	v_fma_f64 v[24:25], v[59:60], v[57:58], v[24:25]
	s_cbranch_scc1 .LBB79_46
.LBB79_47:                              ;   in Loop: Header=BB79_37 Depth=3
	s_cbranch_execz .LBB79_49
	s_branch .LBB79_52
.LBB79_48:                              ;   in Loop: Header=BB79_37 Depth=3
                                        ; implicit-def: $vgpr10_vgpr11
                                        ; implicit-def: $vgpr24_vgpr25
.LBB79_49:                              ;   in Loop: Header=BB79_37 Depth=3
	v_mov_b32_e32 v10, 0
	v_mov_b32_e32 v11, 0
	s_and_not1_b32 vcc_lo, exec_lo, s52
	s_delay_alu instid0(VALU_DEP_1)
	v_dual_mov_b32 v25, v11 :: v_dual_mov_b32 v24, v10
	s_cbranch_vccnz .LBB79_52
; %bb.50:                               ;   in Loop: Header=BB79_37 Depth=3
	v_mov_b32_e32 v10, 0
	v_dual_mov_b32 v11, 0 :: v_dual_mov_b32 v28, v43
	v_mov_b32_e32 v26, v1
	s_mov_b32 s13, s38
	s_delay_alu instid0(VALU_DEP_2)
	v_dual_mov_b32 v25, v11 :: v_dual_mov_b32 v24, v10
	.p2align	6
.LBB79_51:                              ;   Parent Loop BB79_15 Depth=1
                                        ;     Parent Loop BB79_24 Depth=2
                                        ;       Parent Loop BB79_37 Depth=3
                                        ; =>      This Inner Loop Header: Depth=4
	s_delay_alu instid0(VALU_DEP_2) | instskip(SKIP_3) | instid1(SALU_CYCLE_1)
	v_ashrrev_i32_e32 v27, 31, v26
	ds_load_b128 v[59:62], v28
	v_add_nc_u32_e32 v28, 16, v28
	s_add_i32 s13, s13, -1
	s_cmp_eq_u32 s13, 0
	v_lshlrev_b64 v[55:56], 4, v[26:27]
	v_add_nc_u32_e32 v26, s38, v26
	s_delay_alu instid0(VALU_DEP_2) | instskip(NEXT) | instid1(VALU_DEP_3)
	v_add_co_u32 v55, vcc_lo, s48, v55
	v_add_co_ci_u32_e32 v56, vcc_lo, s49, v56, vcc_lo
	global_load_b128 v[55:58], v[55:56], off
	s_waitcnt vmcnt(0) lgkmcnt(0)
	v_fma_f64 v[10:11], v[59:60], v[55:56], v[10:11]
	v_fma_f64 v[24:25], v[61:62], v[55:56], v[24:25]
	s_delay_alu instid0(VALU_DEP_2) | instskip(NEXT) | instid1(VALU_DEP_2)
	v_fma_f64 v[10:11], -v[61:62], v[57:58], v[10:11]
	v_fma_f64 v[24:25], v[59:60], v[57:58], v[24:25]
	s_cbranch_scc0 .LBB79_51
.LBB79_52:                              ;   in Loop: Header=BB79_37 Depth=3
	s_delay_alu instid0(VALU_DEP_1) | instskip(SKIP_2) | instid1(VALU_DEP_1)
	v_mul_f64 v[26:27], v[24:25], -v[16:17]
	v_lshlrev_b32_e32 v3, 6, v3
	s_mov_b32 s13, 0
	v_or3_b32 v3, v3, v32, v20
	s_delay_alu instid0(VALU_DEP_1)
	v_lshlrev_b32_e32 v3, 4, v3
	ds_load_b64 v[28:29], v3
	v_fma_f64 v[26:27], v[14:15], v[10:11], v[26:27]
.LBB79_53:                              ;   Parent Loop BB79_15 Depth=1
                                        ;     Parent Loop BB79_24 Depth=2
                                        ;       Parent Loop BB79_37 Depth=3
                                        ; =>      This Inner Loop Header: Depth=4
	s_waitcnt lgkmcnt(0)
	s_delay_alu instid0(VALU_DEP_1)
	v_add_f64 v[55:56], v[28:29], v[26:27]
	ds_cmpstore_rtn_b64 v[55:56], v3, v[55:56], v[28:29]
	s_waitcnt lgkmcnt(0)
	v_cmp_eq_u64_e32 vcc_lo, v[55:56], v[28:29]
	v_dual_mov_b32 v28, v55 :: v_dual_mov_b32 v29, v56
	s_or_b32 s13, vcc_lo, s13
	s_delay_alu instid0(SALU_CYCLE_1)
	s_and_not1_b32 exec_lo, exec_lo, s13
	s_cbranch_execnz .LBB79_53
; %bb.54:                               ;   in Loop: Header=BB79_37 Depth=3
	s_or_b32 exec_lo, exec_lo, s13
	v_mul_f64 v[24:25], v[14:15], v[24:25]
	s_mov_b32 s13, 0
	s_delay_alu instid0(VALU_DEP_1)
	v_fma_f64 v[10:11], v[16:17], v[10:11], v[24:25]
	ds_load_b64 v[24:25], v3 offset:8
.LBB79_55:                              ;   Parent Loop BB79_15 Depth=1
                                        ;     Parent Loop BB79_24 Depth=2
                                        ;       Parent Loop BB79_37 Depth=3
                                        ; =>      This Inner Loop Header: Depth=4
	s_waitcnt lgkmcnt(0)
	v_add_f64 v[26:27], v[24:25], v[10:11]
	ds_cmpstore_rtn_b64 v[26:27], v3, v[26:27], v[24:25] offset:8
	s_waitcnt lgkmcnt(0)
	v_cmp_eq_u64_e32 vcc_lo, v[26:27], v[24:25]
	v_dual_mov_b32 v24, v26 :: v_dual_mov_b32 v25, v27
	s_or_b32 s13, vcc_lo, s13
	s_delay_alu instid0(SALU_CYCLE_1)
	s_and_not1_b32 exec_lo, exec_lo, s13
	s_cbranch_execnz .LBB79_55
	s_branch .LBB79_35
.LBB79_56:                              ;   in Loop: Header=BB79_24 Depth=2
	s_or_b32 exec_lo, exec_lo, s56
.LBB79_57:                              ;   in Loop: Header=BB79_24 Depth=2
	s_delay_alu instid0(SALU_CYCLE_1)
	s_or_b32 exec_lo, exec_lo, s55
.LBB79_58:                              ;   in Loop: Header=BB79_24 Depth=2
	s_delay_alu instid0(SALU_CYCLE_1)
	s_or_b32 exec_lo, exec_lo, s54
	s_waitcnt lgkmcnt(0)
	s_barrier
	buffer_gl0_inv
	s_and_saveexec_b32 s13, s12
	s_cbranch_execz .LBB79_23
; %bb.59:                               ;   in Loop: Header=BB79_24 Depth=2
	v_lshlrev_b64 v[1:2], 2, v[8:9]
	s_delay_alu instid0(VALU_DEP_1) | instskip(NEXT) | instid1(VALU_DEP_2)
	v_add_co_u32 v1, vcc_lo, s34, v1
	v_add_co_ci_u32_e32 v2, vcc_lo, s35, v2, vcc_lo
	global_store_b32 v[1:2], v52, off
	s_branch .LBB79_23
.LBB79_60:                              ;   in Loop: Header=BB79_24 Depth=2
                                        ; implicit-def: $vgpr52
	s_branch .LBB79_32
.LBB79_61:                              ;   in Loop: Header=BB79_15 Depth=1
	s_and_not1_b32 vcc_lo, exec_lo, s33
	s_cbranch_vccnz .LBB79_76
; %bb.62:                               ;   in Loop: Header=BB79_15 Depth=1
	s_load_b64 s[12:13], s[18:19], 0x0
	s_waitcnt lgkmcnt(0)
	v_add_nc_u32_e32 v1, s12, v35
	s_sub_i32 s53, s13, s31
	s_mov_b32 s13, exec_lo
	s_delay_alu instid0(VALU_DEP_1)
	v_cmpx_gt_i32_e64 s53, v1
	s_cbranch_execz .LBB79_75
; %bb.63:                               ;   in Loop: Header=BB79_15 Depth=1
	s_mov_b32 s54, 0
	s_branch .LBB79_66
.LBB79_64:                              ;   in Loop: Header=BB79_66 Depth=2
	s_or_b32 exec_lo, exec_lo, s55
	s_delay_alu instid0(SALU_CYCLE_1)
	s_or_b32 s11, s11, exec_lo
.LBB79_65:                              ;   in Loop: Header=BB79_66 Depth=2
	s_or_b32 exec_lo, exec_lo, s12
	v_add_nc_u32_e32 v1, 4, v1
	s_xor_b32 s11, s11, -1
	s_delay_alu instid0(VALU_DEP_1) | instskip(SKIP_1) | instid1(SALU_CYCLE_1)
	v_cmp_le_i32_e32 vcc_lo, s53, v1
	s_or_b32 s11, vcc_lo, s11
	s_and_b32 s11, exec_lo, s11
	s_delay_alu instid0(SALU_CYCLE_1) | instskip(NEXT) | instid1(SALU_CYCLE_1)
	s_or_b32 s54, s11, s54
	s_and_not1_b32 exec_lo, exec_lo, s54
	s_cbranch_execz .LBB79_74
.LBB79_66:                              ;   Parent Loop BB79_15 Depth=1
                                        ; =>  This Loop Header: Depth=2
                                        ;       Child Loop BB79_71 Depth 3
                                        ;       Child Loop BB79_73 Depth 3
	v_ashrrev_i32_e32 v2, 31, v1
	s_delay_alu instid0(VALU_DEP_1) | instskip(NEXT) | instid1(VALU_DEP_1)
	v_lshlrev_b64 v[2:3], 2, v[1:2]
	v_add_co_u32 v2, vcc_lo, s14, v2
	s_delay_alu instid0(VALU_DEP_2) | instskip(SKIP_3) | instid1(VALU_DEP_1)
	v_add_co_ci_u32_e32 v3, vcc_lo, s15, v3, vcc_lo
	global_load_b32 v2, v[2:3], off
	s_waitcnt vmcnt(0)
	v_subrev_nc_u32_e32 v2, s31, v2
	v_cmp_lt_i32_e64 s11, v2, v49
	v_cmp_ge_i32_e64 s12, v2, v50
	v_cmp_lt_i32_e32 vcc_lo, v2, v50
	s_delay_alu instid0(VALU_DEP_2) | instskip(NEXT) | instid1(SALU_CYCLE_1)
	s_or_b32 s12, s11, s12
                                        ; implicit-def: $sgpr11
	s_and_saveexec_b32 s55, s12
	s_delay_alu instid0(SALU_CYCLE_1)
	s_xor_b32 s12, exec_lo, s55
; %bb.67:                               ;   in Loop: Header=BB79_66 Depth=2
	v_min_i32_e32 v2, v2, v51
	s_and_b32 s11, vcc_lo, exec_lo
	s_delay_alu instid0(VALU_DEP_1)
	v_cndmask_b32_e32 v51, v2, v51, vcc_lo
                                        ; implicit-def: $vgpr2
; %bb.68:                               ;   in Loop: Header=BB79_66 Depth=2
	s_and_not1_saveexec_b32 s12, s12
	s_cbranch_execz .LBB79_65
; %bb.69:                               ;   in Loop: Header=BB79_66 Depth=2
	v_sub_nc_u32_e32 v24, v2, v49
	s_delay_alu instid0(VALU_DEP_1)
	v_lshlrev_b32_e32 v2, 2, v24
	ds_store_b32 v2, v47 offset:36864
	s_and_saveexec_b32 s55, s8
	s_cbranch_execz .LBB79_64
; %bb.70:                               ;   in Loop: Header=BB79_66 Depth=2
	v_mad_u64_u32 v[2:3], null, v1, s38, v[22:23]
	s_mov_b32 s56, 0
	s_delay_alu instid0(VALU_DEP_1) | instskip(SKIP_1) | instid1(VALU_DEP_1)
	v_mad_u64_u32 v[8:9], null, v2, s38, v[23:24]
	v_lshlrev_b32_e32 v24, 6, v24
	v_or3_b32 v24, v24, v32, v20
	s_delay_alu instid0(VALU_DEP_3) | instskip(NEXT) | instid1(VALU_DEP_2)
	v_ashrrev_i32_e32 v9, 31, v8
	v_lshlrev_b32_e32 v26, 4, v24
	s_delay_alu instid0(VALU_DEP_2)
	v_lshlrev_b64 v[2:3], 4, v[8:9]
	ds_load_b64 v[24:25], v26
	v_add_co_u32 v2, vcc_lo, s16, v2
	v_add_co_ci_u32_e32 v3, vcc_lo, s17, v3, vcc_lo
	global_load_b128 v[8:11], v[2:3], off
	s_waitcnt vmcnt(0)
	v_mul_f64 v[2:3], v[10:11], -v[12:13]
	s_delay_alu instid0(VALU_DEP_1)
	v_fma_f64 v[2:3], v[18:19], v[8:9], v[2:3]
.LBB79_71:                              ;   Parent Loop BB79_15 Depth=1
                                        ;     Parent Loop BB79_66 Depth=2
                                        ; =>    This Inner Loop Header: Depth=3
	s_waitcnt lgkmcnt(0)
	s_delay_alu instid0(VALU_DEP_1)
	v_add_f64 v[27:28], v[24:25], v[2:3]
	ds_cmpstore_rtn_b64 v[27:28], v26, v[27:28], v[24:25]
	s_waitcnt lgkmcnt(0)
	v_cmp_eq_u64_e32 vcc_lo, v[27:28], v[24:25]
	v_dual_mov_b32 v24, v27 :: v_dual_mov_b32 v25, v28
	s_or_b32 s56, vcc_lo, s56
	s_delay_alu instid0(SALU_CYCLE_1)
	s_and_not1_b32 exec_lo, exec_lo, s56
	s_cbranch_execnz .LBB79_71
; %bb.72:                               ;   in Loop: Header=BB79_66 Depth=2
	s_or_b32 exec_lo, exec_lo, s56
	v_mul_f64 v[2:3], v[18:19], v[10:11]
	s_mov_b32 s56, 0
	s_delay_alu instid0(VALU_DEP_1)
	v_fma_f64 v[2:3], v[12:13], v[8:9], v[2:3]
	ds_load_b64 v[8:9], v26 offset:8
.LBB79_73:                              ;   Parent Loop BB79_15 Depth=1
                                        ;     Parent Loop BB79_66 Depth=2
                                        ; =>    This Inner Loop Header: Depth=3
	s_waitcnt lgkmcnt(0)
	v_add_f64 v[10:11], v[8:9], v[2:3]
	ds_cmpstore_rtn_b64 v[10:11], v26, v[10:11], v[8:9] offset:8
	s_waitcnt lgkmcnt(0)
	v_cmp_eq_u64_e32 vcc_lo, v[10:11], v[8:9]
	v_dual_mov_b32 v8, v10 :: v_dual_mov_b32 v9, v11
	s_or_b32 s56, vcc_lo, s56
	s_delay_alu instid0(SALU_CYCLE_1)
	s_and_not1_b32 exec_lo, exec_lo, s56
	s_cbranch_execnz .LBB79_73
	s_branch .LBB79_64
.LBB79_74:                              ;   in Loop: Header=BB79_15 Depth=1
	s_or_b32 exec_lo, exec_lo, s54
.LBB79_75:                              ;   in Loop: Header=BB79_15 Depth=1
	s_delay_alu instid0(SALU_CYCLE_1)
	s_or_b32 exec_lo, exec_lo, s13
.LBB79_76:                              ;   in Loop: Header=BB79_15 Depth=1
	s_and_saveexec_b32 s11, s2
	s_cbranch_execz .LBB79_81
; %bb.77:                               ;   in Loop: Header=BB79_15 Depth=1
	s_mov_b32 s13, exec_lo
	s_brev_b32 s12, -2
.LBB79_78:                              ;   Parent Loop BB79_15 Depth=1
                                        ; =>  This Inner Loop Header: Depth=2
	s_ctz_i32_b32 s53, s13
	s_delay_alu instid0(SALU_CYCLE_1) | instskip(SKIP_1) | instid1(SALU_CYCLE_1)
	v_readlane_b32 s54, v51, s53
	s_lshl_b32 s53, 1, s53
	s_and_not1_b32 s13, s13, s53
	s_delay_alu instid0(VALU_DEP_1)
	s_min_i32 s12, s12, s54
	s_cmp_lg_u32 s13, 0
	s_cbranch_scc1 .LBB79_78
; %bb.79:                               ;   in Loop: Header=BB79_15 Depth=1
	v_mbcnt_lo_u32_b32 v1, exec_lo, 0
	s_mov_b32 s13, exec_lo
	s_delay_alu instid0(VALU_DEP_1)
	v_cmpx_eq_u32_e32 0, v1
	s_xor_b32 s13, exec_lo, s13
	s_cbranch_execz .LBB79_81
; %bb.80:                               ;   in Loop: Header=BB79_15 Depth=1
	v_mov_b32_e32 v1, s12
	ds_min_i32 v46, v1 offset:36992
.LBB79_81:                              ;   in Loop: Header=BB79_15 Depth=1
	s_or_b32 exec_lo, exec_lo, s11
	s_waitcnt lgkmcnt(0)
	s_waitcnt_vscnt null, 0x0
	s_barrier
	buffer_gl0_inv
	ds_load_b32 v1, v36
	s_waitcnt lgkmcnt(0)
	s_barrier
	buffer_gl0_inv
	s_and_saveexec_b32 s11, s3
	s_cbranch_execz .LBB79_83
; %bb.82:                               ;   in Loop: Header=BB79_15 Depth=1
	ds_load_b32 v2, v37
	s_waitcnt lgkmcnt(0)
	v_add_nc_u32_e32 v1, v2, v1
.LBB79_83:                              ;   in Loop: Header=BB79_15 Depth=1
	s_or_b32 exec_lo, exec_lo, s11
	s_barrier
	buffer_gl0_inv
	ds_store_b32 v36, v1
	s_waitcnt lgkmcnt(0)
	s_barrier
	buffer_gl0_inv
	s_and_saveexec_b32 s11, s4
	s_cbranch_execz .LBB79_85
; %bb.84:                               ;   in Loop: Header=BB79_15 Depth=1
	ds_load_b32 v2, v38
	s_waitcnt lgkmcnt(0)
	v_add_nc_u32_e32 v1, v2, v1
.LBB79_85:                              ;   in Loop: Header=BB79_15 Depth=1
	s_or_b32 exec_lo, exec_lo, s11
	s_barrier
	buffer_gl0_inv
	ds_store_b32 v36, v1
	;; [unrolled: 14-line block ×5, first 2 shown]
	s_waitcnt lgkmcnt(0)
	s_barrier
	buffer_gl0_inv
	ds_load_b32 v3, v46 offset:36988
	v_mov_b32_e32 v2, 0
	s_and_saveexec_b32 s11, s39
	s_cbranch_execz .LBB79_93
; %bb.92:                               ;   in Loop: Header=BB79_15 Depth=1
	ds_load_b32 v2, v37
.LBB79_93:                              ;   in Loop: Header=BB79_15 Depth=1
	s_or_b32 exec_lo, exec_lo, s11
	s_waitcnt lgkmcnt(0)
	v_cmp_eq_u32_e32 vcc_lo, v1, v2
	s_barrier
	buffer_gl0_inv
	s_and_b32 s12, s39, vcc_lo
	s_delay_alu instid0(SALU_CYCLE_1)
	s_and_saveexec_b32 s11, s12
	s_cbranch_execz .LBB79_95
; %bb.94:                               ;   in Loop: Header=BB79_15 Depth=1
	ds_store_b32 v36, v46
.LBB79_95:                              ;   in Loop: Header=BB79_15 Depth=1
	s_or_b32 exec_lo, exec_lo, s11
	v_dual_mov_b32 v11, v31 :: v_dual_add_nc_u32 v8, -1, v45
	v_dual_mov_b32 v10, v44 :: v_dual_add_nc_u32 v9, s30, v49
	v_mov_b32_e32 v24, v30
	s_mov_b32 s11, 0
	s_waitcnt lgkmcnt(0)
	s_barrier
	buffer_gl0_inv
	s_set_inst_prefetch_distance 0x1
	s_branch .LBB79_97
	.p2align	6
.LBB79_96:                              ;   in Loop: Header=BB79_97 Depth=2
	s_or_b32 exec_lo, exec_lo, s12
	v_add_nc_u32_e32 v1, 4, v24
	v_cmp_lt_u32_e32 vcc_lo, 27, v24
	v_add_nc_u32_e32 v11, 0x1000, v11
	v_add_nc_u32_e32 v10, 16, v10
	s_delay_alu instid0(VALU_DEP_4) | instskip(SKIP_1) | instid1(SALU_CYCLE_1)
	v_mov_b32_e32 v24, v1
	s_or_b32 s11, vcc_lo, s11
	s_and_not1_b32 exec_lo, exec_lo, s11
	s_cbranch_execz .LBB79_14
.LBB79_97:                              ;   Parent Loop BB79_15 Depth=1
                                        ; =>  This Inner Loop Header: Depth=2
	ds_load_b32 v1, v10
	s_mov_b32 s12, exec_lo
	s_waitcnt lgkmcnt(0)
	v_cmpx_ne_u32_e32 0, v1
	s_cbranch_execz .LBB79_96
; %bb.98:                               ;   in Loop: Header=BB79_97 Depth=2
	v_add_nc_u32_e32 v1, v8, v1
	s_delay_alu instid0(VALU_DEP_1) | instskip(NEXT) | instid1(VALU_DEP_1)
	v_ashrrev_i32_e32 v2, 31, v1
	v_lshlrev_b64 v[25:26], 2, v[1:2]
	v_add_nc_u32_e32 v2, v9, v24
	s_delay_alu instid0(VALU_DEP_2) | instskip(NEXT) | instid1(VALU_DEP_3)
	v_add_co_u32 v25, vcc_lo, s40, v25
	v_add_co_ci_u32_e32 v26, vcc_lo, s41, v26, vcc_lo
	global_store_b32 v[25:26], v2, off
	s_and_b32 exec_lo, exec_lo, s8
	s_cbranch_execz .LBB79_96
; %bb.99:                               ;   in Loop: Header=BB79_97 Depth=2
	v_mad_u64_u32 v[25:26], null, v1, s38, v[22:23]
	s_delay_alu instid0(VALU_DEP_1) | instskip(SKIP_2) | instid1(VALU_DEP_1)
	v_mad_u64_u32 v[1:2], null, v25, s38, v[23:24]
	ds_load_2addr_b64 v[25:28], v11 offset1:1
	v_ashrrev_i32_e32 v2, 31, v1
	v_lshlrev_b64 v[1:2], 4, v[1:2]
	s_delay_alu instid0(VALU_DEP_1) | instskip(NEXT) | instid1(VALU_DEP_2)
	v_add_co_u32 v1, vcc_lo, s42, v1
	v_add_co_ci_u32_e32 v2, vcc_lo, s43, v2, vcc_lo
	s_waitcnt lgkmcnt(0)
	global_store_b128 v[1:2], v[25:28], off
	s_branch .LBB79_96
.LBB79_100:
	s_endpgm
	.section	.rodata,"a",@progbits
	.p2align	6, 0x0
	.amdhsa_kernel _ZN9rocsparseL38bsrgemm_block_per_row_atomic_multipassILj256ELj32ELj8Eii21rocsparse_complex_numIdEEEv20rocsparse_direction_T3_S4_PKS4_S6_NS_24const_host_device_scalarIT4_EEPKT2_S6_PKS8_SC_S6_SE_S9_SC_S6_SE_SC_PS4_PS8_PSA_21rocsparse_index_base_SI_SI_SI_bbb
		.amdhsa_group_segment_fixed_size 41096
		.amdhsa_private_segment_fixed_size 0
		.amdhsa_kernarg_size 188
		.amdhsa_user_sgpr_count 15
		.amdhsa_user_sgpr_dispatch_ptr 1
		.amdhsa_user_sgpr_queue_ptr 0
		.amdhsa_user_sgpr_kernarg_segment_ptr 1
		.amdhsa_user_sgpr_dispatch_id 0
		.amdhsa_user_sgpr_private_segment_size 0
		.amdhsa_wavefront_size32 1
		.amdhsa_uses_dynamic_stack 0
		.amdhsa_enable_private_segment 0
		.amdhsa_system_sgpr_workgroup_id_x 1
		.amdhsa_system_sgpr_workgroup_id_y 0
		.amdhsa_system_sgpr_workgroup_id_z 0
		.amdhsa_system_sgpr_workgroup_info 0
		.amdhsa_system_vgpr_workitem_id 2
		.amdhsa_next_free_vgpr 63
		.amdhsa_next_free_sgpr 60
		.amdhsa_reserve_vcc 1
		.amdhsa_float_round_mode_32 0
		.amdhsa_float_round_mode_16_64 0
		.amdhsa_float_denorm_mode_32 3
		.amdhsa_float_denorm_mode_16_64 3
		.amdhsa_dx10_clamp 1
		.amdhsa_ieee_mode 1
		.amdhsa_fp16_overflow 0
		.amdhsa_workgroup_processor_mode 1
		.amdhsa_memory_ordered 1
		.amdhsa_forward_progress 0
		.amdhsa_shared_vgpr_count 0
		.amdhsa_exception_fp_ieee_invalid_op 0
		.amdhsa_exception_fp_denorm_src 0
		.amdhsa_exception_fp_ieee_div_zero 0
		.amdhsa_exception_fp_ieee_overflow 0
		.amdhsa_exception_fp_ieee_underflow 0
		.amdhsa_exception_fp_ieee_inexact 0
		.amdhsa_exception_int_div_zero 0
	.end_amdhsa_kernel
	.section	.text._ZN9rocsparseL38bsrgemm_block_per_row_atomic_multipassILj256ELj32ELj8Eii21rocsparse_complex_numIdEEEv20rocsparse_direction_T3_S4_PKS4_S6_NS_24const_host_device_scalarIT4_EEPKT2_S6_PKS8_SC_S6_SE_S9_SC_S6_SE_SC_PS4_PS8_PSA_21rocsparse_index_base_SI_SI_SI_bbb,"axG",@progbits,_ZN9rocsparseL38bsrgemm_block_per_row_atomic_multipassILj256ELj32ELj8Eii21rocsparse_complex_numIdEEEv20rocsparse_direction_T3_S4_PKS4_S6_NS_24const_host_device_scalarIT4_EEPKT2_S6_PKS8_SC_S6_SE_S9_SC_S6_SE_SC_PS4_PS8_PSA_21rocsparse_index_base_SI_SI_SI_bbb,comdat
.Lfunc_end79:
	.size	_ZN9rocsparseL38bsrgemm_block_per_row_atomic_multipassILj256ELj32ELj8Eii21rocsparse_complex_numIdEEEv20rocsparse_direction_T3_S4_PKS4_S6_NS_24const_host_device_scalarIT4_EEPKT2_S6_PKS8_SC_S6_SE_S9_SC_S6_SE_SC_PS4_PS8_PSA_21rocsparse_index_base_SI_SI_SI_bbb, .Lfunc_end79-_ZN9rocsparseL38bsrgemm_block_per_row_atomic_multipassILj256ELj32ELj8Eii21rocsparse_complex_numIdEEEv20rocsparse_direction_T3_S4_PKS4_S6_NS_24const_host_device_scalarIT4_EEPKT2_S6_PKS8_SC_S6_SE_S9_SC_S6_SE_SC_PS4_PS8_PSA_21rocsparse_index_base_SI_SI_SI_bbb
                                        ; -- End function
	.section	.AMDGPU.csdata,"",@progbits
; Kernel info:
; codeLenInByte = 3992
; NumSgprs: 62
; NumVgprs: 63
; ScratchSize: 0
; MemoryBound: 0
; FloatMode: 240
; IeeeMode: 1
; LDSByteSize: 41096 bytes/workgroup (compile time only)
; SGPRBlocks: 7
; VGPRBlocks: 7
; NumSGPRsForWavesPerEU: 62
; NumVGPRsForWavesPerEU: 63
; Occupancy: 6
; WaveLimiterHint : 1
; COMPUTE_PGM_RSRC2:SCRATCH_EN: 0
; COMPUTE_PGM_RSRC2:USER_SGPR: 15
; COMPUTE_PGM_RSRC2:TRAP_HANDLER: 0
; COMPUTE_PGM_RSRC2:TGID_X_EN: 1
; COMPUTE_PGM_RSRC2:TGID_Y_EN: 0
; COMPUTE_PGM_RSRC2:TGID_Z_EN: 0
; COMPUTE_PGM_RSRC2:TIDIG_COMP_CNT: 2
	.section	.text._ZN9rocsparseL31bsrgemm_block_per_row_multipassILj256ELj8ELj16Eii21rocsparse_complex_numIdEEEv20rocsparse_direction_T3_S4_PKS4_S6_NS_24const_host_device_scalarIT4_EEPKT2_S6_PKS8_SC_S6_SE_S9_SC_S6_SE_SC_PS4_PS8_PSA_21rocsparse_index_base_SI_SI_SI_bbb,"axG",@progbits,_ZN9rocsparseL31bsrgemm_block_per_row_multipassILj256ELj8ELj16Eii21rocsparse_complex_numIdEEEv20rocsparse_direction_T3_S4_PKS4_S6_NS_24const_host_device_scalarIT4_EEPKT2_S6_PKS8_SC_S6_SE_S9_SC_S6_SE_SC_PS4_PS8_PSA_21rocsparse_index_base_SI_SI_SI_bbb,comdat
	.globl	_ZN9rocsparseL31bsrgemm_block_per_row_multipassILj256ELj8ELj16Eii21rocsparse_complex_numIdEEEv20rocsparse_direction_T3_S4_PKS4_S6_NS_24const_host_device_scalarIT4_EEPKT2_S6_PKS8_SC_S6_SE_S9_SC_S6_SE_SC_PS4_PS8_PSA_21rocsparse_index_base_SI_SI_SI_bbb ; -- Begin function _ZN9rocsparseL31bsrgemm_block_per_row_multipassILj256ELj8ELj16Eii21rocsparse_complex_numIdEEEv20rocsparse_direction_T3_S4_PKS4_S6_NS_24const_host_device_scalarIT4_EEPKT2_S6_PKS8_SC_S6_SE_S9_SC_S6_SE_SC_PS4_PS8_PSA_21rocsparse_index_base_SI_SI_SI_bbb
	.p2align	8
	.type	_ZN9rocsparseL31bsrgemm_block_per_row_multipassILj256ELj8ELj16Eii21rocsparse_complex_numIdEEEv20rocsparse_direction_T3_S4_PKS4_S6_NS_24const_host_device_scalarIT4_EEPKT2_S6_PKS8_SC_S6_SE_S9_SC_S6_SE_SC_PS4_PS8_PSA_21rocsparse_index_base_SI_SI_SI_bbb,@function
_ZN9rocsparseL31bsrgemm_block_per_row_multipassILj256ELj8ELj16Eii21rocsparse_complex_numIdEEEv20rocsparse_direction_T3_S4_PKS4_S6_NS_24const_host_device_scalarIT4_EEPKT2_S6_PKS8_SC_S6_SE_S9_SC_S6_SE_SC_PS4_PS8_PSA_21rocsparse_index_base_SI_SI_SI_bbb: ; @_ZN9rocsparseL31bsrgemm_block_per_row_multipassILj256ELj8ELj16Eii21rocsparse_complex_numIdEEEv20rocsparse_direction_T3_S4_PKS4_S6_NS_24const_host_device_scalarIT4_EEPKT2_S6_PKS8_SC_S6_SE_S9_SC_S6_SE_SC_PS4_PS8_PSA_21rocsparse_index_base_SI_SI_SI_bbb
; %bb.0:
	s_mov_b32 s38, s15
	s_load_b32 s12, s[2:3], 0xb8
	s_load_b64 s[14:15], s[0:1], 0x4
	v_and_b32_e32 v28, 0x3ff, v0
	s_clause 0x1
	s_load_b128 s[8:11], s[2:3], 0x20
	s_load_b128 s[4:7], s[2:3], 0x60
	v_mov_b32_e32 v6, 0
	v_mov_b32_e32 v7, 0
	v_bfe_u32 v2, v0, 10, 10
	s_load_b128 s[20:23], s[2:3], 0xa8
	v_bfe_u32 v0, v0, 20, 10
	s_delay_alu instid0(VALU_DEP_3)
	v_dual_mov_b32 v4, v6 :: v_dual_mov_b32 v5, v7
	v_dual_mov_b32 v9, v7 :: v_dual_mov_b32 v8, v6
	s_waitcnt lgkmcnt(0)
	s_bitcmp1_b32 s12, 0
	s_cselect_b32 s42, -1, 0
	s_bitcmp1_b32 s12, 16
	v_mov_b32_e32 v11, s5
	s_cselect_b32 s0, -1, 0
	s_lshr_b32 s1, s14, 16
	s_delay_alu instid0(SALU_CYCLE_1) | instskip(NEXT) | instid1(SALU_CYCLE_1)
	s_mul_i32 s1, s1, s15
	v_mul_lo_u32 v1, s1, v28
	s_xor_b32 s1, s0, -1
	s_bitcmp0_b32 s12, 0
	s_delay_alu instid0(VALU_DEP_1) | instskip(NEXT) | instid1(VALU_DEP_1)
	v_mad_u32_u24 v1, v2, s15, v1
	v_add_lshl_u32 v0, v1, v0, 3
	v_dual_mov_b32 v1, s8 :: v_dual_mov_b32 v2, s9
	s_delay_alu instid0(VALU_DEP_2)
	v_dual_mov_b32 v10, s4 :: v_dual_add_nc_u32 v3, 8, v0
	ds_store_2addr_stride64_b64 v3, v[10:11], v[1:2] offset0:64 offset1:68
	s_cbranch_scc1 .LBB80_3
; %bb.1:
	s_mov_b64 s[14:15], src_shared_base
	s_and_b32 s13, s0, exec_lo
	s_cselect_b32 s13, s15, s9
	s_delay_alu instid0(SALU_CYCLE_1) | instskip(SKIP_2) | instid1(VALU_DEP_2)
	v_dual_mov_b32 v2, s13 :: v_dual_add_nc_u32 v1, 0x8808, v0
	v_dual_mov_b32 v8, s10 :: v_dual_mov_b32 v9, s11
	s_and_not1_b32 vcc_lo, exec_lo, s1
	v_cndmask_b32_e64 v1, s8, v1, s0
	flat_load_b64 v[4:5], v[1:2]
	s_cbranch_vccnz .LBB80_3
; %bb.2:
	v_dual_mov_b32 v1, s8 :: v_dual_mov_b32 v2, s9
	flat_load_b64 v[8:9], v[1:2] offset:8
.LBB80_3:
	s_load_b64 s[8:9], s[2:3], 0x18
	s_bitcmp1_b32 s12, 8
	v_dual_mov_b32 v11, v7 :: v_dual_mov_b32 v10, v6
	s_cselect_b32 s33, -1, 0
	s_bfe_u32 s10, s12, 0x10008
	s_delay_alu instid0(SALU_CYCLE_1)
	s_cmp_eq_u32 s10, 0
	s_cbranch_scc1 .LBB80_6
; %bb.4:
	s_mov_b64 s[10:11], src_shared_base
	s_and_b32 s10, s0, exec_lo
	s_cselect_b32 s10, s11, s5
	s_delay_alu instid0(SALU_CYCLE_1) | instskip(SKIP_2) | instid1(VALU_DEP_2)
	v_dual_mov_b32 v1, s10 :: v_dual_add_nc_u32 v0, 0x8008, v0
	v_dual_mov_b32 v6, s6 :: v_dual_mov_b32 v7, s7
	s_and_not1_b32 vcc_lo, exec_lo, s1
	v_cndmask_b32_e64 v0, s4, v0, s0
	flat_load_b64 v[10:11], v[0:1]
	s_cbranch_vccnz .LBB80_6
; %bb.5:
	v_dual_mov_b32 v0, s4 :: v_dual_mov_b32 v1, s5
	flat_load_b64 v[6:7], v[0:1] offset:8
.LBB80_6:
	s_load_b64 s[0:1], s[2:3], 0x30
	s_waitcnt lgkmcnt(0)
	s_cmp_eq_u64 s[8:9], 0
	s_cbranch_scc1 .LBB80_8
; %bb.7:
	s_load_b64 s[4:5], s[2:3], 0x10
	s_waitcnt lgkmcnt(0)
	s_load_b32 s4, s[4:5], 0x0
	s_mov_b32 s5, 0
	s_waitcnt lgkmcnt(0)
	s_add_i32 s4, s4, s38
	s_delay_alu instid0(SALU_CYCLE_1) | instskip(NEXT) | instid1(SALU_CYCLE_1)
	s_lshl_b64 s[4:5], s[4:5], 2
	s_add_u32 s4, s8, s4
	s_addc_u32 s5, s9, s5
	s_load_b32 s38, s[4:5], 0x0
.LBB80_8:
	s_mov_b32 s46, 0
	s_and_not1_b32 vcc_lo, exec_lo, s42
	s_mov_b32 s47, 0
	s_cbranch_vccz .LBB80_11
; %bb.9:
	s_and_not1_b32 vcc_lo, exec_lo, s42
	s_cbranch_vccz .LBB80_12
.LBB80_10:
	s_load_b128 s[24:27], s[2:3], 0x0
	s_waitcnt lgkmcnt(0)
	s_cmp_lt_i32 s25, 1
	s_cbranch_scc0 .LBB80_13
	s_branch .LBB80_93
.LBB80_11:
	s_waitcnt lgkmcnt(0)
	s_ashr_i32 s39, s38, 31
	s_delay_alu instid0(SALU_CYCLE_1) | instskip(NEXT) | instid1(SALU_CYCLE_1)
	s_lshl_b64 s[4:5], s[38:39], 2
	s_add_u32 s4, s0, s4
	s_addc_u32 s5, s1, s5
	s_load_b32 s4, s[4:5], 0x0
	s_waitcnt lgkmcnt(0)
	s_sub_i32 s47, s4, s20
	s_and_not1_b32 vcc_lo, exec_lo, s42
	s_cbranch_vccnz .LBB80_10
.LBB80_12:
	s_waitcnt lgkmcnt(0)
	s_ashr_i32 s39, s38, 31
	s_delay_alu instid0(SALU_CYCLE_1) | instskip(NEXT) | instid1(SALU_CYCLE_1)
	s_lshl_b64 s[4:5], s[38:39], 2
	s_add_u32 s0, s0, s4
	s_addc_u32 s1, s1, s5
	s_load_b32 s0, s[0:1], 0x4
	s_waitcnt lgkmcnt(0)
	s_sub_i32 s46, s0, s20
	s_load_b128 s[24:27], s[2:3], 0x0
	s_waitcnt lgkmcnt(0)
	s_cmp_lt_i32 s25, 1
	s_cbranch_scc1 .LBB80_93
.LBB80_13:
	s_clause 0x4
	s_load_b256 s[4:11], s[2:3], 0x70
	s_load_b64 s[34:35], s[2:3], 0xa0
	s_load_b128 s[28:31], s[2:3], 0x90
	s_load_b64 s[40:41], s[2:3], 0x58
	s_load_b256 s[12:19], s[2:3], 0x38
	s_ashr_i32 s39, s38, 31
	s_mov_b32 s36, 0
	s_lshl_b64 s[44:45], s[38:39], 2
	v_lshrrev_b32_e32 v15, 4, v28
	s_mov_b32 s37, s36
	s_mov_b32 s38, s36
	s_mov_b32 s39, s36
	v_and_b32_e32 v12, 15, v28
	v_dual_mov_b32 v0, s36 :: v_dual_and_b32 v29, 0xf0, v28
	v_mov_b32_e32 v1, s37
	v_mad_u64_u32 v[16:17], null, s47, s26, v[15:16]
	s_delay_alu instid0(VALU_DEP_4) | instskip(NEXT) | instid1(VALU_DEP_4)
	v_cmp_gt_u32_e32 vcc_lo, s26, v12
	v_or_b32_e32 v14, v29, v12
	s_waitcnt lgkmcnt(0)
	s_add_u32 s2, s10, s44
	s_addc_u32 s3, s11, s45
	v_dual_mov_b32 v3, s39 :: v_dual_lshlrev_b32 v30, 4, v28
	s_load_b32 s3, s[2:3], 0x0
	v_cmp_gt_i32_e64 s2, s26, v15
	v_dual_mov_b32 v2, s38 :: v_dual_lshlrev_b32 v17, 4, v14
	v_or_b32_e32 v13, 0x400, v28
	s_mul_i32 s27, s26, s26
	v_mul_lo_u32 v32, s26, v16
	v_cmp_gt_u32_e64 s0, 8, v28
	v_or_b32_e32 v31, 0x4000, v30
	v_cmp_gt_u32_e64 s1, 0x700, v13
	v_mad_u64_u32 v[13:14], null, s47, s27, v[15:16]
	v_or_b32_e32 v33, 0x1000, v17
	v_or_b32_e32 v34, 0x2000, v17
	;; [unrolled: 1-line block ×6, first 2 shown]
	v_dual_mov_b32 v17, 0 :: v_dual_mov_b32 v40, 1
	s_waitcnt lgkmcnt(0)
	s_sub_i32 s10, s3, s22
	s_cmp_lt_i32 s47, s46
	s_mov_b32 s55, 8
	s_cselect_b32 s3, -1, 0
	s_and_b32 s37, vcc_lo, s2
	s_cmp_eq_u32 s24, 0
	s_cselect_b32 vcc_lo, -1, 0
	s_cmp_lg_u32 s24, 0
	v_dual_cndmask_b32 v14, v12, v15 :: v_dual_cndmask_b32 v15, v15, v12
	s_cselect_b32 s24, -1, 0
	s_cmp_gt_i32 s26, 0
	s_cselect_b32 s48, -1, 0
	s_add_u32 s4, s4, s44
	s_addc_u32 s5, s5, s45
	s_and_b32 s49, s42, s3
	s_add_u32 s50, s16, 4
	v_cndmask_b32_e64 v39, 0, 1, s48
	s_addc_u32 s51, s17, 0
	s_add_u32 s52, s14, 8
	s_addc_u32 s53, s15, 0
	s_sub_i32 s54, 1, s23
	s_branch .LBB80_16
.LBB80_14:                              ;   in Loop: Header=BB80_16 Depth=1
	s_or_b32 exec_lo, exec_lo, s3
	s_add_i32 s11, s11, 1
.LBB80_15:                              ;   in Loop: Header=BB80_16 Depth=1
	s_min_i32 s36, s39, s25
	s_add_i32 s10, s11, s10
	s_add_i32 s55, s36, 8
	s_cmp_lt_i32 s39, s25
	s_waitcnt_vscnt null, 0x0
	s_barrier
	buffer_gl0_inv
	s_barrier
	buffer_gl0_inv
	s_cbranch_scc0 .LBB80_93
.LBB80_16:                              ; =>This Loop Header: Depth=1
                                        ;     Child Loop BB80_22 Depth 2
                                        ;       Child Loop BB80_27 Depth 3
                                        ;         Child Loop BB80_36 Depth 4
                                        ;         Child Loop BB80_41 Depth 4
                                        ;     Child Loop BB80_53 Depth 2
	s_and_saveexec_b32 s2, s0
	s_cbranch_execz .LBB80_18
; %bb.17:                               ;   in Loop: Header=BB80_16 Depth=1
	ds_store_b8 v28, v17 offset:32768
.LBB80_18:                              ;   in Loop: Header=BB80_16 Depth=1
	s_or_b32 exec_lo, exec_lo, s2
	ds_store_b128 v30, v[0:3]
	ds_store_b128 v30, v[0:3] offset:4096
	ds_store_b128 v30, v[0:3] offset:8192
	;; [unrolled: 1-line block ×4, first 2 shown]
	s_and_saveexec_b32 s2, s1
	s_delay_alu instid0(SALU_CYCLE_1)
	s_xor_b32 s2, exec_lo, s2
	s_cbranch_execz .LBB80_20
; %bb.19:                               ;   in Loop: Header=BB80_16 Depth=1
	ds_store_b128 v30, v[0:3] offset:20480
	ds_store_b128 v30, v[0:3] offset:24576
	;; [unrolled: 1-line block ×3, first 2 shown]
.LBB80_20:                              ;   in Loop: Header=BB80_16 Depth=1
	s_or_b32 exec_lo, exec_lo, s2
	s_delay_alu instid0(SALU_CYCLE_1)
	s_and_not1_b32 vcc_lo, exec_lo, s49
	s_mov_b32 s39, s25
	s_waitcnt vmcnt(0) lgkmcnt(0)
	s_barrier
	buffer_gl0_inv
	s_cbranch_vccnz .LBB80_50
; %bb.21:                               ;   in Loop: Header=BB80_16 Depth=1
	v_dual_mov_b32 v18, v32 :: v_dual_mov_b32 v41, v13
	s_cmp_lg_u32 s36, 0
	s_mov_b32 s56, s25
	s_cselect_b32 s11, -1, 0
	s_mov_b32 s38, s47
.LBB80_22:                              ;   Parent Loop BB80_16 Depth=1
                                        ; =>  This Loop Header: Depth=2
                                        ;       Child Loop BB80_27 Depth 3
                                        ;         Child Loop BB80_36 Depth 4
                                        ;         Child Loop BB80_41 Depth 4
	s_delay_alu instid0(SALU_CYCLE_1) | instskip(NEXT) | instid1(SALU_CYCLE_1)
	s_ashr_i32 s39, s38, 31
	s_lshl_b64 s[42:43], s[38:39], 2
	s_delay_alu instid0(SALU_CYCLE_1)
	s_add_u32 s2, s12, s42
	s_addc_u32 s3, s13, s43
	s_and_b32 vcc_lo, exec_lo, s11
	s_load_b32 s2, s[2:3], 0x0
	s_waitcnt lgkmcnt(0)
	s_sub_i32 s2, s2, s20
	s_cbranch_vccz .LBB80_49
; %bb.23:                               ;   in Loop: Header=BB80_22 Depth=2
	s_add_u32 s44, s34, s42
	s_addc_u32 s45, s35, s43
	s_ashr_i32 s3, s2, 31
	global_load_b32 v16, v17, s[44:45]
	s_waitcnt vmcnt(0)
	v_readfirstlane_b32 s57, v16
	s_cbranch_execnz .LBB80_25
.LBB80_24:                              ;   in Loop: Header=BB80_22 Depth=2
	s_ashr_i32 s3, s2, 31
	s_delay_alu instid0(SALU_CYCLE_1) | instskip(NEXT) | instid1(SALU_CYCLE_1)
	s_lshl_b64 s[44:45], s[2:3], 2
	s_add_u32 s44, s16, s44
	s_addc_u32 s45, s17, s45
	s_load_b32 s39, s[44:45], 0x0
	s_waitcnt lgkmcnt(0)
	s_sub_i32 s57, s39, s21
.LBB80_25:                              ;   in Loop: Header=BB80_22 Depth=2
	s_lshl_b64 s[2:3], s[2:3], 2
	s_delay_alu instid0(SALU_CYCLE_1) | instskip(SKIP_4) | instid1(SALU_CYCLE_1)
	s_add_u32 s2, s50, s2
	s_addc_u32 s3, s51, s3
	s_load_b32 s2, s[2:3], 0x0
	s_waitcnt lgkmcnt(0)
	s_sub_i32 s3, s2, s21
	s_cmp_ge_i32 s57, s3
	s_cbranch_scc1 .LBB80_46
; %bb.26:                               ;   in Loop: Header=BB80_22 Depth=2
	v_ashrrev_i32_e32 v19, 31, v18
	v_mad_u64_u32 v[21:22], null, s26, s57, v[12:13]
	s_mov_b32 s44, s57
	s_delay_alu instid0(VALU_DEP_2) | instskip(SKIP_1) | instid1(VALU_DEP_3)
	v_lshlrev_b64 v[22:23], 4, v[18:19]
	v_mad_u64_u32 v[19:20], null, s27, s57, v[12:13]
	v_mul_lo_u32 v42, s26, v21
	s_delay_alu instid0(VALU_DEP_3) | instskip(NEXT) | instid1(VALU_DEP_4)
	v_add_co_u32 v20, vcc_lo, s52, v22
	v_add_co_ci_u32_e32 v21, vcc_lo, s53, v23, vcc_lo
.LBB80_27:                              ;   Parent Loop BB80_16 Depth=1
                                        ;     Parent Loop BB80_22 Depth=2
                                        ; =>    This Loop Header: Depth=3
                                        ;         Child Loop BB80_36 Depth 4
                                        ;         Child Loop BB80_41 Depth 4
	s_ashr_i32 s45, s44, 31
                                        ; implicit-def: $sgpr39
	s_delay_alu instid0(SALU_CYCLE_1) | instskip(NEXT) | instid1(SALU_CYCLE_1)
	s_lshl_b64 s[58:59], s[44:45], 2
	s_add_u32 s58, s18, s58
	s_addc_u32 s59, s19, s59
	s_load_b32 s2, s[58:59], 0x0
	s_mov_b32 s59, -1
                                        ; implicit-def: $sgpr58
	s_waitcnt lgkmcnt(0)
	s_sub_i32 s45, s2, s21
	s_delay_alu instid0(SALU_CYCLE_1) | instskip(SKIP_3) | instid1(SALU_CYCLE_1)
	s_cmp_lt_i32 s45, s36
	s_cselect_b32 s2, -1, 0
	s_cmp_ge_i32 s45, s55
	s_cselect_b32 s60, -1, 0
	s_or_b32 s2, s2, s60
	s_delay_alu instid0(SALU_CYCLE_1)
	s_and_b32 vcc_lo, exec_lo, s2
                                        ; implicit-def: $sgpr2
	s_cbranch_vccz .LBB80_31
; %bb.28:                               ;   in Loop: Header=BB80_27 Depth=3
	s_mov_b32 s58, -1
	s_and_not1_b32 vcc_lo, exec_lo, s60
	s_mov_b32 s39, s56
	s_mov_b32 s2, s57
	s_cbranch_vccnz .LBB80_30
; %bb.29:                               ;   in Loop: Header=BB80_27 Depth=3
	s_min_i32 s39, s45, s56
	s_mov_b32 s58, 0
	s_mov_b32 s2, s44
.LBB80_30:                              ;   in Loop: Header=BB80_27 Depth=3
	s_mov_b32 s59, 0
.LBB80_31:                              ;   in Loop: Header=BB80_27 Depth=3
	s_delay_alu instid0(SALU_CYCLE_1)
	s_and_not1_b32 vcc_lo, exec_lo, s59
	s_cbranch_vccnz .LBB80_44
; %bb.32:                               ;   in Loop: Header=BB80_27 Depth=3
	s_sub_i32 s45, s45, s36
	s_delay_alu instid0(SALU_CYCLE_1)
	v_mov_b32_e32 v16, s45
	ds_store_b8 v16, v40 offset:32768
	s_and_saveexec_b32 s39, s37
	s_cbranch_execz .LBB80_43
; %bb.33:                               ;   in Loop: Header=BB80_27 Depth=3
	v_cmp_ne_u32_e64 s2, 1, v39
	s_and_not1_b32 vcc_lo, exec_lo, s24
	s_cbranch_vccnz .LBB80_38
; %bb.34:                               ;   in Loop: Header=BB80_27 Depth=3
	v_mov_b32_e32 v22, 0
	v_mov_b32_e32 v23, 0
	s_and_b32 vcc_lo, exec_lo, s2
	s_delay_alu instid0(VALU_DEP_1)
	v_dual_mov_b32 v25, v23 :: v_dual_mov_b32 v24, v22
	s_cbranch_vccnz .LBB80_37
; %bb.35:                               ;   in Loop: Header=BB80_27 Depth=3
	v_mov_b32_e32 v22, 0
	v_dual_mov_b32 v23, 0 :: v_dual_mov_b32 v26, v41
	s_mov_b32 s2, 0
	s_delay_alu instid0(VALU_DEP_1)
	v_dual_mov_b32 v25, v23 :: v_dual_mov_b32 v24, v22
	.p2align	6
.LBB80_36:                              ;   Parent Loop BB80_16 Depth=1
                                        ;     Parent Loop BB80_22 Depth=2
                                        ;       Parent Loop BB80_27 Depth=3
                                        ; =>      This Inner Loop Header: Depth=4
	s_delay_alu instid0(VALU_DEP_2) | instskip(SKIP_2) | instid1(SALU_CYCLE_1)
	v_ashrrev_i32_e32 v27, 31, v26
	v_add_nc_u32_e32 v16, s2, v42
	s_add_i32 s2, s2, 1
	s_cmp_lg_u32 s26, s2
	s_delay_alu instid0(VALU_DEP_2) | instskip(NEXT) | instid1(VALU_DEP_2)
	v_lshlrev_b64 v[43:44], 4, v[26:27]
	v_lshlrev_b64 v[45:46], 4, v[16:17]
	v_add_nc_u32_e32 v26, s26, v26
	s_delay_alu instid0(VALU_DEP_3) | instskip(NEXT) | instid1(VALU_DEP_4)
	v_add_co_u32 v43, vcc_lo, s14, v43
	v_add_co_ci_u32_e32 v44, vcc_lo, s15, v44, vcc_lo
	s_delay_alu instid0(VALU_DEP_4)
	v_add_co_u32 v47, vcc_lo, s40, v45
	v_add_co_ci_u32_e32 v48, vcc_lo, s41, v46, vcc_lo
	global_load_b128 v[43:46], v[43:44], off
	global_load_b128 v[47:50], v[47:48], off
	s_waitcnt vmcnt(0)
	v_fma_f64 v[22:23], v[43:44], v[47:48], v[22:23]
	v_fma_f64 v[24:25], v[45:46], v[47:48], v[24:25]
	s_delay_alu instid0(VALU_DEP_2) | instskip(NEXT) | instid1(VALU_DEP_2)
	v_fma_f64 v[22:23], -v[45:46], v[49:50], v[22:23]
	v_fma_f64 v[24:25], v[43:44], v[49:50], v[24:25]
	s_cbranch_scc1 .LBB80_36
.LBB80_37:                              ;   in Loop: Header=BB80_27 Depth=3
	s_cbranch_execz .LBB80_39
	s_branch .LBB80_42
.LBB80_38:                              ;   in Loop: Header=BB80_27 Depth=3
                                        ; implicit-def: $vgpr22_vgpr23
                                        ; implicit-def: $vgpr24_vgpr25
.LBB80_39:                              ;   in Loop: Header=BB80_27 Depth=3
	v_mov_b32_e32 v22, 0
	v_mov_b32_e32 v23, 0
	s_and_not1_b32 vcc_lo, exec_lo, s48
	s_delay_alu instid0(VALU_DEP_1)
	v_dual_mov_b32 v25, v23 :: v_dual_mov_b32 v24, v22
	s_cbranch_vccnz .LBB80_42
; %bb.40:                               ;   in Loop: Header=BB80_27 Depth=3
	v_dual_mov_b32 v22, 0 :: v_dual_mov_b32 v27, v21
	v_dual_mov_b32 v23, 0 :: v_dual_mov_b32 v26, v20
	v_mov_b32_e32 v16, v19
	s_mov_b32 s2, s26
	s_delay_alu instid0(VALU_DEP_2)
	v_dual_mov_b32 v25, v23 :: v_dual_mov_b32 v24, v22
	.p2align	6
.LBB80_41:                              ;   Parent Loop BB80_16 Depth=1
                                        ;     Parent Loop BB80_22 Depth=2
                                        ;       Parent Loop BB80_27 Depth=3
                                        ; =>      This Inner Loop Header: Depth=4
	s_delay_alu instid0(VALU_DEP_2) | instskip(SKIP_2) | instid1(SALU_CYCLE_1)
	v_lshlrev_b64 v[43:44], 4, v[16:17]
	v_add_nc_u32_e32 v16, s26, v16
	s_add_i32 s2, s2, -1
	s_cmp_eq_u32 s2, 0
	s_delay_alu instid0(VALU_DEP_2) | instskip(NEXT) | instid1(VALU_DEP_3)
	v_add_co_u32 v47, vcc_lo, s40, v43
	v_add_co_ci_u32_e32 v48, vcc_lo, s41, v44, vcc_lo
	global_load_b128 v[43:46], v[26:27], off offset:-8
	global_load_b128 v[47:50], v[47:48], off
	v_add_co_u32 v26, vcc_lo, v26, 16
	v_add_co_ci_u32_e32 v27, vcc_lo, 0, v27, vcc_lo
	s_waitcnt vmcnt(0)
	v_fma_f64 v[22:23], v[43:44], v[47:48], v[22:23]
	v_fma_f64 v[24:25], v[45:46], v[47:48], v[24:25]
	s_delay_alu instid0(VALU_DEP_2) | instskip(NEXT) | instid1(VALU_DEP_2)
	v_fma_f64 v[22:23], -v[45:46], v[49:50], v[22:23]
	v_fma_f64 v[24:25], v[43:44], v[49:50], v[24:25]
	s_cbranch_scc0 .LBB80_41
.LBB80_42:                              ;   in Loop: Header=BB80_27 Depth=3
	s_lshl_b32 s2, s45, 8
	s_delay_alu instid0(SALU_CYCLE_1) | instskip(NEXT) | instid1(VALU_DEP_1)
	v_or3_b32 v16, s2, v29, v12
	v_lshlrev_b32_e32 v16, 4, v16
	ds_load_b128 v[43:46], v16
	s_waitcnt lgkmcnt(0)
	v_fma_f64 v[26:27], v[4:5], v[22:23], v[43:44]
	v_fma_f64 v[43:44], v[8:9], v[22:23], v[45:46]
	s_delay_alu instid0(VALU_DEP_2) | instskip(NEXT) | instid1(VALU_DEP_2)
	v_fma_f64 v[22:23], -v[8:9], v[24:25], v[26:27]
	v_fma_f64 v[24:25], v[4:5], v[24:25], v[43:44]
	ds_store_b128 v16, v[22:25]
.LBB80_43:                              ;   in Loop: Header=BB80_27 Depth=3
	s_or_b32 exec_lo, exec_lo, s39
	s_mov_b32 s58, -1
	s_mov_b32 s39, s56
	s_mov_b32 s2, s57
	s_waitcnt lgkmcnt(0)
	s_waitcnt_vscnt null, 0x0
	s_barrier
	buffer_gl0_inv
.LBB80_44:                              ;   in Loop: Header=BB80_27 Depth=3
	s_add_i32 s44, s44, 1
	v_add_nc_u32_e32 v42, s27, v42
	s_cmp_lt_i32 s44, s3
	v_add_nc_u32_e32 v19, s27, v19
	s_cselect_b32 s45, -1, 0
	s_delay_alu instid0(SALU_CYCLE_1) | instskip(NEXT) | instid1(SALU_CYCLE_1)
	s_and_b32 s45, s58, s45
	s_and_b32 vcc_lo, exec_lo, s45
	s_cbranch_vccz .LBB80_47
; %bb.45:                               ;   in Loop: Header=BB80_27 Depth=3
	s_mov_b32 s56, s39
	s_mov_b32 s57, s2
	s_branch .LBB80_27
.LBB80_46:                              ;   in Loop: Header=BB80_22 Depth=2
	s_mov_b32 s39, s56
	s_mov_b32 s2, s57
.LBB80_47:                              ;   in Loop: Header=BB80_22 Depth=2
	s_add_u32 s42, s34, s42
	v_dual_mov_b32 v16, s2 :: v_dual_add_nc_u32 v41, s27, v41
	v_add_nc_u32_e32 v18, s27, v18
	s_addc_u32 s43, s35, s43
	s_add_i32 s38, s38, 1
	global_store_b32 v17, v16, s[42:43]
	s_cmp_lt_i32 s38, s46
	s_cbranch_scc0 .LBB80_50
; %bb.48:                               ;   in Loop: Header=BB80_22 Depth=2
	s_mov_b32 s56, s39
	s_branch .LBB80_22
.LBB80_49:                              ;   in Loop: Header=BB80_22 Depth=2
                                        ; implicit-def: $sgpr57
	s_branch .LBB80_24
.LBB80_50:                              ;   in Loop: Header=BB80_16 Depth=1
	s_and_not1_b32 vcc_lo, exec_lo, s33
	s_cbranch_vccnz .LBB80_62
; %bb.51:                               ;   in Loop: Header=BB80_16 Depth=1
	s_load_b64 s[2:3], s[4:5], 0x0
	s_waitcnt lgkmcnt(0)
	s_cmp_ge_i32 s2, s3
	s_cbranch_scc1 .LBB80_62
; %bb.52:                               ;   in Loop: Header=BB80_16 Depth=1
	s_sub_i32 s42, s2, s23
	s_sub_i32 s11, s3, s23
	v_mad_u64_u32 v[18:19], null, s26, s42, v[14:15]
	s_ashr_i32 s43, s42, 31
	s_add_i32 s38, s54, s2
	s_lshl_b64 s[42:43], s[42:43], 2
	s_delay_alu instid0(SALU_CYCLE_1) | instskip(SKIP_1) | instid1(VALU_DEP_1)
	s_add_u32 s2, s6, s42
	s_addc_u32 s3, s7, s43
	v_mad_u64_u32 v[19:20], null, s26, v18, v[15:16]
	s_delay_alu instid0(VALU_DEP_1)
	v_mov_b32_e32 v16, v19
.LBB80_53:                              ;   Parent Loop BB80_16 Depth=1
                                        ; =>  This Inner Loop Header: Depth=2
	s_load_b32 s42, s[2:3], 0x0
	s_waitcnt lgkmcnt(0)
	s_sub_i32 s44, s42, s23
	s_delay_alu instid0(SALU_CYCLE_1)
	s_cmp_lt_i32 s44, s36
	s_cselect_b32 s42, -1, 0
	s_cmp_lt_i32 s44, s55
	s_cselect_b32 s43, -1, 0
	s_cmp_ge_i32 s44, s55
	s_cselect_b32 s45, -1, 0
	s_delay_alu instid0(SALU_CYCLE_1)
	s_or_b32 s42, s42, s45
	s_mov_b32 s45, -1
	s_and_b32 vcc_lo, exec_lo, s42
                                        ; implicit-def: $sgpr42
	s_cbranch_vccz .LBB80_55
; %bb.54:                               ;   in Loop: Header=BB80_53 Depth=2
	s_min_i32 s42, s44, s39
	s_and_b32 s45, s43, exec_lo
	s_cselect_b32 s42, s39, s42
	s_mov_b32 s45, 0
.LBB80_55:                              ;   in Loop: Header=BB80_53 Depth=2
	s_delay_alu instid0(SALU_CYCLE_1)
	s_and_not1_b32 vcc_lo, exec_lo, s45
	s_cbranch_vccnz .LBB80_59
; %bb.56:                               ;   in Loop: Header=BB80_53 Depth=2
	s_sub_i32 s43, s44, s36
	s_delay_alu instid0(SALU_CYCLE_1)
	v_mov_b32_e32 v18, s43
	ds_store_b8 v18, v40 offset:32768
	s_and_saveexec_b32 s42, s37
	s_cbranch_execz .LBB80_58
; %bb.57:                               ;   in Loop: Header=BB80_53 Depth=2
	v_lshlrev_b64 v[18:19], 4, v[16:17]
	s_lshl_b32 s43, s43, 8
	s_delay_alu instid0(SALU_CYCLE_1) | instskip(NEXT) | instid1(VALU_DEP_2)
	v_or3_b32 v22, s43, v29, v12
	v_add_co_u32 v18, vcc_lo, s8, v18
	s_delay_alu instid0(VALU_DEP_3) | instskip(NEXT) | instid1(VALU_DEP_3)
	v_add_co_ci_u32_e32 v19, vcc_lo, s9, v19, vcc_lo
	v_lshlrev_b32_e32 v26, 4, v22
	global_load_b128 v[18:21], v[18:19], off
	ds_load_b128 v[22:25], v26
	s_waitcnt vmcnt(0) lgkmcnt(0)
	v_fma_f64 v[22:23], v[10:11], v[18:19], v[22:23]
	v_fma_f64 v[24:25], v[6:7], v[18:19], v[24:25]
	s_delay_alu instid0(VALU_DEP_2) | instskip(NEXT) | instid1(VALU_DEP_2)
	v_fma_f64 v[18:19], -v[6:7], v[20:21], v[22:23]
	v_fma_f64 v[20:21], v[10:11], v[20:21], v[24:25]
	ds_store_b128 v26, v[18:21]
.LBB80_58:                              ;   in Loop: Header=BB80_53 Depth=2
	s_or_b32 exec_lo, exec_lo, s42
	s_mov_b32 s43, -1
	s_mov_b32 s42, s39
	s_waitcnt lgkmcnt(0)
	s_waitcnt_vscnt null, 0x0
	s_barrier
	buffer_gl0_inv
.LBB80_59:                              ;   in Loop: Header=BB80_53 Depth=2
	s_cmp_lt_i32 s38, s11
	v_add_nc_u32_e32 v16, s27, v16
	s_cselect_b32 s39, -1, 0
	s_add_i32 s38, s38, 1
	s_and_b32 s39, s43, s39
	s_add_u32 s2, s2, 4
	s_addc_u32 s3, s3, 0
	s_and_b32 vcc_lo, exec_lo, s39
	s_cbranch_vccz .LBB80_61
; %bb.60:                               ;   in Loop: Header=BB80_53 Depth=2
	s_mov_b32 s39, s42
	s_branch .LBB80_53
.LBB80_61:                              ;   in Loop: Header=BB80_16 Depth=1
	s_mov_b32 s39, s42
.LBB80_62:                              ;   in Loop: Header=BB80_16 Depth=1
	s_waitcnt_vscnt null, 0x0
	s_barrier
	buffer_gl0_inv
	ds_load_u8 v16, v17 offset:32768
	s_add_i32 s36, s36, s22
	s_mov_b32 s11, 0
	s_waitcnt lgkmcnt(0)
	v_cmp_eq_u32_e32 vcc_lo, 0, v16
	s_cbranch_vccz .LBB80_70
; %bb.63:                               ;   in Loop: Header=BB80_16 Depth=1
	ds_load_u8 v16, v17 offset:32769
	s_waitcnt lgkmcnt(0)
	v_cmp_eq_u32_e32 vcc_lo, 0, v16
	s_cbranch_vccz .LBB80_73
.LBB80_64:                              ;   in Loop: Header=BB80_16 Depth=1
	ds_load_u8 v16, v17 offset:32770
	s_waitcnt lgkmcnt(0)
	v_cmp_eq_u32_e32 vcc_lo, 0, v16
	s_cbranch_vccz .LBB80_76
.LBB80_65:                              ;   in Loop: Header=BB80_16 Depth=1
	ds_load_u8 v16, v17 offset:32771
	s_waitcnt lgkmcnt(0)
	v_cmp_eq_u32_e32 vcc_lo, 0, v16
	s_cbranch_vccz .LBB80_79
.LBB80_66:                              ;   in Loop: Header=BB80_16 Depth=1
	ds_load_u8 v16, v17 offset:32772
	s_waitcnt lgkmcnt(0)
	v_cmp_eq_u32_e32 vcc_lo, 0, v16
	s_cbranch_vccz .LBB80_82
.LBB80_67:                              ;   in Loop: Header=BB80_16 Depth=1
	ds_load_u8 v16, v17 offset:32773
	s_waitcnt lgkmcnt(0)
	v_cmp_eq_u32_e32 vcc_lo, 0, v16
	s_cbranch_vccz .LBB80_85
.LBB80_68:                              ;   in Loop: Header=BB80_16 Depth=1
	ds_load_u8 v16, v17 offset:32774
	s_waitcnt lgkmcnt(0)
	v_cmp_eq_u32_e32 vcc_lo, 0, v16
	s_cbranch_vccz .LBB80_88
.LBB80_69:                              ;   in Loop: Header=BB80_16 Depth=1
	ds_load_u8 v16, v17 offset:32775
	s_waitcnt lgkmcnt(0)
	v_cmp_eq_u32_e32 vcc_lo, 0, v16
	s_cbranch_vccnz .LBB80_15
	s_branch .LBB80_91
.LBB80_70:                              ;   in Loop: Header=BB80_16 Depth=1
	s_ashr_i32 s11, s10, 31
	v_mov_b32_e32 v16, s36
	s_lshl_b64 s[2:3], s[10:11], 2
	s_delay_alu instid0(SALU_CYCLE_1)
	s_add_u32 s2, s28, s2
	s_addc_u32 s3, s29, s3
	global_store_b32 v17, v16, s[2:3]
	s_and_saveexec_b32 s2, s37
	s_cbranch_execz .LBB80_72
; %bb.71:                               ;   in Loop: Header=BB80_16 Depth=1
	v_mad_u64_u32 v[18:19], null, s10, s26, v[14:15]
	s_delay_alu instid0(VALU_DEP_1) | instskip(SKIP_2) | instid1(VALU_DEP_1)
	v_mad_u64_u32 v[22:23], null, v18, s26, v[15:16]
	ds_load_2addr_b64 v[18:21], v30 offset1:1
	v_mov_b32_e32 v23, v17
	v_lshlrev_b64 v[22:23], 4, v[22:23]
	s_delay_alu instid0(VALU_DEP_1) | instskip(NEXT) | instid1(VALU_DEP_2)
	v_add_co_u32 v22, vcc_lo, s30, v22
	v_add_co_ci_u32_e32 v23, vcc_lo, s31, v23, vcc_lo
	s_waitcnt lgkmcnt(0)
	global_store_b128 v[22:23], v[18:21], off
.LBB80_72:                              ;   in Loop: Header=BB80_16 Depth=1
	s_or_b32 exec_lo, exec_lo, s2
	s_mov_b32 s11, 1
	ds_load_u8 v16, v17 offset:32769
	s_waitcnt lgkmcnt(0)
	v_cmp_eq_u32_e32 vcc_lo, 0, v16
	s_cbranch_vccnz .LBB80_64
.LBB80_73:                              ;   in Loop: Header=BB80_16 Depth=1
	s_add_i32 s2, s11, s10
	s_add_i32 s38, s36, 1
	s_ashr_i32 s3, s2, 31
	v_mov_b32_e32 v16, s38
	s_lshl_b64 s[42:43], s[2:3], 2
	s_delay_alu instid0(SALU_CYCLE_1)
	s_add_u32 s42, s28, s42
	s_addc_u32 s43, s29, s43
	global_store_b32 v17, v16, s[42:43]
	s_and_saveexec_b32 s3, s37
	s_cbranch_execz .LBB80_75
; %bb.74:                               ;   in Loop: Header=BB80_16 Depth=1
	v_mad_u64_u32 v[18:19], null, s2, s26, v[14:15]
	s_delay_alu instid0(VALU_DEP_1) | instskip(SKIP_2) | instid1(VALU_DEP_1)
	v_mad_u64_u32 v[22:23], null, v18, s26, v[15:16]
	ds_load_2addr_b64 v[18:21], v33 offset1:1
	v_mov_b32_e32 v23, v17
	v_lshlrev_b64 v[22:23], 4, v[22:23]
	s_delay_alu instid0(VALU_DEP_1) | instskip(NEXT) | instid1(VALU_DEP_2)
	v_add_co_u32 v22, vcc_lo, s30, v22
	v_add_co_ci_u32_e32 v23, vcc_lo, s31, v23, vcc_lo
	s_waitcnt lgkmcnt(0)
	global_store_b128 v[22:23], v[18:21], off
.LBB80_75:                              ;   in Loop: Header=BB80_16 Depth=1
	s_or_b32 exec_lo, exec_lo, s3
	s_add_i32 s11, s11, 1
	ds_load_u8 v16, v17 offset:32770
	s_waitcnt lgkmcnt(0)
	v_cmp_eq_u32_e32 vcc_lo, 0, v16
	s_cbranch_vccnz .LBB80_65
.LBB80_76:                              ;   in Loop: Header=BB80_16 Depth=1
	s_add_i32 s2, s11, s10
	s_add_i32 s38, s36, 2
	s_ashr_i32 s3, s2, 31
	v_mov_b32_e32 v16, s38
	s_lshl_b64 s[42:43], s[2:3], 2
	s_delay_alu instid0(SALU_CYCLE_1)
	s_add_u32 s42, s28, s42
	s_addc_u32 s43, s29, s43
	global_store_b32 v17, v16, s[42:43]
	s_and_saveexec_b32 s3, s37
	s_cbranch_execz .LBB80_78
; %bb.77:                               ;   in Loop: Header=BB80_16 Depth=1
	v_mad_u64_u32 v[18:19], null, s2, s26, v[14:15]
	s_delay_alu instid0(VALU_DEP_1) | instskip(SKIP_2) | instid1(VALU_DEP_1)
	v_mad_u64_u32 v[22:23], null, v18, s26, v[15:16]
	ds_load_2addr_b64 v[18:21], v34 offset1:1
	v_mov_b32_e32 v23, v17
	v_lshlrev_b64 v[22:23], 4, v[22:23]
	s_delay_alu instid0(VALU_DEP_1) | instskip(NEXT) | instid1(VALU_DEP_2)
	v_add_co_u32 v22, vcc_lo, s30, v22
	v_add_co_ci_u32_e32 v23, vcc_lo, s31, v23, vcc_lo
	s_waitcnt lgkmcnt(0)
	global_store_b128 v[22:23], v[18:21], off
.LBB80_78:                              ;   in Loop: Header=BB80_16 Depth=1
	s_or_b32 exec_lo, exec_lo, s3
	s_add_i32 s11, s11, 1
	ds_load_u8 v16, v17 offset:32771
	s_waitcnt lgkmcnt(0)
	v_cmp_eq_u32_e32 vcc_lo, 0, v16
	s_cbranch_vccnz .LBB80_66
.LBB80_79:                              ;   in Loop: Header=BB80_16 Depth=1
	s_add_i32 s2, s11, s10
	s_add_i32 s38, s36, 3
	s_ashr_i32 s3, s2, 31
	v_mov_b32_e32 v16, s38
	s_lshl_b64 s[42:43], s[2:3], 2
	s_delay_alu instid0(SALU_CYCLE_1)
	s_add_u32 s42, s28, s42
	s_addc_u32 s43, s29, s43
	global_store_b32 v17, v16, s[42:43]
	s_and_saveexec_b32 s3, s37
	s_cbranch_execz .LBB80_81
; %bb.80:                               ;   in Loop: Header=BB80_16 Depth=1
	v_mad_u64_u32 v[18:19], null, s2, s26, v[14:15]
	s_delay_alu instid0(VALU_DEP_1) | instskip(SKIP_2) | instid1(VALU_DEP_1)
	v_mad_u64_u32 v[22:23], null, v18, s26, v[15:16]
	ds_load_2addr_b64 v[18:21], v35 offset1:1
	v_mov_b32_e32 v23, v17
	v_lshlrev_b64 v[22:23], 4, v[22:23]
	s_delay_alu instid0(VALU_DEP_1) | instskip(NEXT) | instid1(VALU_DEP_2)
	v_add_co_u32 v22, vcc_lo, s30, v22
	v_add_co_ci_u32_e32 v23, vcc_lo, s31, v23, vcc_lo
	s_waitcnt lgkmcnt(0)
	global_store_b128 v[22:23], v[18:21], off
.LBB80_81:                              ;   in Loop: Header=BB80_16 Depth=1
	s_or_b32 exec_lo, exec_lo, s3
	s_add_i32 s11, s11, 1
	ds_load_u8 v16, v17 offset:32772
	s_waitcnt lgkmcnt(0)
	v_cmp_eq_u32_e32 vcc_lo, 0, v16
	s_cbranch_vccnz .LBB80_67
.LBB80_82:                              ;   in Loop: Header=BB80_16 Depth=1
	s_add_i32 s2, s11, s10
	s_add_i32 s38, s36, 4
	s_ashr_i32 s3, s2, 31
	v_mov_b32_e32 v16, s38
	s_lshl_b64 s[42:43], s[2:3], 2
	s_delay_alu instid0(SALU_CYCLE_1)
	s_add_u32 s42, s28, s42
	s_addc_u32 s43, s29, s43
	global_store_b32 v17, v16, s[42:43]
	s_and_saveexec_b32 s3, s37
	s_cbranch_execz .LBB80_84
; %bb.83:                               ;   in Loop: Header=BB80_16 Depth=1
	v_mad_u64_u32 v[18:19], null, s2, s26, v[14:15]
	s_delay_alu instid0(VALU_DEP_1) | instskip(SKIP_2) | instid1(VALU_DEP_1)
	v_mad_u64_u32 v[22:23], null, v18, s26, v[15:16]
	ds_load_2addr_b64 v[18:21], v31 offset1:1
	v_mov_b32_e32 v23, v17
	v_lshlrev_b64 v[22:23], 4, v[22:23]
	s_delay_alu instid0(VALU_DEP_1) | instskip(NEXT) | instid1(VALU_DEP_2)
	v_add_co_u32 v22, vcc_lo, s30, v22
	v_add_co_ci_u32_e32 v23, vcc_lo, s31, v23, vcc_lo
	s_waitcnt lgkmcnt(0)
	global_store_b128 v[22:23], v[18:21], off
.LBB80_84:                              ;   in Loop: Header=BB80_16 Depth=1
	s_or_b32 exec_lo, exec_lo, s3
	s_add_i32 s11, s11, 1
	ds_load_u8 v16, v17 offset:32773
	s_waitcnt lgkmcnt(0)
	v_cmp_eq_u32_e32 vcc_lo, 0, v16
	s_cbranch_vccnz .LBB80_68
.LBB80_85:                              ;   in Loop: Header=BB80_16 Depth=1
	s_add_i32 s2, s11, s10
	s_add_i32 s38, s36, 5
	s_ashr_i32 s3, s2, 31
	v_mov_b32_e32 v16, s38
	s_lshl_b64 s[42:43], s[2:3], 2
	s_delay_alu instid0(SALU_CYCLE_1)
	s_add_u32 s42, s28, s42
	s_addc_u32 s43, s29, s43
	global_store_b32 v17, v16, s[42:43]
	s_and_saveexec_b32 s3, s37
	s_cbranch_execz .LBB80_87
; %bb.86:                               ;   in Loop: Header=BB80_16 Depth=1
	v_mad_u64_u32 v[18:19], null, s2, s26, v[14:15]
	s_delay_alu instid0(VALU_DEP_1) | instskip(SKIP_2) | instid1(VALU_DEP_1)
	v_mad_u64_u32 v[22:23], null, v18, s26, v[15:16]
	ds_load_2addr_b64 v[18:21], v36 offset1:1
	v_mov_b32_e32 v23, v17
	v_lshlrev_b64 v[22:23], 4, v[22:23]
	s_delay_alu instid0(VALU_DEP_1) | instskip(NEXT) | instid1(VALU_DEP_2)
	v_add_co_u32 v22, vcc_lo, s30, v22
	v_add_co_ci_u32_e32 v23, vcc_lo, s31, v23, vcc_lo
	s_waitcnt lgkmcnt(0)
	global_store_b128 v[22:23], v[18:21], off
.LBB80_87:                              ;   in Loop: Header=BB80_16 Depth=1
	s_or_b32 exec_lo, exec_lo, s3
	s_add_i32 s11, s11, 1
	ds_load_u8 v16, v17 offset:32774
	s_waitcnt lgkmcnt(0)
	v_cmp_eq_u32_e32 vcc_lo, 0, v16
	s_cbranch_vccnz .LBB80_69
.LBB80_88:                              ;   in Loop: Header=BB80_16 Depth=1
	s_add_i32 s2, s11, s10
	s_add_i32 s38, s36, 6
	s_ashr_i32 s3, s2, 31
	v_mov_b32_e32 v16, s38
	s_lshl_b64 s[42:43], s[2:3], 2
	s_delay_alu instid0(SALU_CYCLE_1)
	s_add_u32 s42, s28, s42
	s_addc_u32 s43, s29, s43
	global_store_b32 v17, v16, s[42:43]
	s_and_saveexec_b32 s3, s37
	s_cbranch_execz .LBB80_90
; %bb.89:                               ;   in Loop: Header=BB80_16 Depth=1
	v_mad_u64_u32 v[18:19], null, s2, s26, v[14:15]
	s_delay_alu instid0(VALU_DEP_1) | instskip(SKIP_2) | instid1(VALU_DEP_1)
	v_mad_u64_u32 v[22:23], null, v18, s26, v[15:16]
	ds_load_2addr_b64 v[18:21], v37 offset1:1
	v_mov_b32_e32 v23, v17
	v_lshlrev_b64 v[22:23], 4, v[22:23]
	s_delay_alu instid0(VALU_DEP_1) | instskip(NEXT) | instid1(VALU_DEP_2)
	v_add_co_u32 v22, vcc_lo, s30, v22
	v_add_co_ci_u32_e32 v23, vcc_lo, s31, v23, vcc_lo
	s_waitcnt lgkmcnt(0)
	global_store_b128 v[22:23], v[18:21], off
.LBB80_90:                              ;   in Loop: Header=BB80_16 Depth=1
	s_or_b32 exec_lo, exec_lo, s3
	s_add_i32 s11, s11, 1
	ds_load_u8 v16, v17 offset:32775
	s_waitcnt lgkmcnt(0)
	v_cmp_eq_u32_e32 vcc_lo, 0, v16
	s_cbranch_vccnz .LBB80_15
.LBB80_91:                              ;   in Loop: Header=BB80_16 Depth=1
	s_add_i32 s2, s11, s10
	s_add_i32 s36, s36, 7
	s_ashr_i32 s3, s2, 31
	v_mov_b32_e32 v16, s36
	s_lshl_b64 s[42:43], s[2:3], 2
	s_delay_alu instid0(SALU_CYCLE_1)
	s_add_u32 s42, s28, s42
	s_addc_u32 s43, s29, s43
	global_store_b32 v17, v16, s[42:43]
	s_and_saveexec_b32 s3, s37
	s_cbranch_execz .LBB80_14
; %bb.92:                               ;   in Loop: Header=BB80_16 Depth=1
	v_mad_u64_u32 v[18:19], null, s2, s26, v[14:15]
	s_delay_alu instid0(VALU_DEP_1) | instskip(SKIP_2) | instid1(VALU_DEP_1)
	v_mad_u64_u32 v[22:23], null, v18, s26, v[15:16]
	ds_load_2addr_b64 v[18:21], v38 offset1:1
	v_mov_b32_e32 v23, v17
	v_lshlrev_b64 v[22:23], 4, v[22:23]
	s_delay_alu instid0(VALU_DEP_1) | instskip(NEXT) | instid1(VALU_DEP_2)
	v_add_co_u32 v22, vcc_lo, s30, v22
	v_add_co_ci_u32_e32 v23, vcc_lo, s31, v23, vcc_lo
	s_waitcnt lgkmcnt(0)
	global_store_b128 v[22:23], v[18:21], off
	s_branch .LBB80_14
.LBB80_93:
	s_endpgm
	.section	.rodata,"a",@progbits
	.p2align	6, 0x0
	.amdhsa_kernel _ZN9rocsparseL31bsrgemm_block_per_row_multipassILj256ELj8ELj16Eii21rocsparse_complex_numIdEEEv20rocsparse_direction_T3_S4_PKS4_S6_NS_24const_host_device_scalarIT4_EEPKT2_S6_PKS8_SC_S6_SE_S9_SC_S6_SE_SC_PS4_PS8_PSA_21rocsparse_index_base_SI_SI_SI_bbb
		.amdhsa_group_segment_fixed_size 36872
		.amdhsa_private_segment_fixed_size 0
		.amdhsa_kernarg_size 188
		.amdhsa_user_sgpr_count 15
		.amdhsa_user_sgpr_dispatch_ptr 1
		.amdhsa_user_sgpr_queue_ptr 0
		.amdhsa_user_sgpr_kernarg_segment_ptr 1
		.amdhsa_user_sgpr_dispatch_id 0
		.amdhsa_user_sgpr_private_segment_size 0
		.amdhsa_wavefront_size32 1
		.amdhsa_uses_dynamic_stack 0
		.amdhsa_enable_private_segment 0
		.amdhsa_system_sgpr_workgroup_id_x 1
		.amdhsa_system_sgpr_workgroup_id_y 0
		.amdhsa_system_sgpr_workgroup_id_z 0
		.amdhsa_system_sgpr_workgroup_info 0
		.amdhsa_system_vgpr_workitem_id 2
		.amdhsa_next_free_vgpr 51
		.amdhsa_next_free_sgpr 61
		.amdhsa_reserve_vcc 1
		.amdhsa_float_round_mode_32 0
		.amdhsa_float_round_mode_16_64 0
		.amdhsa_float_denorm_mode_32 3
		.amdhsa_float_denorm_mode_16_64 3
		.amdhsa_dx10_clamp 1
		.amdhsa_ieee_mode 1
		.amdhsa_fp16_overflow 0
		.amdhsa_workgroup_processor_mode 1
		.amdhsa_memory_ordered 1
		.amdhsa_forward_progress 0
		.amdhsa_shared_vgpr_count 0
		.amdhsa_exception_fp_ieee_invalid_op 0
		.amdhsa_exception_fp_denorm_src 0
		.amdhsa_exception_fp_ieee_div_zero 0
		.amdhsa_exception_fp_ieee_overflow 0
		.amdhsa_exception_fp_ieee_underflow 0
		.amdhsa_exception_fp_ieee_inexact 0
		.amdhsa_exception_int_div_zero 0
	.end_amdhsa_kernel
	.section	.text._ZN9rocsparseL31bsrgemm_block_per_row_multipassILj256ELj8ELj16Eii21rocsparse_complex_numIdEEEv20rocsparse_direction_T3_S4_PKS4_S6_NS_24const_host_device_scalarIT4_EEPKT2_S6_PKS8_SC_S6_SE_S9_SC_S6_SE_SC_PS4_PS8_PSA_21rocsparse_index_base_SI_SI_SI_bbb,"axG",@progbits,_ZN9rocsparseL31bsrgemm_block_per_row_multipassILj256ELj8ELj16Eii21rocsparse_complex_numIdEEEv20rocsparse_direction_T3_S4_PKS4_S6_NS_24const_host_device_scalarIT4_EEPKT2_S6_PKS8_SC_S6_SE_S9_SC_S6_SE_SC_PS4_PS8_PSA_21rocsparse_index_base_SI_SI_SI_bbb,comdat
.Lfunc_end80:
	.size	_ZN9rocsparseL31bsrgemm_block_per_row_multipassILj256ELj8ELj16Eii21rocsparse_complex_numIdEEEv20rocsparse_direction_T3_S4_PKS4_S6_NS_24const_host_device_scalarIT4_EEPKT2_S6_PKS8_SC_S6_SE_S9_SC_S6_SE_SC_PS4_PS8_PSA_21rocsparse_index_base_SI_SI_SI_bbb, .Lfunc_end80-_ZN9rocsparseL31bsrgemm_block_per_row_multipassILj256ELj8ELj16Eii21rocsparse_complex_numIdEEEv20rocsparse_direction_T3_S4_PKS4_S6_NS_24const_host_device_scalarIT4_EEPKT2_S6_PKS8_SC_S6_SE_S9_SC_S6_SE_SC_PS4_PS8_PSA_21rocsparse_index_base_SI_SI_SI_bbb
                                        ; -- End function
	.section	.AMDGPU.csdata,"",@progbits
; Kernel info:
; codeLenInByte = 3900
; NumSgprs: 63
; NumVgprs: 51
; ScratchSize: 0
; MemoryBound: 0
; FloatMode: 240
; IeeeMode: 1
; LDSByteSize: 36872 bytes/workgroup (compile time only)
; SGPRBlocks: 7
; VGPRBlocks: 6
; NumSGPRsForWavesPerEU: 63
; NumVGPRsForWavesPerEU: 51
; Occupancy: 6
; WaveLimiterHint : 1
; COMPUTE_PGM_RSRC2:SCRATCH_EN: 0
; COMPUTE_PGM_RSRC2:USER_SGPR: 15
; COMPUTE_PGM_RSRC2:TRAP_HANDLER: 0
; COMPUTE_PGM_RSRC2:TGID_X_EN: 1
; COMPUTE_PGM_RSRC2:TGID_Y_EN: 0
; COMPUTE_PGM_RSRC2:TGID_Z_EN: 0
; COMPUTE_PGM_RSRC2:TIDIG_COMP_CNT: 2
	.section	.text._ZN9rocsparseL31bsrgemm_block_per_row_multipassILj256ELj2ELj32Eii21rocsparse_complex_numIdEEEv20rocsparse_direction_T3_S4_PKS4_S6_NS_24const_host_device_scalarIT4_EEPKT2_S6_PKS8_SC_S6_SE_S9_SC_S6_SE_SC_PS4_PS8_PSA_21rocsparse_index_base_SI_SI_SI_bbb,"axG",@progbits,_ZN9rocsparseL31bsrgemm_block_per_row_multipassILj256ELj2ELj32Eii21rocsparse_complex_numIdEEEv20rocsparse_direction_T3_S4_PKS4_S6_NS_24const_host_device_scalarIT4_EEPKT2_S6_PKS8_SC_S6_SE_S9_SC_S6_SE_SC_PS4_PS8_PSA_21rocsparse_index_base_SI_SI_SI_bbb,comdat
	.globl	_ZN9rocsparseL31bsrgemm_block_per_row_multipassILj256ELj2ELj32Eii21rocsparse_complex_numIdEEEv20rocsparse_direction_T3_S4_PKS4_S6_NS_24const_host_device_scalarIT4_EEPKT2_S6_PKS8_SC_S6_SE_S9_SC_S6_SE_SC_PS4_PS8_PSA_21rocsparse_index_base_SI_SI_SI_bbb ; -- Begin function _ZN9rocsparseL31bsrgemm_block_per_row_multipassILj256ELj2ELj32Eii21rocsparse_complex_numIdEEEv20rocsparse_direction_T3_S4_PKS4_S6_NS_24const_host_device_scalarIT4_EEPKT2_S6_PKS8_SC_S6_SE_S9_SC_S6_SE_SC_PS4_PS8_PSA_21rocsparse_index_base_SI_SI_SI_bbb
	.p2align	8
	.type	_ZN9rocsparseL31bsrgemm_block_per_row_multipassILj256ELj2ELj32Eii21rocsparse_complex_numIdEEEv20rocsparse_direction_T3_S4_PKS4_S6_NS_24const_host_device_scalarIT4_EEPKT2_S6_PKS8_SC_S6_SE_S9_SC_S6_SE_SC_PS4_PS8_PSA_21rocsparse_index_base_SI_SI_SI_bbb,@function
_ZN9rocsparseL31bsrgemm_block_per_row_multipassILj256ELj2ELj32Eii21rocsparse_complex_numIdEEEv20rocsparse_direction_T3_S4_PKS4_S6_NS_24const_host_device_scalarIT4_EEPKT2_S6_PKS8_SC_S6_SE_S9_SC_S6_SE_SC_PS4_PS8_PSA_21rocsparse_index_base_SI_SI_SI_bbb: ; @_ZN9rocsparseL31bsrgemm_block_per_row_multipassILj256ELj2ELj32Eii21rocsparse_complex_numIdEEEv20rocsparse_direction_T3_S4_PKS4_S6_NS_24const_host_device_scalarIT4_EEPKT2_S6_PKS8_SC_S6_SE_S9_SC_S6_SE_SC_PS4_PS8_PSA_21rocsparse_index_base_SI_SI_SI_bbb
; %bb.0:
	s_mov_b32 s42, s15
	s_load_b32 s12, s[2:3], 0xb8
	s_load_b64 s[14:15], s[0:1], 0x4
	v_dual_mov_b32 v4, 0 :: v_dual_and_b32 v25, 0x3ff, v0
	s_clause 0x1
	s_load_b128 s[8:11], s[2:3], 0x20
	s_load_b128 s[4:7], s[2:3], 0x60
	v_bfe_u32 v2, v0, 10, 10
	s_load_b128 s[24:27], s[2:3], 0xa8
	v_bfe_u32 v0, v0, 20, 10
	v_mov_b32_e32 v5, 0
	s_waitcnt lgkmcnt(0)
	s_bitcmp1_b32 s12, 0
	s_cselect_b32 s41, -1, 0
	s_bitcmp1_b32 s12, 16
	s_cselect_b32 s0, -1, 0
	s_lshr_b32 s1, s14, 16
	s_delay_alu instid0(SALU_CYCLE_1) | instskip(NEXT) | instid1(SALU_CYCLE_1)
	s_mul_i32 s1, s1, s15
	v_mul_lo_u32 v1, s1, v25
	s_xor_b32 s1, s0, -1
	s_bitcmp0_b32 s12, 0
	v_cndmask_b32_e64 v3, 0, 1, s1
	s_delay_alu instid0(VALU_DEP_1) | instskip(NEXT) | instid1(VALU_DEP_3)
	v_cmp_ne_u32_e32 vcc_lo, 1, v3
	v_mad_u32_u24 v1, v2, s15, v1
	s_delay_alu instid0(VALU_DEP_1)
	v_add_lshl_u32 v0, v1, v0, 3
	v_dual_mov_b32 v1, s8 :: v_dual_mov_b32 v2, s9
	v_mov_b32_e32 v11, s5
	v_dual_mov_b32 v7, v5 :: v_dual_mov_b32 v6, v4
	v_dual_mov_b32 v9, v5 :: v_dual_mov_b32 v10, s4
	v_dual_mov_b32 v8, v4 :: v_dual_add_nc_u32 v3, 8, v0
	ds_store_2addr_stride64_b64 v3, v[10:11], v[1:2] offset0:64 offset1:68
	s_cbranch_scc1 .LBB81_3
; %bb.1:
	s_mov_b64 s[14:15], src_shared_base
	s_and_b32 s13, s0, exec_lo
	s_cselect_b32 s13, s15, s9
	s_delay_alu instid0(SALU_CYCLE_1) | instskip(SKIP_2) | instid1(VALU_DEP_2)
	v_dual_mov_b32 v2, s13 :: v_dual_add_nc_u32 v1, 0x8808, v0
	v_dual_mov_b32 v8, s10 :: v_dual_mov_b32 v9, s11
	s_and_b32 vcc_lo, exec_lo, vcc_lo
	v_cndmask_b32_e64 v1, s8, v1, s0
	flat_load_b64 v[6:7], v[1:2]
	s_cbranch_vccnz .LBB81_3
; %bb.2:
	v_dual_mov_b32 v1, s8 :: v_dual_mov_b32 v2, s9
	flat_load_b64 v[8:9], v[1:2] offset:8
.LBB81_3:
	s_load_b64 s[8:9], s[2:3], 0x18
	s_bitcmp1_b32 s12, 8
	v_dual_mov_b32 v11, v5 :: v_dual_mov_b32 v10, v4
	s_cselect_b32 s33, -1, 0
	s_bfe_u32 s10, s12, 0x10008
	s_delay_alu instid0(SALU_CYCLE_1)
	s_cmp_eq_u32 s10, 0
	s_cbranch_scc1 .LBB81_6
; %bb.4:
	s_mov_b64 s[10:11], src_shared_base
	s_and_b32 s10, s0, exec_lo
	s_cselect_b32 s10, s11, s5
	s_delay_alu instid0(SALU_CYCLE_1) | instskip(SKIP_2) | instid1(VALU_DEP_2)
	v_dual_mov_b32 v1, s10 :: v_dual_add_nc_u32 v0, 0x8008, v0
	v_dual_mov_b32 v4, s6 :: v_dual_mov_b32 v5, s7
	s_and_not1_b32 vcc_lo, exec_lo, s1
	v_cndmask_b32_e64 v0, s4, v0, s0
	flat_load_b64 v[10:11], v[0:1]
	s_cbranch_vccnz .LBB81_6
; %bb.5:
	v_dual_mov_b32 v0, s4 :: v_dual_mov_b32 v1, s5
	flat_load_b64 v[4:5], v[0:1] offset:8
.LBB81_6:
	s_load_b64 s[0:1], s[2:3], 0x30
	s_waitcnt lgkmcnt(0)
	s_cmp_eq_u64 s[8:9], 0
	s_cbranch_scc1 .LBB81_8
; %bb.7:
	s_load_b64 s[4:5], s[2:3], 0x10
	s_waitcnt lgkmcnt(0)
	s_load_b32 s4, s[4:5], 0x0
	s_mov_b32 s5, 0
	s_waitcnt lgkmcnt(0)
	s_add_i32 s4, s4, s42
	s_delay_alu instid0(SALU_CYCLE_1) | instskip(NEXT) | instid1(SALU_CYCLE_1)
	s_lshl_b64 s[4:5], s[4:5], 2
	s_add_u32 s4, s8, s4
	s_addc_u32 s5, s9, s5
	s_load_b32 s42, s[4:5], 0x0
.LBB81_8:
	s_mov_b32 s46, 0
	s_and_not1_b32 vcc_lo, exec_lo, s41
	s_mov_b32 s47, 0
	s_cbranch_vccz .LBB81_11
; %bb.9:
	s_and_not1_b32 vcc_lo, exec_lo, s41
	s_cbranch_vccz .LBB81_12
.LBB81_10:
	s_load_b128 s[28:31], s[2:3], 0x0
	s_waitcnt lgkmcnt(0)
	s_cmp_lt_i32 s29, 1
	s_cbranch_scc0 .LBB81_13
	s_branch .LBB81_166
.LBB81_11:
	s_waitcnt lgkmcnt(0)
	s_ashr_i32 s43, s42, 31
	s_delay_alu instid0(SALU_CYCLE_1) | instskip(NEXT) | instid1(SALU_CYCLE_1)
	s_lshl_b64 s[4:5], s[42:43], 2
	s_add_u32 s4, s0, s4
	s_addc_u32 s5, s1, s5
	s_load_b32 s4, s[4:5], 0x0
	s_waitcnt lgkmcnt(0)
	s_sub_i32 s47, s4, s24
	s_and_not1_b32 vcc_lo, exec_lo, s41
	s_cbranch_vccnz .LBB81_10
.LBB81_12:
	s_waitcnt lgkmcnt(0)
	s_ashr_i32 s43, s42, 31
	s_delay_alu instid0(SALU_CYCLE_1) | instskip(NEXT) | instid1(SALU_CYCLE_1)
	s_lshl_b64 s[4:5], s[42:43], 2
	s_add_u32 s0, s0, s4
	s_addc_u32 s1, s1, s5
	s_load_b32 s0, s[0:1], 0x4
	s_waitcnt lgkmcnt(0)
	s_sub_i32 s46, s0, s24
	s_load_b128 s[28:31], s[2:3], 0x0
	s_waitcnt lgkmcnt(0)
	s_cmp_lt_i32 s29, 1
	s_cbranch_scc1 .LBB81_166
.LBB81_13:
	s_clause 0x4
	s_load_b256 s[8:15], s[2:3], 0x70
	s_load_b64 s[6:7], s[2:3], 0xa0
	s_load_b128 s[36:39], s[2:3], 0x90
	s_load_b64 s[34:35], s[2:3], 0x58
	s_load_b256 s[16:23], s[2:3], 0x38
	s_ashr_i32 s43, s42, 31
	s_mov_b32 s40, 0
	s_lshl_b64 s[42:43], s[42:43], 2
	v_lshrrev_b32_e32 v12, 3, v25
	v_or_b32_e32 v0, 0x400, v25
	s_mul_i32 s31, s30, s30
	v_cmp_gt_u32_e64 s0, 2, v25
	v_dual_mov_b32 v15, 0 :: v_dual_mov_b32 v42, 1
	v_cmp_gt_i32_e32 vcc_lo, s30, v12
	s_mov_b32 s58, 2
	s_waitcnt lgkmcnt(0)
	s_add_u32 s2, s14, s42
	s_addc_u32 s3, s15, s43
	s_load_b32 s5, s[2:3], 0x0
	s_waitcnt lgkmcnt(0)
	s_sub_i32 s14, s5, s26
	s_cmp_lt_i32 s47, s46
	s_cselect_b32 s5, -1, 0
	s_cmp_lg_u32 s28, 0
	s_cselect_b32 s28, -1, 0
	s_cmp_gt_i32 s30, 0
	s_cselect_b32 s48, -1, 0
	s_add_u32 s8, s8, s42
	s_addc_u32 s9, s9, s43
	s_and_b32 s53, s41, s5
	s_mov_b32 s41, s40
	s_mov_b32 s42, s40
	;; [unrolled: 1-line block ×3, first 2 shown]
	v_and_b32_e32 v26, 7, v25
	v_lshlrev_b32_e32 v29, 5, v12
	v_lshlrev_b32_e32 v27, 4, v25
	v_cndmask_b32_e64 v41, 0, 1, s48
	s_delay_alu instid0(VALU_DEP_4)
	v_or_b32_e32 v31, 24, v26
	v_cmp_gt_u32_e64 s1, s30, v26
	v_or_b32_e32 v1, v29, v26
	v_or_b32_e32 v28, 8, v26
	;; [unrolled: 1-line block ×4, first 2 shown]
	s_and_b32 s49, vcc_lo, s1
	v_lshlrev_b32_e32 v32, 4, v1
	v_cmp_gt_u32_e64 s1, 0x700, v0
	v_cmp_gt_u32_e64 s2, s30, v28
	v_mad_u64_u32 v[0:1], null, s47, s30, v[12:13]
	v_cmp_gt_u32_e64 s3, s30, v30
	v_or_b32_e32 v2, v29, v28
	v_or_b32_e32 v3, v29, v30
	v_cmp_gt_u32_e64 s4, s30, v31
	v_lshl_or_b32 v35, v13, 4, 0x4000
	v_mad_u64_u32 v[13:14], null, s47, s31, v[12:13]
	v_mul_lo_u32 v40, s30, v0
	v_lshl_or_b32 v33, v2, 4, 0x4000
	v_lshl_or_b32 v34, v3, 4, 0x4000
	s_and_b32 s50, vcc_lo, s2
	s_and_b32 s51, vcc_lo, s3
	;; [unrolled: 1-line block ×3, first 2 shown]
	v_dual_mov_b32 v0, s40 :: v_dual_mov_b32 v3, s43
	v_or_b32_e32 v36, 0x80, v32
	v_or_b32_e32 v37, 0x100, v32
	;; [unrolled: 1-line block ×4, first 2 shown]
	s_add_u32 s54, s20, 4
	v_dual_mov_b32 v1, s41 :: v_dual_mov_b32 v2, s42
	s_addc_u32 s55, s21, 0
	s_add_u32 s41, s18, 8
	s_addc_u32 s56, s19, 0
	s_sub_i32 s57, 1, s27
	s_branch .LBB81_17
.LBB81_14:                              ;   in Loop: Header=BB81_17 Depth=1
	ds_load_2addr_b64 v[16:19], v35 offset1:1
	v_lshlrev_b64 v[20:21], 4, v[14:15]
	s_delay_alu instid0(VALU_DEP_1) | instskip(NEXT) | instid1(VALU_DEP_2)
	v_add_co_u32 v20, vcc_lo, s38, v20
	v_add_co_ci_u32_e32 v21, vcc_lo, s39, v21, vcc_lo
	s_waitcnt lgkmcnt(0)
	global_store_b128 v[20:21], v[16:19], off
.LBB81_15:                              ;   in Loop: Header=BB81_17 Depth=1
	s_or_b32 exec_lo, exec_lo, s3
	s_add_i32 s2, s2, 1
.LBB81_16:                              ;   in Loop: Header=BB81_17 Depth=1
	s_min_i32 s40, s45, s29
	s_add_i32 s14, s2, s14
	s_add_i32 s58, s40, 2
	s_cmp_lt_i32 s45, s29
	s_waitcnt_vscnt null, 0x0
	s_barrier
	buffer_gl0_inv
	s_barrier
	buffer_gl0_inv
	s_cbranch_scc0 .LBB81_166
.LBB81_17:                              ; =>This Loop Header: Depth=1
                                        ;     Child Loop BB81_23 Depth 2
                                        ;       Child Loop BB81_28 Depth 3
                                        ;         Child Loop BB81_40 Depth 4
                                        ;         Child Loop BB81_45 Depth 4
	;; [unrolled: 1-line block ×8, first 2 shown]
                                        ;     Child Loop BB81_90 Depth 2
	s_and_saveexec_b32 s2, s0
	s_cbranch_execz .LBB81_19
; %bb.18:                               ;   in Loop: Header=BB81_17 Depth=1
	ds_store_b8 v25, v15 offset:32768
.LBB81_19:                              ;   in Loop: Header=BB81_17 Depth=1
	s_or_b32 exec_lo, exec_lo, s2
	ds_store_b128 v27, v[0:3]
	ds_store_b128 v27, v[0:3] offset:4096
	ds_store_b128 v27, v[0:3] offset:8192
	;; [unrolled: 1-line block ×4, first 2 shown]
	s_and_saveexec_b32 s2, s1
	s_delay_alu instid0(SALU_CYCLE_1)
	s_xor_b32 s2, exec_lo, s2
	s_cbranch_execz .LBB81_21
; %bb.20:                               ;   in Loop: Header=BB81_17 Depth=1
	ds_store_b128 v27, v[0:3] offset:20480
	ds_store_b128 v27, v[0:3] offset:24576
	;; [unrolled: 1-line block ×3, first 2 shown]
.LBB81_21:                              ;   in Loop: Header=BB81_17 Depth=1
	s_or_b32 exec_lo, exec_lo, s2
	s_delay_alu instid0(SALU_CYCLE_1)
	s_and_not1_b32 vcc_lo, exec_lo, s53
	s_mov_b32 s45, s29
	s_waitcnt vmcnt(0) lgkmcnt(0)
	s_barrier
	buffer_gl0_inv
	s_cbranch_vccnz .LBB81_84
; %bb.22:                               ;   in Loop: Header=BB81_17 Depth=1
	v_dual_mov_b32 v16, v40 :: v_dual_mov_b32 v43, v13
	s_cmp_lg_u32 s40, 0
	s_mov_b32 s59, s29
	s_cselect_b32 s15, -1, 0
	s_mov_b32 s4, s47
.LBB81_23:                              ;   Parent Loop BB81_17 Depth=1
                                        ; =>  This Loop Header: Depth=2
                                        ;       Child Loop BB81_28 Depth 3
                                        ;         Child Loop BB81_40 Depth 4
                                        ;         Child Loop BB81_45 Depth 4
	;; [unrolled: 1-line block ×8, first 2 shown]
	s_delay_alu instid0(SALU_CYCLE_1) | instskip(NEXT) | instid1(SALU_CYCLE_1)
	s_ashr_i32 s5, s4, 31
	s_lshl_b64 s[42:43], s[4:5], 2
	s_delay_alu instid0(SALU_CYCLE_1)
	s_add_u32 s2, s16, s42
	s_addc_u32 s3, s17, s43
	s_and_b32 vcc_lo, exec_lo, s15
	s_load_b32 s2, s[2:3], 0x0
	s_waitcnt lgkmcnt(0)
	s_sub_i32 s2, s2, s24
	s_cbranch_vccz .LBB81_83
; %bb.24:                               ;   in Loop: Header=BB81_23 Depth=2
	s_add_u32 s44, s6, s42
	s_addc_u32 s45, s7, s43
	s_ashr_i32 s3, s2, 31
	global_load_b32 v14, v15, s[44:45]
	s_waitcnt vmcnt(0)
	v_readfirstlane_b32 s5, v14
	s_cbranch_execnz .LBB81_26
.LBB81_25:                              ;   in Loop: Header=BB81_23 Depth=2
	s_ashr_i32 s3, s2, 31
	s_delay_alu instid0(SALU_CYCLE_1) | instskip(NEXT) | instid1(SALU_CYCLE_1)
	s_lshl_b64 s[44:45], s[2:3], 2
	s_add_u32 s44, s20, s44
	s_addc_u32 s45, s21, s45
	s_load_b32 s5, s[44:45], 0x0
	s_waitcnt lgkmcnt(0)
	s_sub_i32 s5, s5, s25
.LBB81_26:                              ;   in Loop: Header=BB81_23 Depth=2
	s_lshl_b64 s[2:3], s[2:3], 2
	s_delay_alu instid0(SALU_CYCLE_1) | instskip(SKIP_4) | instid1(SALU_CYCLE_1)
	s_add_u32 s2, s54, s2
	s_addc_u32 s3, s55, s3
	s_load_b32 s2, s[2:3], 0x0
	s_waitcnt lgkmcnt(0)
	s_sub_i32 s3, s2, s25
	s_cmp_ge_i32 s5, s3
	s_cbranch_scc1 .LBB81_80
; %bb.27:                               ;   in Loop: Header=BB81_23 Depth=2
	v_ashrrev_i32_e32 v17, 31, v16
	s_mul_i32 s2, s30, s5
	s_mul_i32 s44, s31, s5
	v_add_nc_u32_e32 v14, s2, v26
	v_add_nc_u32_e32 v19, s2, v28
	v_lshlrev_b64 v[17:18], 4, v[16:17]
	v_add_nc_u32_e32 v20, s2, v30
	v_add_nc_u32_e32 v21, s2, v31
	v_mul_lo_u32 v44, s30, v14
	v_mul_lo_u32 v46, s30, v19
	v_add_nc_u32_e32 v45, s44, v26
	v_mul_lo_u32 v47, s30, v20
	v_mul_lo_u32 v48, s30, v21
	v_add_co_u32 v17, vcc_lo, s41, v17
	v_add_co_ci_u32_e32 v18, vcc_lo, s56, v18, vcc_lo
	v_add_nc_u32_e32 v49, s44, v28
	v_add_nc_u32_e32 v50, s44, v30
	;; [unrolled: 1-line block ×3, first 2 shown]
	s_mov_b32 s44, s5
.LBB81_28:                              ;   Parent Loop BB81_17 Depth=1
                                        ;     Parent Loop BB81_23 Depth=2
                                        ; =>    This Loop Header: Depth=3
                                        ;         Child Loop BB81_40 Depth 4
                                        ;         Child Loop BB81_45 Depth 4
	;; [unrolled: 1-line block ×8, first 2 shown]
	s_delay_alu instid0(SALU_CYCLE_1) | instskip(SKIP_2) | instid1(SALU_CYCLE_1)
	s_ashr_i32 s45, s44, 31
	s_mov_b32 s62, -1
	s_lshl_b64 s[60:61], s[44:45], 2
                                        ; implicit-def: $sgpr45
	s_add_u32 s60, s22, s60
	s_addc_u32 s61, s23, s61
	s_load_b32 s2, s[60:61], 0x0
                                        ; implicit-def: $sgpr60
	s_waitcnt lgkmcnt(0)
	s_sub_i32 s61, s2, s25
	s_delay_alu instid0(SALU_CYCLE_1) | instskip(SKIP_3) | instid1(SALU_CYCLE_1)
	s_cmp_lt_i32 s61, s40
	s_cselect_b32 s2, -1, 0
	s_cmp_ge_i32 s61, s58
	s_cselect_b32 s63, -1, 0
	s_or_b32 s2, s2, s63
	s_delay_alu instid0(SALU_CYCLE_1)
	s_and_b32 vcc_lo, exec_lo, s2
                                        ; implicit-def: $sgpr2
	s_cbranch_vccz .LBB81_32
; %bb.29:                               ;   in Loop: Header=BB81_28 Depth=3
	s_mov_b32 s60, -1
	s_and_not1_b32 vcc_lo, exec_lo, s63
	s_mov_b32 s45, s59
	s_mov_b32 s2, s5
	s_cbranch_vccnz .LBB81_31
; %bb.30:                               ;   in Loop: Header=BB81_28 Depth=3
	s_min_i32 s45, s61, s59
	s_mov_b32 s60, 0
	s_mov_b32 s2, s44
.LBB81_31:                              ;   in Loop: Header=BB81_28 Depth=3
	s_mov_b32 s62, 0
.LBB81_32:                              ;   in Loop: Header=BB81_28 Depth=3
	s_delay_alu instid0(SALU_CYCLE_1)
	s_and_not1_b32 vcc_lo, exec_lo, s62
	s_cbranch_vccnz .LBB81_78
; %bb.33:                               ;   in Loop: Header=BB81_28 Depth=3
	s_sub_i32 s2, s61, s40
	s_delay_alu instid0(SALU_CYCLE_1)
	v_mov_b32_e32 v14, s2
	v_lshl_or_b32 v52, s2, 10, v29
	ds_store_b8 v14, v42 offset:32768
	s_and_saveexec_b32 s2, s49
	s_cbranch_execnz .LBB81_37
; %bb.34:                               ;   in Loop: Header=BB81_28 Depth=3
	s_or_b32 exec_lo, exec_lo, s2
	s_and_saveexec_b32 s45, s50
	s_cbranch_execnz .LBB81_47
.LBB81_35:                              ;   in Loop: Header=BB81_28 Depth=3
	s_or_b32 exec_lo, exec_lo, s45
	s_and_saveexec_b32 s2, s51
	s_cbranch_execnz .LBB81_57
.LBB81_36:                              ;   in Loop: Header=BB81_28 Depth=3
	s_or_b32 exec_lo, exec_lo, s2
	s_and_saveexec_b32 s45, s52
	s_cbranch_execnz .LBB81_67
	s_branch .LBB81_77
.LBB81_37:                              ;   in Loop: Header=BB81_28 Depth=3
	s_and_not1_b32 vcc_lo, exec_lo, s28
	s_cbranch_vccnz .LBB81_42
; %bb.38:                               ;   in Loop: Header=BB81_28 Depth=3
	v_mov_b32_e32 v19, 0
	v_mov_b32_e32 v20, 0
	s_and_not1_b32 vcc_lo, exec_lo, s48
	s_delay_alu instid0(VALU_DEP_1)
	v_dual_mov_b32 v22, v20 :: v_dual_mov_b32 v21, v19
	s_cbranch_vccnz .LBB81_41
; %bb.39:                               ;   in Loop: Header=BB81_28 Depth=3
	v_mov_b32_e32 v19, 0
	v_dual_mov_b32 v20, 0 :: v_dual_mov_b32 v23, v43
	s_mov_b32 s45, 0
	s_delay_alu instid0(VALU_DEP_1)
	v_dual_mov_b32 v22, v20 :: v_dual_mov_b32 v21, v19
	.p2align	6
.LBB81_40:                              ;   Parent Loop BB81_17 Depth=1
                                        ;     Parent Loop BB81_23 Depth=2
                                        ;       Parent Loop BB81_28 Depth=3
                                        ; =>      This Inner Loop Header: Depth=4
	s_delay_alu instid0(VALU_DEP_2) | instskip(SKIP_2) | instid1(SALU_CYCLE_1)
	v_ashrrev_i32_e32 v24, 31, v23
	v_add_nc_u32_e32 v14, s45, v44
	s_add_i32 s45, s45, 1
	s_cmp_lg_u32 s30, s45
	s_delay_alu instid0(VALU_DEP_2) | instskip(NEXT) | instid1(VALU_DEP_2)
	v_lshlrev_b64 v[53:54], 4, v[23:24]
	v_lshlrev_b64 v[55:56], 4, v[14:15]
	v_add_nc_u32_e32 v23, s30, v23
	s_delay_alu instid0(VALU_DEP_3) | instskip(NEXT) | instid1(VALU_DEP_4)
	v_add_co_u32 v53, vcc_lo, s18, v53
	v_add_co_ci_u32_e32 v54, vcc_lo, s19, v54, vcc_lo
	s_delay_alu instid0(VALU_DEP_4)
	v_add_co_u32 v57, vcc_lo, s34, v55
	v_add_co_ci_u32_e32 v58, vcc_lo, s35, v56, vcc_lo
	global_load_b128 v[53:56], v[53:54], off
	global_load_b128 v[57:60], v[57:58], off
	s_waitcnt vmcnt(0)
	v_fma_f64 v[19:20], v[53:54], v[57:58], v[19:20]
	v_fma_f64 v[21:22], v[55:56], v[57:58], v[21:22]
	s_delay_alu instid0(VALU_DEP_2) | instskip(NEXT) | instid1(VALU_DEP_2)
	v_fma_f64 v[19:20], -v[55:56], v[59:60], v[19:20]
	v_fma_f64 v[21:22], v[53:54], v[59:60], v[21:22]
	s_cbranch_scc1 .LBB81_40
.LBB81_41:                              ;   in Loop: Header=BB81_28 Depth=3
	s_cbranch_execz .LBB81_43
	s_branch .LBB81_46
.LBB81_42:                              ;   in Loop: Header=BB81_28 Depth=3
                                        ; implicit-def: $vgpr19_vgpr20
                                        ; implicit-def: $vgpr21_vgpr22
.LBB81_43:                              ;   in Loop: Header=BB81_28 Depth=3
	v_mov_b32_e32 v19, 0
	v_mov_b32_e32 v20, 0
	s_and_not1_b32 vcc_lo, exec_lo, s48
	s_delay_alu instid0(VALU_DEP_1)
	v_dual_mov_b32 v22, v20 :: v_dual_mov_b32 v21, v19
	s_cbranch_vccnz .LBB81_46
; %bb.44:                               ;   in Loop: Header=BB81_28 Depth=3
	v_dual_mov_b32 v19, 0 :: v_dual_mov_b32 v24, v18
	v_dual_mov_b32 v20, 0 :: v_dual_mov_b32 v23, v17
	v_mov_b32_e32 v14, v45
	s_mov_b32 s45, s30
	s_delay_alu instid0(VALU_DEP_2)
	v_dual_mov_b32 v22, v20 :: v_dual_mov_b32 v21, v19
	.p2align	6
.LBB81_45:                              ;   Parent Loop BB81_17 Depth=1
                                        ;     Parent Loop BB81_23 Depth=2
                                        ;       Parent Loop BB81_28 Depth=3
                                        ; =>      This Inner Loop Header: Depth=4
	s_delay_alu instid0(VALU_DEP_2) | instskip(SKIP_2) | instid1(SALU_CYCLE_1)
	v_lshlrev_b64 v[53:54], 4, v[14:15]
	v_add_nc_u32_e32 v14, s30, v14
	s_add_i32 s45, s45, -1
	s_cmp_eq_u32 s45, 0
	s_delay_alu instid0(VALU_DEP_2) | instskip(NEXT) | instid1(VALU_DEP_3)
	v_add_co_u32 v57, vcc_lo, s34, v53
	v_add_co_ci_u32_e32 v58, vcc_lo, s35, v54, vcc_lo
	global_load_b128 v[53:56], v[23:24], off offset:-8
	global_load_b128 v[57:60], v[57:58], off
	v_add_co_u32 v23, vcc_lo, v23, 16
	v_add_co_ci_u32_e32 v24, vcc_lo, 0, v24, vcc_lo
	s_waitcnt vmcnt(0)
	v_fma_f64 v[19:20], v[53:54], v[57:58], v[19:20]
	v_fma_f64 v[21:22], v[55:56], v[57:58], v[21:22]
	s_delay_alu instid0(VALU_DEP_2) | instskip(NEXT) | instid1(VALU_DEP_2)
	v_fma_f64 v[19:20], -v[55:56], v[59:60], v[19:20]
	v_fma_f64 v[21:22], v[53:54], v[59:60], v[21:22]
	s_cbranch_scc0 .LBB81_45
.LBB81_46:                              ;   in Loop: Header=BB81_28 Depth=3
	v_or_b32_e32 v14, v52, v26
	s_delay_alu instid0(VALU_DEP_1) | instskip(SKIP_4) | instid1(VALU_DEP_2)
	v_lshlrev_b32_e32 v14, 4, v14
	ds_load_b128 v[53:56], v14
	s_waitcnt lgkmcnt(0)
	v_fma_f64 v[23:24], v[6:7], v[19:20], v[53:54]
	v_fma_f64 v[53:54], v[8:9], v[19:20], v[55:56]
	v_fma_f64 v[19:20], -v[8:9], v[21:22], v[23:24]
	s_delay_alu instid0(VALU_DEP_2)
	v_fma_f64 v[21:22], v[6:7], v[21:22], v[53:54]
	ds_store_b128 v14, v[19:22]
	s_or_b32 exec_lo, exec_lo, s2
	s_and_saveexec_b32 s45, s50
	s_cbranch_execz .LBB81_35
.LBB81_47:                              ;   in Loop: Header=BB81_28 Depth=3
	v_cmp_ne_u32_e64 s2, 1, v41
	s_and_not1_b32 vcc_lo, exec_lo, s28
	s_cbranch_vccnz .LBB81_52
; %bb.48:                               ;   in Loop: Header=BB81_28 Depth=3
	v_mov_b32_e32 v19, 0
	v_mov_b32_e32 v20, 0
	s_and_b32 vcc_lo, exec_lo, s2
	s_delay_alu instid0(VALU_DEP_1)
	v_dual_mov_b32 v22, v20 :: v_dual_mov_b32 v21, v19
	s_cbranch_vccnz .LBB81_51
; %bb.49:                               ;   in Loop: Header=BB81_28 Depth=3
	v_mov_b32_e32 v19, 0
	v_dual_mov_b32 v20, 0 :: v_dual_mov_b32 v23, v43
	s_mov_b32 s2, 0
	s_delay_alu instid0(VALU_DEP_1)
	v_dual_mov_b32 v22, v20 :: v_dual_mov_b32 v21, v19
	.p2align	6
.LBB81_50:                              ;   Parent Loop BB81_17 Depth=1
                                        ;     Parent Loop BB81_23 Depth=2
                                        ;       Parent Loop BB81_28 Depth=3
                                        ; =>      This Inner Loop Header: Depth=4
	s_delay_alu instid0(VALU_DEP_2) | instskip(SKIP_2) | instid1(SALU_CYCLE_1)
	v_ashrrev_i32_e32 v24, 31, v23
	v_add_nc_u32_e32 v14, s2, v46
	s_add_i32 s2, s2, 1
	s_cmp_eq_u32 s30, s2
	s_delay_alu instid0(VALU_DEP_2) | instskip(NEXT) | instid1(VALU_DEP_2)
	v_lshlrev_b64 v[53:54], 4, v[23:24]
	v_lshlrev_b64 v[55:56], 4, v[14:15]
	v_add_nc_u32_e32 v23, s30, v23
	s_delay_alu instid0(VALU_DEP_3) | instskip(NEXT) | instid1(VALU_DEP_4)
	v_add_co_u32 v53, vcc_lo, s18, v53
	v_add_co_ci_u32_e32 v54, vcc_lo, s19, v54, vcc_lo
	s_delay_alu instid0(VALU_DEP_4)
	v_add_co_u32 v57, vcc_lo, s34, v55
	v_add_co_ci_u32_e32 v58, vcc_lo, s35, v56, vcc_lo
	global_load_b128 v[53:56], v[53:54], off
	global_load_b128 v[57:60], v[57:58], off
	s_waitcnt vmcnt(0)
	v_fma_f64 v[19:20], v[53:54], v[57:58], v[19:20]
	v_fma_f64 v[21:22], v[55:56], v[57:58], v[21:22]
	s_delay_alu instid0(VALU_DEP_2) | instskip(NEXT) | instid1(VALU_DEP_2)
	v_fma_f64 v[19:20], -v[55:56], v[59:60], v[19:20]
	v_fma_f64 v[21:22], v[53:54], v[59:60], v[21:22]
	s_cbranch_scc0 .LBB81_50
.LBB81_51:                              ;   in Loop: Header=BB81_28 Depth=3
	s_cbranch_execz .LBB81_53
	s_branch .LBB81_56
.LBB81_52:                              ;   in Loop: Header=BB81_28 Depth=3
                                        ; implicit-def: $vgpr19_vgpr20
                                        ; implicit-def: $vgpr21_vgpr22
.LBB81_53:                              ;   in Loop: Header=BB81_28 Depth=3
	v_mov_b32_e32 v19, 0
	v_mov_b32_e32 v20, 0
	s_and_not1_b32 vcc_lo, exec_lo, s48
	s_delay_alu instid0(VALU_DEP_1)
	v_dual_mov_b32 v22, v20 :: v_dual_mov_b32 v21, v19
	s_cbranch_vccnz .LBB81_56
; %bb.54:                               ;   in Loop: Header=BB81_28 Depth=3
	v_dual_mov_b32 v19, 0 :: v_dual_mov_b32 v24, v18
	v_dual_mov_b32 v20, 0 :: v_dual_mov_b32 v23, v17
	v_mov_b32_e32 v14, v49
	s_mov_b32 s2, s30
	s_delay_alu instid0(VALU_DEP_2)
	v_dual_mov_b32 v22, v20 :: v_dual_mov_b32 v21, v19
	.p2align	6
.LBB81_55:                              ;   Parent Loop BB81_17 Depth=1
                                        ;     Parent Loop BB81_23 Depth=2
                                        ;       Parent Loop BB81_28 Depth=3
                                        ; =>      This Inner Loop Header: Depth=4
	s_delay_alu instid0(VALU_DEP_2) | instskip(SKIP_2) | instid1(SALU_CYCLE_1)
	v_lshlrev_b64 v[53:54], 4, v[14:15]
	v_add_nc_u32_e32 v14, s30, v14
	s_add_i32 s2, s2, -1
	s_cmp_eq_u32 s2, 0
	s_delay_alu instid0(VALU_DEP_2) | instskip(NEXT) | instid1(VALU_DEP_3)
	v_add_co_u32 v57, vcc_lo, s34, v53
	v_add_co_ci_u32_e32 v58, vcc_lo, s35, v54, vcc_lo
	global_load_b128 v[53:56], v[23:24], off offset:-8
	global_load_b128 v[57:60], v[57:58], off
	v_add_co_u32 v23, vcc_lo, v23, 16
	v_add_co_ci_u32_e32 v24, vcc_lo, 0, v24, vcc_lo
	s_waitcnt vmcnt(0)
	v_fma_f64 v[19:20], v[53:54], v[57:58], v[19:20]
	v_fma_f64 v[21:22], v[55:56], v[57:58], v[21:22]
	s_delay_alu instid0(VALU_DEP_2) | instskip(NEXT) | instid1(VALU_DEP_2)
	v_fma_f64 v[19:20], -v[55:56], v[59:60], v[19:20]
	v_fma_f64 v[21:22], v[53:54], v[59:60], v[21:22]
	s_cbranch_scc0 .LBB81_55
.LBB81_56:                              ;   in Loop: Header=BB81_28 Depth=3
	v_add_lshl_u32 v14, v52, v26, 4
	ds_load_b128 v[53:56], v14 offset:128
	s_waitcnt lgkmcnt(0)
	v_fma_f64 v[23:24], v[6:7], v[19:20], v[53:54]
	v_fma_f64 v[53:54], v[8:9], v[19:20], v[55:56]
	s_delay_alu instid0(VALU_DEP_2) | instskip(NEXT) | instid1(VALU_DEP_2)
	v_fma_f64 v[19:20], -v[8:9], v[21:22], v[23:24]
	v_fma_f64 v[21:22], v[6:7], v[21:22], v[53:54]
	ds_store_b128 v14, v[19:22] offset:128
	s_or_b32 exec_lo, exec_lo, s45
	s_and_saveexec_b32 s2, s51
	s_cbranch_execz .LBB81_36
.LBB81_57:                              ;   in Loop: Header=BB81_28 Depth=3
	s_and_not1_b32 vcc_lo, exec_lo, s28
	s_cbranch_vccnz .LBB81_62
; %bb.58:                               ;   in Loop: Header=BB81_28 Depth=3
	v_mov_b32_e32 v19, 0
	v_mov_b32_e32 v20, 0
	s_and_not1_b32 vcc_lo, exec_lo, s48
	s_delay_alu instid0(VALU_DEP_1)
	v_dual_mov_b32 v22, v20 :: v_dual_mov_b32 v21, v19
	s_cbranch_vccnz .LBB81_61
; %bb.59:                               ;   in Loop: Header=BB81_28 Depth=3
	v_mov_b32_e32 v19, 0
	v_dual_mov_b32 v20, 0 :: v_dual_mov_b32 v23, v43
	s_mov_b32 s45, 0
	s_delay_alu instid0(VALU_DEP_1)
	v_dual_mov_b32 v22, v20 :: v_dual_mov_b32 v21, v19
	.p2align	6
.LBB81_60:                              ;   Parent Loop BB81_17 Depth=1
                                        ;     Parent Loop BB81_23 Depth=2
                                        ;       Parent Loop BB81_28 Depth=3
                                        ; =>      This Inner Loop Header: Depth=4
	s_delay_alu instid0(VALU_DEP_2) | instskip(SKIP_2) | instid1(SALU_CYCLE_1)
	v_ashrrev_i32_e32 v24, 31, v23
	v_add_nc_u32_e32 v14, s45, v47
	s_add_i32 s45, s45, 1
	s_cmp_eq_u32 s30, s45
	s_delay_alu instid0(VALU_DEP_2) | instskip(NEXT) | instid1(VALU_DEP_2)
	v_lshlrev_b64 v[53:54], 4, v[23:24]
	v_lshlrev_b64 v[55:56], 4, v[14:15]
	v_add_nc_u32_e32 v23, s30, v23
	s_delay_alu instid0(VALU_DEP_3) | instskip(NEXT) | instid1(VALU_DEP_4)
	v_add_co_u32 v53, vcc_lo, s18, v53
	v_add_co_ci_u32_e32 v54, vcc_lo, s19, v54, vcc_lo
	s_delay_alu instid0(VALU_DEP_4)
	v_add_co_u32 v57, vcc_lo, s34, v55
	v_add_co_ci_u32_e32 v58, vcc_lo, s35, v56, vcc_lo
	global_load_b128 v[53:56], v[53:54], off
	global_load_b128 v[57:60], v[57:58], off
	s_waitcnt vmcnt(0)
	v_fma_f64 v[19:20], v[53:54], v[57:58], v[19:20]
	v_fma_f64 v[21:22], v[55:56], v[57:58], v[21:22]
	s_delay_alu instid0(VALU_DEP_2) | instskip(NEXT) | instid1(VALU_DEP_2)
	v_fma_f64 v[19:20], -v[55:56], v[59:60], v[19:20]
	v_fma_f64 v[21:22], v[53:54], v[59:60], v[21:22]
	s_cbranch_scc0 .LBB81_60
.LBB81_61:                              ;   in Loop: Header=BB81_28 Depth=3
	s_cbranch_execz .LBB81_63
	s_branch .LBB81_66
.LBB81_62:                              ;   in Loop: Header=BB81_28 Depth=3
                                        ; implicit-def: $vgpr19_vgpr20
                                        ; implicit-def: $vgpr21_vgpr22
.LBB81_63:                              ;   in Loop: Header=BB81_28 Depth=3
	v_mov_b32_e32 v19, 0
	v_mov_b32_e32 v20, 0
	s_and_not1_b32 vcc_lo, exec_lo, s48
	s_delay_alu instid0(VALU_DEP_1)
	v_dual_mov_b32 v22, v20 :: v_dual_mov_b32 v21, v19
	s_cbranch_vccnz .LBB81_66
; %bb.64:                               ;   in Loop: Header=BB81_28 Depth=3
	v_dual_mov_b32 v19, 0 :: v_dual_mov_b32 v24, v18
	v_dual_mov_b32 v20, 0 :: v_dual_mov_b32 v23, v17
	v_mov_b32_e32 v14, v50
	s_mov_b32 s45, s30
	s_delay_alu instid0(VALU_DEP_2)
	v_dual_mov_b32 v22, v20 :: v_dual_mov_b32 v21, v19
	.p2align	6
.LBB81_65:                              ;   Parent Loop BB81_17 Depth=1
                                        ;     Parent Loop BB81_23 Depth=2
                                        ;       Parent Loop BB81_28 Depth=3
                                        ; =>      This Inner Loop Header: Depth=4
	s_delay_alu instid0(VALU_DEP_2) | instskip(SKIP_2) | instid1(SALU_CYCLE_1)
	v_lshlrev_b64 v[53:54], 4, v[14:15]
	v_add_nc_u32_e32 v14, s30, v14
	s_add_i32 s45, s45, -1
	s_cmp_eq_u32 s45, 0
	s_delay_alu instid0(VALU_DEP_2) | instskip(NEXT) | instid1(VALU_DEP_3)
	v_add_co_u32 v57, vcc_lo, s34, v53
	v_add_co_ci_u32_e32 v58, vcc_lo, s35, v54, vcc_lo
	global_load_b128 v[53:56], v[23:24], off offset:-8
	global_load_b128 v[57:60], v[57:58], off
	v_add_co_u32 v23, vcc_lo, v23, 16
	v_add_co_ci_u32_e32 v24, vcc_lo, 0, v24, vcc_lo
	s_waitcnt vmcnt(0)
	v_fma_f64 v[19:20], v[53:54], v[57:58], v[19:20]
	v_fma_f64 v[21:22], v[55:56], v[57:58], v[21:22]
	s_delay_alu instid0(VALU_DEP_2) | instskip(NEXT) | instid1(VALU_DEP_2)
	v_fma_f64 v[19:20], -v[55:56], v[59:60], v[19:20]
	v_fma_f64 v[21:22], v[53:54], v[59:60], v[21:22]
	s_cbranch_scc0 .LBB81_65
.LBB81_66:                              ;   in Loop: Header=BB81_28 Depth=3
	v_add_lshl_u32 v14, v52, v26, 4
	ds_load_b128 v[53:56], v14 offset:256
	s_waitcnt lgkmcnt(0)
	v_fma_f64 v[23:24], v[6:7], v[19:20], v[53:54]
	v_fma_f64 v[53:54], v[8:9], v[19:20], v[55:56]
	s_delay_alu instid0(VALU_DEP_2) | instskip(NEXT) | instid1(VALU_DEP_2)
	v_fma_f64 v[19:20], -v[8:9], v[21:22], v[23:24]
	v_fma_f64 v[21:22], v[6:7], v[21:22], v[53:54]
	ds_store_b128 v14, v[19:22] offset:256
	s_or_b32 exec_lo, exec_lo, s2
	s_and_saveexec_b32 s45, s52
	s_cbranch_execz .LBB81_77
.LBB81_67:                              ;   in Loop: Header=BB81_28 Depth=3
	v_cmp_ne_u32_e64 s2, 1, v41
	s_and_not1_b32 vcc_lo, exec_lo, s28
	s_cbranch_vccnz .LBB81_72
; %bb.68:                               ;   in Loop: Header=BB81_28 Depth=3
	v_mov_b32_e32 v19, 0
	v_mov_b32_e32 v20, 0
	s_and_b32 vcc_lo, exec_lo, s2
	s_delay_alu instid0(VALU_DEP_1)
	v_dual_mov_b32 v22, v20 :: v_dual_mov_b32 v21, v19
	s_cbranch_vccnz .LBB81_71
; %bb.69:                               ;   in Loop: Header=BB81_28 Depth=3
	v_mov_b32_e32 v19, 0
	v_dual_mov_b32 v20, 0 :: v_dual_mov_b32 v23, v43
	s_mov_b32 s2, 0
	s_delay_alu instid0(VALU_DEP_1)
	v_dual_mov_b32 v22, v20 :: v_dual_mov_b32 v21, v19
	.p2align	6
.LBB81_70:                              ;   Parent Loop BB81_17 Depth=1
                                        ;     Parent Loop BB81_23 Depth=2
                                        ;       Parent Loop BB81_28 Depth=3
                                        ; =>      This Inner Loop Header: Depth=4
	s_delay_alu instid0(VALU_DEP_2) | instskip(SKIP_2) | instid1(SALU_CYCLE_1)
	v_ashrrev_i32_e32 v24, 31, v23
	v_add_nc_u32_e32 v14, s2, v48
	s_add_i32 s2, s2, 1
	s_cmp_eq_u32 s30, s2
	s_delay_alu instid0(VALU_DEP_2) | instskip(NEXT) | instid1(VALU_DEP_2)
	v_lshlrev_b64 v[53:54], 4, v[23:24]
	v_lshlrev_b64 v[55:56], 4, v[14:15]
	v_add_nc_u32_e32 v23, s30, v23
	s_delay_alu instid0(VALU_DEP_3) | instskip(NEXT) | instid1(VALU_DEP_4)
	v_add_co_u32 v53, vcc_lo, s18, v53
	v_add_co_ci_u32_e32 v54, vcc_lo, s19, v54, vcc_lo
	s_delay_alu instid0(VALU_DEP_4)
	v_add_co_u32 v57, vcc_lo, s34, v55
	v_add_co_ci_u32_e32 v58, vcc_lo, s35, v56, vcc_lo
	global_load_b128 v[53:56], v[53:54], off
	global_load_b128 v[57:60], v[57:58], off
	s_waitcnt vmcnt(0)
	v_fma_f64 v[19:20], v[53:54], v[57:58], v[19:20]
	v_fma_f64 v[21:22], v[55:56], v[57:58], v[21:22]
	s_delay_alu instid0(VALU_DEP_2) | instskip(NEXT) | instid1(VALU_DEP_2)
	v_fma_f64 v[19:20], -v[55:56], v[59:60], v[19:20]
	v_fma_f64 v[21:22], v[53:54], v[59:60], v[21:22]
	s_cbranch_scc0 .LBB81_70
.LBB81_71:                              ;   in Loop: Header=BB81_28 Depth=3
	s_cbranch_execz .LBB81_73
	s_branch .LBB81_76
.LBB81_72:                              ;   in Loop: Header=BB81_28 Depth=3
                                        ; implicit-def: $vgpr19_vgpr20
                                        ; implicit-def: $vgpr21_vgpr22
.LBB81_73:                              ;   in Loop: Header=BB81_28 Depth=3
	v_mov_b32_e32 v19, 0
	v_mov_b32_e32 v20, 0
	s_and_not1_b32 vcc_lo, exec_lo, s48
	s_delay_alu instid0(VALU_DEP_1)
	v_dual_mov_b32 v22, v20 :: v_dual_mov_b32 v21, v19
	s_cbranch_vccnz .LBB81_76
; %bb.74:                               ;   in Loop: Header=BB81_28 Depth=3
	v_dual_mov_b32 v19, 0 :: v_dual_mov_b32 v24, v18
	v_dual_mov_b32 v20, 0 :: v_dual_mov_b32 v23, v17
	v_mov_b32_e32 v14, v51
	s_mov_b32 s2, s30
	s_delay_alu instid0(VALU_DEP_2)
	v_dual_mov_b32 v22, v20 :: v_dual_mov_b32 v21, v19
	.p2align	6
.LBB81_75:                              ;   Parent Loop BB81_17 Depth=1
                                        ;     Parent Loop BB81_23 Depth=2
                                        ;       Parent Loop BB81_28 Depth=3
                                        ; =>      This Inner Loop Header: Depth=4
	s_delay_alu instid0(VALU_DEP_2) | instskip(SKIP_2) | instid1(SALU_CYCLE_1)
	v_lshlrev_b64 v[53:54], 4, v[14:15]
	v_add_nc_u32_e32 v14, s30, v14
	s_add_i32 s2, s2, -1
	s_cmp_eq_u32 s2, 0
	s_delay_alu instid0(VALU_DEP_2) | instskip(NEXT) | instid1(VALU_DEP_3)
	v_add_co_u32 v57, vcc_lo, s34, v53
	v_add_co_ci_u32_e32 v58, vcc_lo, s35, v54, vcc_lo
	global_load_b128 v[53:56], v[23:24], off offset:-8
	global_load_b128 v[57:60], v[57:58], off
	v_add_co_u32 v23, vcc_lo, v23, 16
	v_add_co_ci_u32_e32 v24, vcc_lo, 0, v24, vcc_lo
	s_waitcnt vmcnt(0)
	v_fma_f64 v[19:20], v[53:54], v[57:58], v[19:20]
	v_fma_f64 v[21:22], v[55:56], v[57:58], v[21:22]
	s_delay_alu instid0(VALU_DEP_2) | instskip(NEXT) | instid1(VALU_DEP_2)
	v_fma_f64 v[19:20], -v[55:56], v[59:60], v[19:20]
	v_fma_f64 v[21:22], v[53:54], v[59:60], v[21:22]
	s_cbranch_scc0 .LBB81_75
.LBB81_76:                              ;   in Loop: Header=BB81_28 Depth=3
	v_add_lshl_u32 v14, v52, v26, 4
	ds_load_b128 v[52:55], v14 offset:384
	s_waitcnt lgkmcnt(0)
	v_fma_f64 v[23:24], v[6:7], v[19:20], v[52:53]
	v_fma_f64 v[52:53], v[8:9], v[19:20], v[54:55]
	s_delay_alu instid0(VALU_DEP_2) | instskip(NEXT) | instid1(VALU_DEP_2)
	v_fma_f64 v[19:20], -v[8:9], v[21:22], v[23:24]
	v_fma_f64 v[21:22], v[6:7], v[21:22], v[52:53]
	ds_store_b128 v14, v[19:22] offset:384
.LBB81_77:                              ;   in Loop: Header=BB81_28 Depth=3
	s_or_b32 exec_lo, exec_lo, s45
	s_mov_b32 s60, -1
	s_mov_b32 s45, s59
	s_mov_b32 s2, s5
	s_waitcnt lgkmcnt(0)
	s_waitcnt_vscnt null, 0x0
	s_barrier
	buffer_gl0_inv
.LBB81_78:                              ;   in Loop: Header=BB81_28 Depth=3
	s_add_i32 s44, s44, 1
	v_add_nc_u32_e32 v44, s31, v44
	s_cmp_lt_i32 s44, s3
	v_add_nc_u32_e32 v45, s31, v45
	s_cselect_b32 s5, -1, 0
	v_add_nc_u32_e32 v46, s31, v46
	v_add_nc_u32_e32 v49, s31, v49
	;; [unrolled: 1-line block ×6, first 2 shown]
	s_and_b32 s5, s60, s5
	s_delay_alu instid0(SALU_CYCLE_1)
	s_and_b32 vcc_lo, exec_lo, s5
	s_cbranch_vccz .LBB81_81
; %bb.79:                               ;   in Loop: Header=BB81_28 Depth=3
	s_mov_b32 s59, s45
	s_mov_b32 s5, s2
	s_branch .LBB81_28
.LBB81_80:                              ;   in Loop: Header=BB81_23 Depth=2
	s_mov_b32 s45, s59
	s_mov_b32 s2, s5
.LBB81_81:                              ;   in Loop: Header=BB81_23 Depth=2
	s_add_u32 s42, s6, s42
	v_dual_mov_b32 v14, s2 :: v_dual_add_nc_u32 v43, s31, v43
	v_add_nc_u32_e32 v16, s31, v16
	s_addc_u32 s43, s7, s43
	s_add_i32 s4, s4, 1
	global_store_b32 v15, v14, s[42:43]
	s_cmp_lt_i32 s4, s46
	s_cbranch_scc0 .LBB81_84
; %bb.82:                               ;   in Loop: Header=BB81_23 Depth=2
	s_mov_b32 s59, s45
	s_branch .LBB81_23
.LBB81_83:                              ;   in Loop: Header=BB81_23 Depth=2
                                        ; implicit-def: $sgpr5
	s_branch .LBB81_25
.LBB81_84:                              ;   in Loop: Header=BB81_17 Depth=1
	s_and_not1_b32 vcc_lo, exec_lo, s33
	s_cbranch_vccnz .LBB81_116
; %bb.85:                               ;   in Loop: Header=BB81_17 Depth=1
	s_load_b64 s[4:5], s[8:9], 0x0
	s_waitcnt lgkmcnt(0)
	s_cmp_ge_i32 s4, s5
	s_cbranch_scc1 .LBB81_116
; %bb.86:                               ;   in Loop: Header=BB81_17 Depth=1
	s_sub_i32 s2, s4, s27
	s_sub_i32 s15, s5, s27
	s_mul_i32 s3, s30, s2
	v_mov_b32_e32 v20, v12
	v_add_nc_u32_e32 v14, s3, v26
	v_add_nc_u32_e32 v17, s3, v28
	;; [unrolled: 1-line block ×4, first 2 shown]
	s_ashr_i32 s3, s2, 31
	v_mul_lo_u32 v16, s30, v14
	v_mul_lo_u32 v17, s30, v17
	;; [unrolled: 1-line block ×4, first 2 shown]
	s_lshl_b64 s[42:43], s[2:3], 2
	s_add_i32 s3, s57, s4
	s_add_u32 s4, s10, s42
	s_addc_u32 s5, s11, s43
	s_branch .LBB81_90
.LBB81_87:                              ;   in Loop: Header=BB81_90 Depth=2
	s_delay_alu instid0(VALU_DEP_1) | instskip(SKIP_1) | instid1(VALU_DEP_2)
	v_lshlrev_b64 v[22:23], 4, v[14:15]
	v_add_lshl_u32 v14, v21, v26, 4
	v_add_co_u32 v22, vcc_lo, s12, v22
	s_delay_alu instid0(VALU_DEP_3)
	v_add_co_ci_u32_e32 v23, vcc_lo, s13, v23, vcc_lo
	global_load_b128 v[43:46], v[22:23], off
	ds_load_b128 v[21:24], v14 offset:384
	s_waitcnt vmcnt(0) lgkmcnt(0)
	v_fma_f64 v[21:22], v[10:11], v[43:44], v[21:22]
	v_fma_f64 v[23:24], v[4:5], v[43:44], v[23:24]
	s_delay_alu instid0(VALU_DEP_2) | instskip(NEXT) | instid1(VALU_DEP_2)
	v_fma_f64 v[21:22], -v[4:5], v[45:46], v[21:22]
	v_fma_f64 v[23:24], v[10:11], v[45:46], v[23:24]
	ds_store_b128 v14, v[21:24] offset:384
.LBB81_88:                              ;   in Loop: Header=BB81_90 Depth=2
	s_or_b32 exec_lo, exec_lo, s42
	s_mov_b32 s43, -1
	s_mov_b32 s42, s45
	s_waitcnt lgkmcnt(0)
	s_waitcnt_vscnt null, 0x0
	s_barrier
	buffer_gl0_inv
.LBB81_89:                              ;   in Loop: Header=BB81_90 Depth=2
	s_add_i32 s2, s2, 1
	s_cmp_lt_i32 s3, s15
	v_add_nc_u32_e32 v20, s31, v20
	s_cselect_b32 s44, -1, 0
	s_add_i32 s3, s3, 1
	s_and_b32 s43, s43, s44
	s_add_u32 s4, s4, 4
	s_addc_u32 s5, s5, 0
	s_mov_b32 s45, s42
	s_and_b32 vcc_lo, exec_lo, s43
	s_cbranch_vccz .LBB81_116
.LBB81_90:                              ;   Parent Loop BB81_17 Depth=1
                                        ; =>  This Inner Loop Header: Depth=2
	s_load_b32 s42, s[4:5], 0x0
	s_waitcnt lgkmcnt(0)
	s_sub_i32 s44, s42, s27
	s_delay_alu instid0(SALU_CYCLE_1)
	s_cmp_lt_i32 s44, s40
	s_cselect_b32 s42, -1, 0
	s_cmp_lt_i32 s44, s58
	s_cselect_b32 s43, -1, 0
	s_cmp_ge_i32 s44, s58
	s_cselect_b32 s59, -1, 0
	s_delay_alu instid0(SALU_CYCLE_1)
	s_or_b32 s42, s42, s59
	s_mov_b32 s59, -1
	s_and_b32 vcc_lo, exec_lo, s42
                                        ; implicit-def: $sgpr42
	s_cbranch_vccz .LBB81_92
; %bb.91:                               ;   in Loop: Header=BB81_90 Depth=2
	s_min_i32 s42, s44, s45
	s_and_b32 s59, s43, exec_lo
	s_cselect_b32 s42, s45, s42
	s_mov_b32 s59, 0
.LBB81_92:                              ;   in Loop: Header=BB81_90 Depth=2
	s_delay_alu instid0(SALU_CYCLE_1)
	s_and_not1_b32 vcc_lo, exec_lo, s59
	s_cbranch_vccnz .LBB81_89
; %bb.93:                               ;   in Loop: Header=BB81_90 Depth=2
	v_mad_u64_u32 v[21:22], null, s2, s30, v[12:13]
	s_sub_i32 s42, s44, s40
	s_delay_alu instid0(SALU_CYCLE_1) | instskip(NEXT) | instid1(VALU_DEP_2)
	v_mov_b32_e32 v14, s42
	v_mul_lo_u32 v22, v21, s30
	v_lshl_or_b32 v21, s42, 10, v29
	ds_store_b8 v14, v42 offset:32768
	s_and_saveexec_b32 s42, s49
	s_cbranch_execnz .LBB81_97
; %bb.94:                               ;   in Loop: Header=BB81_90 Depth=2
	s_or_b32 exec_lo, exec_lo, s42
	s_and_saveexec_b32 s42, s50
	s_cbranch_execnz .LBB81_101
.LBB81_95:                              ;   in Loop: Header=BB81_90 Depth=2
	s_or_b32 exec_lo, exec_lo, s42
	s_and_saveexec_b32 s42, s51
	s_cbranch_execnz .LBB81_105
.LBB81_96:                              ;   in Loop: Header=BB81_90 Depth=2
	s_or_b32 exec_lo, exec_lo, s42
	s_and_saveexec_b32 s42, s52
	s_cbranch_execz .LBB81_88
	s_branch .LBB81_109
.LBB81_97:                              ;   in Loop: Header=BB81_90 Depth=2
	s_and_b32 vcc_lo, exec_lo, s28
	s_cbranch_vccz .LBB81_111
; %bb.98:                               ;   in Loop: Header=BB81_90 Depth=2
	v_add_nc_u32_e32 v14, v16, v20
	s_cbranch_execnz .LBB81_100
.LBB81_99:                              ;   in Loop: Header=BB81_90 Depth=2
	v_add_nc_u32_e32 v14, v22, v26
.LBB81_100:                             ;   in Loop: Header=BB81_90 Depth=2
	s_delay_alu instid0(VALU_DEP_1) | instskip(SKIP_1) | instid1(VALU_DEP_1)
	v_lshlrev_b64 v[23:24], 4, v[14:15]
	v_or_b32_e32 v14, v21, v26
	v_lshlrev_b32_e32 v14, 4, v14
	s_delay_alu instid0(VALU_DEP_3) | instskip(NEXT) | instid1(VALU_DEP_4)
	v_add_co_u32 v23, vcc_lo, s12, v23
	v_add_co_ci_u32_e32 v24, vcc_lo, s13, v24, vcc_lo
	ds_load_b128 v[47:50], v14
	global_load_b128 v[43:46], v[23:24], off
	s_waitcnt vmcnt(0) lgkmcnt(0)
	v_fma_f64 v[23:24], v[10:11], v[43:44], v[47:48]
	v_fma_f64 v[47:48], v[4:5], v[43:44], v[49:50]
	s_delay_alu instid0(VALU_DEP_2) | instskip(NEXT) | instid1(VALU_DEP_2)
	v_fma_f64 v[43:44], -v[4:5], v[45:46], v[23:24]
	v_fma_f64 v[45:46], v[10:11], v[45:46], v[47:48]
	ds_store_b128 v14, v[43:46]
	s_or_b32 exec_lo, exec_lo, s42
	s_and_saveexec_b32 s42, s50
	s_cbranch_execz .LBB81_95
.LBB81_101:                             ;   in Loop: Header=BB81_90 Depth=2
	s_and_not1_b32 vcc_lo, exec_lo, s28
	s_cbranch_vccnz .LBB81_112
; %bb.102:                              ;   in Loop: Header=BB81_90 Depth=2
	v_add_nc_u32_e32 v14, v17, v20
	s_cbranch_execnz .LBB81_104
.LBB81_103:                             ;   in Loop: Header=BB81_90 Depth=2
	v_add_nc_u32_e32 v14, v22, v28
.LBB81_104:                             ;   in Loop: Header=BB81_90 Depth=2
	s_delay_alu instid0(VALU_DEP_1)
	v_lshlrev_b64 v[23:24], 4, v[14:15]
	v_add_lshl_u32 v14, v21, v26, 4
	ds_load_b128 v[47:50], v14 offset:128
	v_add_co_u32 v23, vcc_lo, s12, v23
	v_add_co_ci_u32_e32 v24, vcc_lo, s13, v24, vcc_lo
	global_load_b128 v[43:46], v[23:24], off
	s_waitcnt vmcnt(0) lgkmcnt(0)
	v_fma_f64 v[23:24], v[10:11], v[43:44], v[47:48]
	v_fma_f64 v[47:48], v[4:5], v[43:44], v[49:50]
	s_delay_alu instid0(VALU_DEP_2) | instskip(NEXT) | instid1(VALU_DEP_2)
	v_fma_f64 v[43:44], -v[4:5], v[45:46], v[23:24]
	v_fma_f64 v[45:46], v[10:11], v[45:46], v[47:48]
	ds_store_b128 v14, v[43:46] offset:128
	s_or_b32 exec_lo, exec_lo, s42
	s_and_saveexec_b32 s42, s51
	s_cbranch_execz .LBB81_96
.LBB81_105:                             ;   in Loop: Header=BB81_90 Depth=2
	s_and_not1_b32 vcc_lo, exec_lo, s28
	s_cbranch_vccnz .LBB81_113
; %bb.106:                              ;   in Loop: Header=BB81_90 Depth=2
	v_add_nc_u32_e32 v14, v18, v20
	s_cbranch_execnz .LBB81_108
.LBB81_107:                             ;   in Loop: Header=BB81_90 Depth=2
	v_add_nc_u32_e32 v14, v22, v30
.LBB81_108:                             ;   in Loop: Header=BB81_90 Depth=2
	s_delay_alu instid0(VALU_DEP_1)
	v_lshlrev_b64 v[23:24], 4, v[14:15]
	v_add_lshl_u32 v14, v21, v26, 4
	ds_load_b128 v[47:50], v14 offset:256
	v_add_co_u32 v23, vcc_lo, s12, v23
	v_add_co_ci_u32_e32 v24, vcc_lo, s13, v24, vcc_lo
	global_load_b128 v[43:46], v[23:24], off
	s_waitcnt vmcnt(0) lgkmcnt(0)
	v_fma_f64 v[23:24], v[10:11], v[43:44], v[47:48]
	v_fma_f64 v[47:48], v[4:5], v[43:44], v[49:50]
	s_delay_alu instid0(VALU_DEP_2) | instskip(NEXT) | instid1(VALU_DEP_2)
	v_fma_f64 v[43:44], -v[4:5], v[45:46], v[23:24]
	v_fma_f64 v[45:46], v[10:11], v[45:46], v[47:48]
	ds_store_b128 v14, v[43:46] offset:256
	s_or_b32 exec_lo, exec_lo, s42
	s_and_saveexec_b32 s42, s52
	s_cbranch_execz .LBB81_88
.LBB81_109:                             ;   in Loop: Header=BB81_90 Depth=2
	s_and_not1_b32 vcc_lo, exec_lo, s28
	s_cbranch_vccnz .LBB81_114
; %bb.110:                              ;   in Loop: Header=BB81_90 Depth=2
	v_add_nc_u32_e32 v14, v19, v20
	s_cbranch_execnz .LBB81_87
	s_branch .LBB81_115
.LBB81_111:                             ;   in Loop: Header=BB81_90 Depth=2
	s_branch .LBB81_99
.LBB81_112:                             ;   in Loop: Header=BB81_90 Depth=2
	s_branch .LBB81_103
.LBB81_113:                             ;   in Loop: Header=BB81_90 Depth=2
	s_branch .LBB81_107
.LBB81_114:                             ;   in Loop: Header=BB81_90 Depth=2
.LBB81_115:                             ;   in Loop: Header=BB81_90 Depth=2
	v_add_nc_u32_e32 v14, v22, v31
	s_branch .LBB81_87
.LBB81_116:                             ;   in Loop: Header=BB81_17 Depth=1
	s_waitcnt_vscnt null, 0x0
	s_barrier
	buffer_gl0_inv
	ds_load_u8 v14, v15 offset:32768
	s_add_i32 s3, s40, s26
	s_mov_b32 s2, 0
	s_waitcnt lgkmcnt(0)
	v_cmp_eq_u32_e32 vcc_lo, 0, v14
	s_cbranch_vccnz .LBB81_138
; %bb.117:                              ;   in Loop: Header=BB81_17 Depth=1
	s_mul_i32 s2, s14, s30
	s_ashr_i32 s15, s14, 31
	v_add_nc_u32_e32 v14, s2, v12
	s_lshl_b64 s[4:5], s[14:15], 2
	s_delay_alu instid0(SALU_CYCLE_1) | instskip(SKIP_1) | instid1(VALU_DEP_1)
	s_add_u32 s4, s36, s4
	s_addc_u32 s5, s37, s5
	v_mul_lo_u32 v16, v14, s30
	v_mov_b32_e32 v14, s3
	global_store_b32 v15, v14, s[4:5]
	s_and_saveexec_b32 s4, s49
	s_cbranch_execnz .LBB81_121
; %bb.118:                              ;   in Loop: Header=BB81_17 Depth=1
	s_or_b32 exec_lo, exec_lo, s4
	s_and_saveexec_b32 s4, s50
	s_cbranch_execnz .LBB81_125
.LBB81_119:                             ;   in Loop: Header=BB81_17 Depth=1
	s_or_b32 exec_lo, exec_lo, s4
	s_and_saveexec_b32 s4, s51
	s_cbranch_execnz .LBB81_129
.LBB81_120:                             ;   in Loop: Header=BB81_17 Depth=1
	s_or_b32 exec_lo, exec_lo, s4
	s_and_saveexec_b32 s4, s52
	s_cbranch_execnz .LBB81_133
	s_branch .LBB81_137
.LBB81_121:                             ;   in Loop: Header=BB81_17 Depth=1
	s_and_b32 vcc_lo, exec_lo, s28
	s_cbranch_vccz .LBB81_157
; %bb.122:                              ;   in Loop: Header=BB81_17 Depth=1
	v_add_nc_u32_e32 v14, s2, v26
	s_delay_alu instid0(VALU_DEP_1) | instskip(NEXT) | instid1(VALU_DEP_1)
	v_mad_u64_u32 v[17:18], null, v14, s30, v[12:13]
	v_mov_b32_e32 v14, v17
	s_cbranch_execnz .LBB81_124
.LBB81_123:                             ;   in Loop: Header=BB81_17 Depth=1
	v_add_nc_u32_e32 v14, v16, v26
.LBB81_124:                             ;   in Loop: Header=BB81_17 Depth=1
	ds_load_2addr_b64 v[17:20], v32 offset1:1
	v_lshlrev_b64 v[21:22], 4, v[14:15]
	s_delay_alu instid0(VALU_DEP_1) | instskip(NEXT) | instid1(VALU_DEP_2)
	v_add_co_u32 v21, vcc_lo, s38, v21
	v_add_co_ci_u32_e32 v22, vcc_lo, s39, v22, vcc_lo
	s_waitcnt lgkmcnt(0)
	global_store_b128 v[21:22], v[17:20], off
	s_or_b32 exec_lo, exec_lo, s4
	s_and_saveexec_b32 s4, s50
	s_cbranch_execz .LBB81_119
.LBB81_125:                             ;   in Loop: Header=BB81_17 Depth=1
	s_and_not1_b32 vcc_lo, exec_lo, s28
	s_cbranch_vccnz .LBB81_158
; %bb.126:                              ;   in Loop: Header=BB81_17 Depth=1
	v_add_nc_u32_e32 v14, s2, v28
	s_delay_alu instid0(VALU_DEP_1) | instskip(NEXT) | instid1(VALU_DEP_1)
	v_mad_u64_u32 v[17:18], null, v14, s30, v[12:13]
	v_mov_b32_e32 v14, v17
	s_cbranch_execnz .LBB81_128
.LBB81_127:                             ;   in Loop: Header=BB81_17 Depth=1
	v_add_nc_u32_e32 v14, v16, v28
.LBB81_128:                             ;   in Loop: Header=BB81_17 Depth=1
	ds_load_2addr_b64 v[17:20], v36 offset1:1
	v_lshlrev_b64 v[21:22], 4, v[14:15]
	s_delay_alu instid0(VALU_DEP_1) | instskip(NEXT) | instid1(VALU_DEP_2)
	v_add_co_u32 v21, vcc_lo, s38, v21
	v_add_co_ci_u32_e32 v22, vcc_lo, s39, v22, vcc_lo
	s_waitcnt lgkmcnt(0)
	global_store_b128 v[21:22], v[17:20], off
	s_or_b32 exec_lo, exec_lo, s4
	s_and_saveexec_b32 s4, s51
	s_cbranch_execz .LBB81_120
.LBB81_129:                             ;   in Loop: Header=BB81_17 Depth=1
	s_and_not1_b32 vcc_lo, exec_lo, s28
	s_cbranch_vccnz .LBB81_159
; %bb.130:                              ;   in Loop: Header=BB81_17 Depth=1
	v_add_nc_u32_e32 v14, s2, v30
	s_delay_alu instid0(VALU_DEP_1) | instskip(NEXT) | instid1(VALU_DEP_1)
	v_mad_u64_u32 v[17:18], null, v14, s30, v[12:13]
	v_mov_b32_e32 v14, v17
	s_cbranch_execnz .LBB81_132
.LBB81_131:                             ;   in Loop: Header=BB81_17 Depth=1
	v_add_nc_u32_e32 v14, v16, v30
.LBB81_132:                             ;   in Loop: Header=BB81_17 Depth=1
	ds_load_2addr_b64 v[17:20], v37 offset1:1
	v_lshlrev_b64 v[21:22], 4, v[14:15]
	s_delay_alu instid0(VALU_DEP_1) | instskip(NEXT) | instid1(VALU_DEP_2)
	v_add_co_u32 v21, vcc_lo, s38, v21
	v_add_co_ci_u32_e32 v22, vcc_lo, s39, v22, vcc_lo
	s_waitcnt lgkmcnt(0)
	global_store_b128 v[21:22], v[17:20], off
	s_or_b32 exec_lo, exec_lo, s4
	s_and_saveexec_b32 s4, s52
	s_cbranch_execz .LBB81_137
.LBB81_133:                             ;   in Loop: Header=BB81_17 Depth=1
	s_and_not1_b32 vcc_lo, exec_lo, s28
	s_cbranch_vccnz .LBB81_160
; %bb.134:                              ;   in Loop: Header=BB81_17 Depth=1
	v_add_nc_u32_e32 v14, s2, v31
	s_delay_alu instid0(VALU_DEP_1) | instskip(NEXT) | instid1(VALU_DEP_1)
	v_mad_u64_u32 v[17:18], null, v14, s30, v[12:13]
	v_mov_b32_e32 v14, v17
	s_cbranch_execnz .LBB81_136
.LBB81_135:                             ;   in Loop: Header=BB81_17 Depth=1
	v_add_nc_u32_e32 v14, v16, v31
.LBB81_136:                             ;   in Loop: Header=BB81_17 Depth=1
	ds_load_2addr_b64 v[16:19], v38 offset1:1
	v_lshlrev_b64 v[20:21], 4, v[14:15]
	s_delay_alu instid0(VALU_DEP_1) | instskip(NEXT) | instid1(VALU_DEP_2)
	v_add_co_u32 v20, vcc_lo, s38, v20
	v_add_co_ci_u32_e32 v21, vcc_lo, s39, v21, vcc_lo
	s_waitcnt lgkmcnt(0)
	global_store_b128 v[20:21], v[16:19], off
.LBB81_137:                             ;   in Loop: Header=BB81_17 Depth=1
	s_or_b32 exec_lo, exec_lo, s4
	s_mov_b32 s2, 1
.LBB81_138:                             ;   in Loop: Header=BB81_17 Depth=1
	ds_load_u8 v14, v15 offset:32769
	s_waitcnt lgkmcnt(0)
	v_cmp_eq_u32_e32 vcc_lo, 0, v14
	s_cbranch_vccnz .LBB81_16
; %bb.139:                              ;   in Loop: Header=BB81_17 Depth=1
	s_add_i32 s42, s2, s14
	s_add_i32 s3, s3, 1
	s_mul_i32 s4, s42, s30
	s_ashr_i32 s43, s42, 31
	v_add_nc_u32_e32 v14, s4, v12
	s_lshl_b64 s[42:43], s[42:43], 2
	s_delay_alu instid0(SALU_CYCLE_1) | instskip(SKIP_1) | instid1(VALU_DEP_1)
	s_add_u32 s42, s36, s42
	s_addc_u32 s43, s37, s43
	v_mul_lo_u32 v16, v14, s30
	v_mov_b32_e32 v14, s3
	global_store_b32 v15, v14, s[42:43]
	s_and_saveexec_b32 s3, s49
	s_cbranch_execnz .LBB81_143
; %bb.140:                              ;   in Loop: Header=BB81_17 Depth=1
	s_or_b32 exec_lo, exec_lo, s3
	s_and_saveexec_b32 s3, s50
	s_cbranch_execnz .LBB81_147
.LBB81_141:                             ;   in Loop: Header=BB81_17 Depth=1
	s_or_b32 exec_lo, exec_lo, s3
	s_and_saveexec_b32 s3, s51
	s_cbranch_execnz .LBB81_151
.LBB81_142:                             ;   in Loop: Header=BB81_17 Depth=1
	s_or_b32 exec_lo, exec_lo, s3
	s_and_saveexec_b32 s3, s52
	s_cbranch_execz .LBB81_15
	s_branch .LBB81_155
.LBB81_143:                             ;   in Loop: Header=BB81_17 Depth=1
	s_and_not1_b32 vcc_lo, exec_lo, s28
	s_cbranch_vccnz .LBB81_161
; %bb.144:                              ;   in Loop: Header=BB81_17 Depth=1
	v_add_nc_u32_e32 v14, s4, v26
	s_delay_alu instid0(VALU_DEP_1) | instskip(NEXT) | instid1(VALU_DEP_1)
	v_mad_u64_u32 v[17:18], null, v14, s30, v[12:13]
	v_mov_b32_e32 v14, v17
	s_cbranch_execnz .LBB81_146
.LBB81_145:                             ;   in Loop: Header=BB81_17 Depth=1
	v_add_nc_u32_e32 v14, v16, v26
.LBB81_146:                             ;   in Loop: Header=BB81_17 Depth=1
	ds_load_2addr_b64 v[17:20], v39 offset1:1
	v_lshlrev_b64 v[21:22], 4, v[14:15]
	s_delay_alu instid0(VALU_DEP_1) | instskip(NEXT) | instid1(VALU_DEP_2)
	v_add_co_u32 v21, vcc_lo, s38, v21
	v_add_co_ci_u32_e32 v22, vcc_lo, s39, v22, vcc_lo
	s_waitcnt lgkmcnt(0)
	global_store_b128 v[21:22], v[17:20], off
	s_or_b32 exec_lo, exec_lo, s3
	s_and_saveexec_b32 s3, s50
	s_cbranch_execz .LBB81_141
.LBB81_147:                             ;   in Loop: Header=BB81_17 Depth=1
	s_and_not1_b32 vcc_lo, exec_lo, s28
	s_cbranch_vccnz .LBB81_162
; %bb.148:                              ;   in Loop: Header=BB81_17 Depth=1
	v_add_nc_u32_e32 v14, s4, v28
	s_delay_alu instid0(VALU_DEP_1) | instskip(NEXT) | instid1(VALU_DEP_1)
	v_mad_u64_u32 v[17:18], null, v14, s30, v[12:13]
	v_mov_b32_e32 v14, v17
	s_cbranch_execnz .LBB81_150
.LBB81_149:                             ;   in Loop: Header=BB81_17 Depth=1
	v_add_nc_u32_e32 v14, v16, v28
.LBB81_150:                             ;   in Loop: Header=BB81_17 Depth=1
	ds_load_2addr_b64 v[17:20], v33 offset1:1
	v_lshlrev_b64 v[21:22], 4, v[14:15]
	s_delay_alu instid0(VALU_DEP_1) | instskip(NEXT) | instid1(VALU_DEP_2)
	v_add_co_u32 v21, vcc_lo, s38, v21
	v_add_co_ci_u32_e32 v22, vcc_lo, s39, v22, vcc_lo
	s_waitcnt lgkmcnt(0)
	global_store_b128 v[21:22], v[17:20], off
	s_or_b32 exec_lo, exec_lo, s3
	s_and_saveexec_b32 s3, s51
	s_cbranch_execz .LBB81_142
.LBB81_151:                             ;   in Loop: Header=BB81_17 Depth=1
	s_and_not1_b32 vcc_lo, exec_lo, s28
	s_cbranch_vccnz .LBB81_163
; %bb.152:                              ;   in Loop: Header=BB81_17 Depth=1
	v_add_nc_u32_e32 v14, s4, v30
	s_delay_alu instid0(VALU_DEP_1) | instskip(NEXT) | instid1(VALU_DEP_1)
	v_mad_u64_u32 v[17:18], null, v14, s30, v[12:13]
	v_mov_b32_e32 v14, v17
	s_cbranch_execnz .LBB81_154
.LBB81_153:                             ;   in Loop: Header=BB81_17 Depth=1
	v_add_nc_u32_e32 v14, v16, v30
.LBB81_154:                             ;   in Loop: Header=BB81_17 Depth=1
	ds_load_2addr_b64 v[17:20], v34 offset1:1
	v_lshlrev_b64 v[21:22], 4, v[14:15]
	s_delay_alu instid0(VALU_DEP_1) | instskip(NEXT) | instid1(VALU_DEP_2)
	v_add_co_u32 v21, vcc_lo, s38, v21
	v_add_co_ci_u32_e32 v22, vcc_lo, s39, v22, vcc_lo
	s_waitcnt lgkmcnt(0)
	global_store_b128 v[21:22], v[17:20], off
	s_or_b32 exec_lo, exec_lo, s3
	s_and_saveexec_b32 s3, s52
	s_cbranch_execz .LBB81_15
.LBB81_155:                             ;   in Loop: Header=BB81_17 Depth=1
	s_and_not1_b32 vcc_lo, exec_lo, s28
	s_cbranch_vccnz .LBB81_164
; %bb.156:                              ;   in Loop: Header=BB81_17 Depth=1
	v_add_nc_u32_e32 v14, s4, v31
	s_delay_alu instid0(VALU_DEP_1) | instskip(NEXT) | instid1(VALU_DEP_1)
	v_mad_u64_u32 v[17:18], null, v14, s30, v[12:13]
	v_mov_b32_e32 v14, v17
	s_cbranch_execnz .LBB81_14
	s_branch .LBB81_165
.LBB81_157:                             ;   in Loop: Header=BB81_17 Depth=1
	s_branch .LBB81_123
.LBB81_158:                             ;   in Loop: Header=BB81_17 Depth=1
	s_branch .LBB81_127
.LBB81_159:                             ;   in Loop: Header=BB81_17 Depth=1
	s_branch .LBB81_131
.LBB81_160:                             ;   in Loop: Header=BB81_17 Depth=1
	s_branch .LBB81_135
.LBB81_161:                             ;   in Loop: Header=BB81_17 Depth=1
	s_branch .LBB81_145
.LBB81_162:                             ;   in Loop: Header=BB81_17 Depth=1
	s_branch .LBB81_149
.LBB81_163:                             ;   in Loop: Header=BB81_17 Depth=1
	s_branch .LBB81_153
.LBB81_164:                             ;   in Loop: Header=BB81_17 Depth=1
.LBB81_165:                             ;   in Loop: Header=BB81_17 Depth=1
	v_add_nc_u32_e32 v14, v16, v31
	s_branch .LBB81_14
.LBB81_166:
	s_endpgm
	.section	.rodata,"a",@progbits
	.p2align	6, 0x0
	.amdhsa_kernel _ZN9rocsparseL31bsrgemm_block_per_row_multipassILj256ELj2ELj32Eii21rocsparse_complex_numIdEEEv20rocsparse_direction_T3_S4_PKS4_S6_NS_24const_host_device_scalarIT4_EEPKT2_S6_PKS8_SC_S6_SE_S9_SC_S6_SE_SC_PS4_PS8_PSA_21rocsparse_index_base_SI_SI_SI_bbb
		.amdhsa_group_segment_fixed_size 36872
		.amdhsa_private_segment_fixed_size 0
		.amdhsa_kernarg_size 188
		.amdhsa_user_sgpr_count 15
		.amdhsa_user_sgpr_dispatch_ptr 1
		.amdhsa_user_sgpr_queue_ptr 0
		.amdhsa_user_sgpr_kernarg_segment_ptr 1
		.amdhsa_user_sgpr_dispatch_id 0
		.amdhsa_user_sgpr_private_segment_size 0
		.amdhsa_wavefront_size32 1
		.amdhsa_uses_dynamic_stack 0
		.amdhsa_enable_private_segment 0
		.amdhsa_system_sgpr_workgroup_id_x 1
		.amdhsa_system_sgpr_workgroup_id_y 0
		.amdhsa_system_sgpr_workgroup_id_z 0
		.amdhsa_system_sgpr_workgroup_info 0
		.amdhsa_system_vgpr_workitem_id 2
		.amdhsa_next_free_vgpr 61
		.amdhsa_next_free_sgpr 64
		.amdhsa_reserve_vcc 1
		.amdhsa_float_round_mode_32 0
		.amdhsa_float_round_mode_16_64 0
		.amdhsa_float_denorm_mode_32 3
		.amdhsa_float_denorm_mode_16_64 3
		.amdhsa_dx10_clamp 1
		.amdhsa_ieee_mode 1
		.amdhsa_fp16_overflow 0
		.amdhsa_workgroup_processor_mode 1
		.amdhsa_memory_ordered 1
		.amdhsa_forward_progress 0
		.amdhsa_shared_vgpr_count 0
		.amdhsa_exception_fp_ieee_invalid_op 0
		.amdhsa_exception_fp_denorm_src 0
		.amdhsa_exception_fp_ieee_div_zero 0
		.amdhsa_exception_fp_ieee_overflow 0
		.amdhsa_exception_fp_ieee_underflow 0
		.amdhsa_exception_fp_ieee_inexact 0
		.amdhsa_exception_int_div_zero 0
	.end_amdhsa_kernel
	.section	.text._ZN9rocsparseL31bsrgemm_block_per_row_multipassILj256ELj2ELj32Eii21rocsparse_complex_numIdEEEv20rocsparse_direction_T3_S4_PKS4_S6_NS_24const_host_device_scalarIT4_EEPKT2_S6_PKS8_SC_S6_SE_S9_SC_S6_SE_SC_PS4_PS8_PSA_21rocsparse_index_base_SI_SI_SI_bbb,"axG",@progbits,_ZN9rocsparseL31bsrgemm_block_per_row_multipassILj256ELj2ELj32Eii21rocsparse_complex_numIdEEEv20rocsparse_direction_T3_S4_PKS4_S6_NS_24const_host_device_scalarIT4_EEPKT2_S6_PKS8_SC_S6_SE_S9_SC_S6_SE_SC_PS4_PS8_PSA_21rocsparse_index_base_SI_SI_SI_bbb,comdat
.Lfunc_end81:
	.size	_ZN9rocsparseL31bsrgemm_block_per_row_multipassILj256ELj2ELj32Eii21rocsparse_complex_numIdEEEv20rocsparse_direction_T3_S4_PKS4_S6_NS_24const_host_device_scalarIT4_EEPKT2_S6_PKS8_SC_S6_SE_S9_SC_S6_SE_SC_PS4_PS8_PSA_21rocsparse_index_base_SI_SI_SI_bbb, .Lfunc_end81-_ZN9rocsparseL31bsrgemm_block_per_row_multipassILj256ELj2ELj32Eii21rocsparse_complex_numIdEEEv20rocsparse_direction_T3_S4_PKS4_S6_NS_24const_host_device_scalarIT4_EEPKT2_S6_PKS8_SC_S6_SE_S9_SC_S6_SE_SC_PS4_PS8_PSA_21rocsparse_index_base_SI_SI_SI_bbb
                                        ; -- End function
	.section	.AMDGPU.csdata,"",@progbits
; Kernel info:
; codeLenInByte = 5676
; NumSgprs: 66
; NumVgprs: 61
; ScratchSize: 0
; MemoryBound: 0
; FloatMode: 240
; IeeeMode: 1
; LDSByteSize: 36872 bytes/workgroup (compile time only)
; SGPRBlocks: 8
; VGPRBlocks: 7
; NumSGPRsForWavesPerEU: 66
; NumVGPRsForWavesPerEU: 61
; Occupancy: 6
; WaveLimiterHint : 1
; COMPUTE_PGM_RSRC2:SCRATCH_EN: 0
; COMPUTE_PGM_RSRC2:USER_SGPR: 15
; COMPUTE_PGM_RSRC2:TRAP_HANDLER: 0
; COMPUTE_PGM_RSRC2:TGID_X_EN: 1
; COMPUTE_PGM_RSRC2:TGID_Y_EN: 0
; COMPUTE_PGM_RSRC2:TGID_Z_EN: 0
; COMPUTE_PGM_RSRC2:TIDIG_COMP_CNT: 2
	.section	.text._ZN9rocsparseL25csrgemm_max_row_nnz_part1ILj256EllEEvT1_PKT0_PS1_,"axG",@progbits,_ZN9rocsparseL25csrgemm_max_row_nnz_part1ILj256EllEEvT1_PKT0_PS1_,comdat
	.globl	_ZN9rocsparseL25csrgemm_max_row_nnz_part1ILj256EllEEvT1_PKT0_PS1_ ; -- Begin function _ZN9rocsparseL25csrgemm_max_row_nnz_part1ILj256EllEEvT1_PKT0_PS1_
	.p2align	8
	.type	_ZN9rocsparseL25csrgemm_max_row_nnz_part1ILj256EllEEvT1_PKT0_PS1_,@function
_ZN9rocsparseL25csrgemm_max_row_nnz_part1ILj256EllEEvT1_PKT0_PS1_: ; @_ZN9rocsparseL25csrgemm_max_row_nnz_part1ILj256EllEEvT1_PKT0_PS1_
; %bb.0:
	s_clause 0x1
	s_load_b64 s[6:7], s[0:1], 0x0
	s_load_b64 s[4:5], s[0:1], 0x10
	s_mov_b32 s2, s15
	v_dual_mov_b32 v2, 0 :: v_dual_mov_b32 v3, 0
	v_lshl_or_b32 v1, s2, 8, v0
	v_mov_b32_e32 v4, 0
	s_mov_b32 s3, exec_lo
	s_waitcnt lgkmcnt(0)
	s_delay_alu instid0(VALU_DEP_2)
	v_cmpx_gt_i64_e64 s[6:7], v[1:2]
	s_cbranch_execz .LBB82_4
; %bb.1:
	s_clause 0x1
	s_load_b32 s8, s[0:1], 0x18
	s_load_b64 s[0:1], s[0:1], 0x8
	v_lshlrev_b64 v[5:6], 3, v[1:2]
	v_mov_b32_e32 v3, 0
	v_mov_b32_e32 v4, 0
	s_mov_b32 s9, 0
	s_waitcnt lgkmcnt(0)
	s_lshl_b32 s8, s8, 8
	v_add_co_u32 v5, vcc_lo, s0, v5
	v_add_co_ci_u32_e32 v6, vcc_lo, s1, v6, vcc_lo
	s_lshl_b64 s[10:11], s[8:9], 3
	.p2align	6
.LBB82_2:                               ; =>This Inner Loop Header: Depth=1
	global_load_b128 v[7:10], v[5:6], off
	v_add_co_u32 v1, vcc_lo, v1, s8
	v_add_co_ci_u32_e32 v2, vcc_lo, 0, v2, vcc_lo
	s_delay_alu instid0(VALU_DEP_1) | instskip(NEXT) | instid1(VALU_DEP_1)
	v_cmp_le_i64_e64 s1, s[6:7], v[1:2]
	s_or_b32 s9, s1, s9
	s_waitcnt vmcnt(0)
	v_sub_co_u32 v7, s0, v9, v7
	s_delay_alu instid0(VALU_DEP_1) | instskip(SKIP_1) | instid1(VALU_DEP_1)
	v_sub_co_ci_u32_e64 v8, s0, v10, v8, s0
	v_add_co_u32 v5, s0, v5, s10
	v_add_co_ci_u32_e64 v6, s0, s11, v6, s0
	s_delay_alu instid0(VALU_DEP_3)
	v_cmp_gt_i64_e32 vcc_lo, v[3:4], v[7:8]
	v_dual_cndmask_b32 v4, v8, v4 :: v_dual_cndmask_b32 v3, v7, v3
	s_and_not1_b32 exec_lo, exec_lo, s9
	s_cbranch_execnz .LBB82_2
; %bb.3:
	s_or_b32 exec_lo, exec_lo, s9
.LBB82_4:
	s_delay_alu instid0(SALU_CYCLE_1)
	s_or_b32 exec_lo, exec_lo, s3
	v_lshlrev_b32_e32 v1, 3, v0
	s_mov_b32 s0, exec_lo
	ds_store_b64 v1, v[3:4]
	s_waitcnt lgkmcnt(0)
	s_barrier
	buffer_gl0_inv
	v_cmpx_gt_u32_e32 0x80, v0
	s_cbranch_execz .LBB82_6
; %bb.5:
	ds_load_2addr_stride64_b64 v[2:5], v1 offset1:2
	s_waitcnt lgkmcnt(0)
	v_cmp_gt_i64_e32 vcc_lo, v[2:3], v[4:5]
	v_dual_cndmask_b32 v3, v5, v3 :: v_dual_cndmask_b32 v2, v4, v2
	ds_store_b64 v1, v[2:3]
.LBB82_6:
	s_or_b32 exec_lo, exec_lo, s0
	s_delay_alu instid0(SALU_CYCLE_1)
	s_mov_b32 s0, exec_lo
	s_waitcnt lgkmcnt(0)
	s_barrier
	buffer_gl0_inv
	v_cmpx_gt_u32_e32 64, v0
	s_cbranch_execz .LBB82_8
; %bb.7:
	ds_load_2addr_stride64_b64 v[2:5], v1 offset1:1
	s_waitcnt lgkmcnt(0)
	v_cmp_gt_i64_e32 vcc_lo, v[2:3], v[4:5]
	v_dual_cndmask_b32 v3, v5, v3 :: v_dual_cndmask_b32 v2, v4, v2
	ds_store_b64 v1, v[2:3]
.LBB82_8:
	s_or_b32 exec_lo, exec_lo, s0
	s_delay_alu instid0(SALU_CYCLE_1)
	s_mov_b32 s0, exec_lo
	s_waitcnt lgkmcnt(0)
	s_barrier
	buffer_gl0_inv
	v_cmpx_gt_u32_e32 32, v0
	s_cbranch_execz .LBB82_10
; %bb.9:
	ds_load_2addr_b64 v[2:5], v1 offset1:32
	s_waitcnt lgkmcnt(0)
	v_cmp_gt_i64_e32 vcc_lo, v[2:3], v[4:5]
	v_dual_cndmask_b32 v3, v5, v3 :: v_dual_cndmask_b32 v2, v4, v2
	ds_store_b64 v1, v[2:3]
.LBB82_10:
	s_or_b32 exec_lo, exec_lo, s0
	s_delay_alu instid0(SALU_CYCLE_1)
	s_mov_b32 s0, exec_lo
	s_waitcnt lgkmcnt(0)
	s_barrier
	buffer_gl0_inv
	v_cmpx_gt_u32_e32 16, v0
	s_cbranch_execz .LBB82_12
; %bb.11:
	ds_load_2addr_b64 v[2:5], v1 offset1:16
	s_waitcnt lgkmcnt(0)
	v_cmp_gt_i64_e32 vcc_lo, v[2:3], v[4:5]
	v_dual_cndmask_b32 v3, v5, v3 :: v_dual_cndmask_b32 v2, v4, v2
	ds_store_b64 v1, v[2:3]
.LBB82_12:
	;; [unrolled: 15-line block ×5, first 2 shown]
	s_or_b32 exec_lo, exec_lo, s0
	v_cmp_eq_u32_e32 vcc_lo, 0, v0
	s_waitcnt lgkmcnt(0)
	s_barrier
	buffer_gl0_inv
	s_and_saveexec_b32 s1, vcc_lo
	s_cbranch_execz .LBB82_20
; %bb.19:
	v_mov_b32_e32 v4, 0
	ds_load_b128 v[0:3], v4
	s_waitcnt lgkmcnt(0)
	v_cmp_gt_i64_e64 s0, v[0:1], v[2:3]
	s_delay_alu instid0(VALU_DEP_1)
	v_cndmask_b32_e64 v1, v3, v1, s0
	v_cndmask_b32_e64 v0, v2, v0, s0
	ds_store_b64 v4, v[0:1]
.LBB82_20:
	s_or_b32 exec_lo, exec_lo, s1
	s_waitcnt lgkmcnt(0)
	s_barrier
	buffer_gl0_inv
	s_and_saveexec_b32 s0, vcc_lo
	s_cbranch_execz .LBB82_22
; %bb.21:
	v_mov_b32_e32 v2, 0
	s_mov_b32 s3, 0
	s_delay_alu instid0(SALU_CYCLE_1) | instskip(NEXT) | instid1(SALU_CYCLE_1)
	s_lshl_b64 s[0:1], s[2:3], 3
	s_add_u32 s0, s4, s0
	ds_load_b64 v[0:1], v2
	s_addc_u32 s1, s5, s1
	s_waitcnt lgkmcnt(0)
	global_store_b64 v2, v[0:1], s[0:1]
.LBB82_22:
	s_nop 0
	s_sendmsg sendmsg(MSG_DEALLOC_VGPRS)
	s_endpgm
	.section	.rodata,"a",@progbits
	.p2align	6, 0x0
	.amdhsa_kernel _ZN9rocsparseL25csrgemm_max_row_nnz_part1ILj256EllEEvT1_PKT0_PS1_
		.amdhsa_group_segment_fixed_size 2048
		.amdhsa_private_segment_fixed_size 0
		.amdhsa_kernarg_size 280
		.amdhsa_user_sgpr_count 15
		.amdhsa_user_sgpr_dispatch_ptr 0
		.amdhsa_user_sgpr_queue_ptr 0
		.amdhsa_user_sgpr_kernarg_segment_ptr 1
		.amdhsa_user_sgpr_dispatch_id 0
		.amdhsa_user_sgpr_private_segment_size 0
		.amdhsa_wavefront_size32 1
		.amdhsa_uses_dynamic_stack 0
		.amdhsa_enable_private_segment 0
		.amdhsa_system_sgpr_workgroup_id_x 1
		.amdhsa_system_sgpr_workgroup_id_y 0
		.amdhsa_system_sgpr_workgroup_id_z 0
		.amdhsa_system_sgpr_workgroup_info 0
		.amdhsa_system_vgpr_workitem_id 0
		.amdhsa_next_free_vgpr 11
		.amdhsa_next_free_sgpr 16
		.amdhsa_reserve_vcc 1
		.amdhsa_float_round_mode_32 0
		.amdhsa_float_round_mode_16_64 0
		.amdhsa_float_denorm_mode_32 3
		.amdhsa_float_denorm_mode_16_64 3
		.amdhsa_dx10_clamp 1
		.amdhsa_ieee_mode 1
		.amdhsa_fp16_overflow 0
		.amdhsa_workgroup_processor_mode 1
		.amdhsa_memory_ordered 1
		.amdhsa_forward_progress 0
		.amdhsa_shared_vgpr_count 0
		.amdhsa_exception_fp_ieee_invalid_op 0
		.amdhsa_exception_fp_denorm_src 0
		.amdhsa_exception_fp_ieee_div_zero 0
		.amdhsa_exception_fp_ieee_overflow 0
		.amdhsa_exception_fp_ieee_underflow 0
		.amdhsa_exception_fp_ieee_inexact 0
		.amdhsa_exception_int_div_zero 0
	.end_amdhsa_kernel
	.section	.text._ZN9rocsparseL25csrgemm_max_row_nnz_part1ILj256EllEEvT1_PKT0_PS1_,"axG",@progbits,_ZN9rocsparseL25csrgemm_max_row_nnz_part1ILj256EllEEvT1_PKT0_PS1_,comdat
.Lfunc_end82:
	.size	_ZN9rocsparseL25csrgemm_max_row_nnz_part1ILj256EllEEvT1_PKT0_PS1_, .Lfunc_end82-_ZN9rocsparseL25csrgemm_max_row_nnz_part1ILj256EllEEvT1_PKT0_PS1_
                                        ; -- End function
	.section	.AMDGPU.csdata,"",@progbits
; Kernel info:
; codeLenInByte = 896
; NumSgprs: 18
; NumVgprs: 11
; ScratchSize: 0
; MemoryBound: 0
; FloatMode: 240
; IeeeMode: 1
; LDSByteSize: 2048 bytes/workgroup (compile time only)
; SGPRBlocks: 2
; VGPRBlocks: 1
; NumSGPRsForWavesPerEU: 18
; NumVGPRsForWavesPerEU: 11
; Occupancy: 16
; WaveLimiterHint : 0
; COMPUTE_PGM_RSRC2:SCRATCH_EN: 0
; COMPUTE_PGM_RSRC2:USER_SGPR: 15
; COMPUTE_PGM_RSRC2:TRAP_HANDLER: 0
; COMPUTE_PGM_RSRC2:TGID_X_EN: 1
; COMPUTE_PGM_RSRC2:TGID_Y_EN: 0
; COMPUTE_PGM_RSRC2:TGID_Z_EN: 0
; COMPUTE_PGM_RSRC2:TIDIG_COMP_CNT: 0
	.section	.text._ZN9rocsparseL25csrgemm_max_row_nnz_part2ILj256ElEEvPT0_,"axG",@progbits,_ZN9rocsparseL25csrgemm_max_row_nnz_part2ILj256ElEEvPT0_,comdat
	.globl	_ZN9rocsparseL25csrgemm_max_row_nnz_part2ILj256ElEEvPT0_ ; -- Begin function _ZN9rocsparseL25csrgemm_max_row_nnz_part2ILj256ElEEvPT0_
	.p2align	8
	.type	_ZN9rocsparseL25csrgemm_max_row_nnz_part2ILj256ElEEvPT0_,@function
_ZN9rocsparseL25csrgemm_max_row_nnz_part2ILj256ElEEvPT0_: ; @_ZN9rocsparseL25csrgemm_max_row_nnz_part2ILj256ElEEvPT0_
; %bb.0:
	s_load_b64 s[2:3], s[0:1], 0x0
	v_lshlrev_b32_e32 v1, 3, v0
	s_mov_b32 s0, exec_lo
	s_waitcnt lgkmcnt(0)
	global_load_b64 v[2:3], v1, s[2:3]
	s_waitcnt vmcnt(0)
	ds_store_b64 v1, v[2:3]
	s_waitcnt lgkmcnt(0)
	s_barrier
	buffer_gl0_inv
	v_cmpx_gt_u32_e32 0x80, v0
	s_cbranch_execz .LBB83_2
; %bb.1:
	ds_load_2addr_stride64_b64 v[2:5], v1 offset1:2
	s_waitcnt lgkmcnt(0)
	v_cmp_gt_i64_e32 vcc_lo, v[2:3], v[4:5]
	v_dual_cndmask_b32 v3, v5, v3 :: v_dual_cndmask_b32 v2, v4, v2
	ds_store_b64 v1, v[2:3]
.LBB83_2:
	s_or_b32 exec_lo, exec_lo, s0
	s_delay_alu instid0(SALU_CYCLE_1)
	s_mov_b32 s0, exec_lo
	s_waitcnt lgkmcnt(0)
	s_barrier
	buffer_gl0_inv
	v_cmpx_gt_u32_e32 64, v0
	s_cbranch_execz .LBB83_4
; %bb.3:
	ds_load_2addr_stride64_b64 v[2:5], v1 offset1:1
	s_waitcnt lgkmcnt(0)
	v_cmp_gt_i64_e32 vcc_lo, v[2:3], v[4:5]
	v_dual_cndmask_b32 v3, v5, v3 :: v_dual_cndmask_b32 v2, v4, v2
	ds_store_b64 v1, v[2:3]
.LBB83_4:
	s_or_b32 exec_lo, exec_lo, s0
	s_delay_alu instid0(SALU_CYCLE_1)
	s_mov_b32 s0, exec_lo
	s_waitcnt lgkmcnt(0)
	s_barrier
	buffer_gl0_inv
	v_cmpx_gt_u32_e32 32, v0
	s_cbranch_execz .LBB83_6
; %bb.5:
	ds_load_2addr_b64 v[2:5], v1 offset1:32
	s_waitcnt lgkmcnt(0)
	v_cmp_gt_i64_e32 vcc_lo, v[2:3], v[4:5]
	v_dual_cndmask_b32 v3, v5, v3 :: v_dual_cndmask_b32 v2, v4, v2
	ds_store_b64 v1, v[2:3]
.LBB83_6:
	s_or_b32 exec_lo, exec_lo, s0
	s_delay_alu instid0(SALU_CYCLE_1)
	s_mov_b32 s0, exec_lo
	s_waitcnt lgkmcnt(0)
	s_barrier
	buffer_gl0_inv
	v_cmpx_gt_u32_e32 16, v0
	s_cbranch_execz .LBB83_8
; %bb.7:
	ds_load_2addr_b64 v[2:5], v1 offset1:16
	s_waitcnt lgkmcnt(0)
	v_cmp_gt_i64_e32 vcc_lo, v[2:3], v[4:5]
	v_dual_cndmask_b32 v3, v5, v3 :: v_dual_cndmask_b32 v2, v4, v2
	ds_store_b64 v1, v[2:3]
.LBB83_8:
	;; [unrolled: 15-line block ×5, first 2 shown]
	s_or_b32 exec_lo, exec_lo, s0
	v_cmp_eq_u32_e32 vcc_lo, 0, v0
	s_waitcnt lgkmcnt(0)
	s_barrier
	buffer_gl0_inv
	s_and_saveexec_b32 s1, vcc_lo
	s_cbranch_execz .LBB83_16
; %bb.15:
	v_mov_b32_e32 v4, 0
	ds_load_b128 v[0:3], v4
	s_waitcnt lgkmcnt(0)
	v_cmp_gt_i64_e64 s0, v[0:1], v[2:3]
	s_delay_alu instid0(VALU_DEP_1)
	v_cndmask_b32_e64 v1, v3, v1, s0
	v_cndmask_b32_e64 v0, v2, v0, s0
	ds_store_b64 v4, v[0:1]
.LBB83_16:
	s_or_b32 exec_lo, exec_lo, s1
	s_waitcnt lgkmcnt(0)
	s_barrier
	buffer_gl0_inv
	s_and_saveexec_b32 s0, vcc_lo
	s_cbranch_execz .LBB83_18
; %bb.17:
	v_mov_b32_e32 v2, 0
	ds_load_b64 v[0:1], v2
	s_waitcnt lgkmcnt(0)
	global_store_b64 v2, v[0:1], s[2:3]
.LBB83_18:
	s_nop 0
	s_sendmsg sendmsg(MSG_DEALLOC_VGPRS)
	s_endpgm
	.section	.rodata,"a",@progbits
	.p2align	6, 0x0
	.amdhsa_kernel _ZN9rocsparseL25csrgemm_max_row_nnz_part2ILj256ElEEvPT0_
		.amdhsa_group_segment_fixed_size 2048
		.amdhsa_private_segment_fixed_size 0
		.amdhsa_kernarg_size 8
		.amdhsa_user_sgpr_count 15
		.amdhsa_user_sgpr_dispatch_ptr 0
		.amdhsa_user_sgpr_queue_ptr 0
		.amdhsa_user_sgpr_kernarg_segment_ptr 1
		.amdhsa_user_sgpr_dispatch_id 0
		.amdhsa_user_sgpr_private_segment_size 0
		.amdhsa_wavefront_size32 1
		.amdhsa_uses_dynamic_stack 0
		.amdhsa_enable_private_segment 0
		.amdhsa_system_sgpr_workgroup_id_x 1
		.amdhsa_system_sgpr_workgroup_id_y 0
		.amdhsa_system_sgpr_workgroup_id_z 0
		.amdhsa_system_sgpr_workgroup_info 0
		.amdhsa_system_vgpr_workitem_id 0
		.amdhsa_next_free_vgpr 6
		.amdhsa_next_free_sgpr 4
		.amdhsa_reserve_vcc 1
		.amdhsa_float_round_mode_32 0
		.amdhsa_float_round_mode_16_64 0
		.amdhsa_float_denorm_mode_32 3
		.amdhsa_float_denorm_mode_16_64 3
		.amdhsa_dx10_clamp 1
		.amdhsa_ieee_mode 1
		.amdhsa_fp16_overflow 0
		.amdhsa_workgroup_processor_mode 1
		.amdhsa_memory_ordered 1
		.amdhsa_forward_progress 0
		.amdhsa_shared_vgpr_count 0
		.amdhsa_exception_fp_ieee_invalid_op 0
		.amdhsa_exception_fp_denorm_src 0
		.amdhsa_exception_fp_ieee_div_zero 0
		.amdhsa_exception_fp_ieee_overflow 0
		.amdhsa_exception_fp_ieee_underflow 0
		.amdhsa_exception_fp_ieee_inexact 0
		.amdhsa_exception_int_div_zero 0
	.end_amdhsa_kernel
	.section	.text._ZN9rocsparseL25csrgemm_max_row_nnz_part2ILj256ElEEvPT0_,"axG",@progbits,_ZN9rocsparseL25csrgemm_max_row_nnz_part2ILj256ElEEvPT0_,comdat
.Lfunc_end83:
	.size	_ZN9rocsparseL25csrgemm_max_row_nnz_part2ILj256ElEEvPT0_, .Lfunc_end83-_ZN9rocsparseL25csrgemm_max_row_nnz_part2ILj256ElEEvPT0_
                                        ; -- End function
	.section	.AMDGPU.csdata,"",@progbits
; Kernel info:
; codeLenInByte = 656
; NumSgprs: 6
; NumVgprs: 6
; ScratchSize: 0
; MemoryBound: 0
; FloatMode: 240
; IeeeMode: 1
; LDSByteSize: 2048 bytes/workgroup (compile time only)
; SGPRBlocks: 0
; VGPRBlocks: 0
; NumSGPRsForWavesPerEU: 6
; NumVGPRsForWavesPerEU: 6
; Occupancy: 16
; WaveLimiterHint : 0
; COMPUTE_PGM_RSRC2:SCRATCH_EN: 0
; COMPUTE_PGM_RSRC2:USER_SGPR: 15
; COMPUTE_PGM_RSRC2:TRAP_HANDLER: 0
; COMPUTE_PGM_RSRC2:TGID_X_EN: 1
; COMPUTE_PGM_RSRC2:TGID_Y_EN: 0
; COMPUTE_PGM_RSRC2:TGID_Z_EN: 0
; COMPUTE_PGM_RSRC2:TIDIG_COMP_CNT: 0
	.section	.text._ZN9rocsparseL26bsrgemm_group_reduce_part2ILj256ELj8ELj2EfllEEvT4_PKT3_PS1_Pi,"axG",@progbits,_ZN9rocsparseL26bsrgemm_group_reduce_part2ILj256ELj8ELj2EfllEEvT4_PKT3_PS1_Pi,comdat
	.globl	_ZN9rocsparseL26bsrgemm_group_reduce_part2ILj256ELj8ELj2EfllEEvT4_PKT3_PS1_Pi ; -- Begin function _ZN9rocsparseL26bsrgemm_group_reduce_part2ILj256ELj8ELj2EfllEEvT4_PKT3_PS1_Pi
	.p2align	8
	.type	_ZN9rocsparseL26bsrgemm_group_reduce_part2ILj256ELj8ELj2EfllEEvT4_PKT3_PS1_Pi,@function
_ZN9rocsparseL26bsrgemm_group_reduce_part2ILj256ELj8ELj2EfllEEvT4_PKT3_PS1_Pi: ; @_ZN9rocsparseL26bsrgemm_group_reduce_part2ILj256ELj8ELj2EfllEEvT4_PKT3_PS1_Pi
; %bb.0:
	s_clause 0x1
	s_load_b64 s[8:9], s[0:1], 0x0
	s_load_b64 s[2:3], s[0:1], 0x10
	s_mov_b32 s5, 0
	v_lshl_or_b32 v1, s15, 8, v0
	s_mov_b32 s4, s5
	s_mov_b32 s6, s5
	;; [unrolled: 1-line block ×3, first 2 shown]
	v_dual_mov_b32 v3, s4 :: v_dual_mov_b32 v4, s5
	v_dual_mov_b32 v2, 0 :: v_dual_lshlrev_b32 v11, 6, v0
	v_dual_mov_b32 v5, s6 :: v_dual_mov_b32 v6, s7
	s_mov_b32 s12, exec_lo
	ds_store_b128 v11, v[3:6]
	ds_store_b128 v11, v[3:6] offset:16
	ds_store_b128 v11, v[3:6] offset:32
	;; [unrolled: 1-line block ×3, first 2 shown]
	s_waitcnt lgkmcnt(0)
	buffer_gl0_inv
	v_cmpx_gt_i64_e64 s[8:9], v[1:2]
	s_cbranch_execz .LBB84_31
; %bb.1:
	s_clause 0x2
	s_load_b32 s4, s[0:1], 0x20
	s_load_b64 s[6:7], s[0:1], 0x18
	s_load_b64 s[0:1], s[0:1], 0x8
	v_lshlrev_b64 v[3:4], 2, v[1:2]
	v_lshlrev_b64 v[5:6], 3, v[1:2]
	v_mov_b32_e32 v8, v2
	v_dual_mov_b32 v12, 7 :: v_dual_mov_b32 v13, 6
	v_dual_mov_b32 v14, 5 :: v_dual_mov_b32 v15, 4
	;; [unrolled: 1-line block ×4, first 2 shown]
	s_waitcnt lgkmcnt(0)
	s_lshl_b32 s4, s4, 8
	v_add_co_u32 v3, vcc_lo, s6, v3
	v_add_co_ci_u32_e32 v4, vcc_lo, s7, v4, vcc_lo
	v_add_co_u32 v5, vcc_lo, s0, v5
	v_add_co_ci_u32_e32 v6, vcc_lo, s1, v6, vcc_lo
	s_lshl_b64 s[6:7], s[4:5], 2
	s_lshl_b64 s[10:11], s[4:5], 3
	s_branch .LBB84_3
.LBB84_2:                               ;   in Loop: Header=BB84_3 Depth=1
	s_or_b32 exec_lo, exec_lo, s0
	v_add_co_u32 v7, vcc_lo, v7, s4
	v_add_co_ci_u32_e32 v8, vcc_lo, 0, v8, vcc_lo
	v_add_co_u32 v3, vcc_lo, v3, s6
	v_add_co_ci_u32_e32 v4, vcc_lo, s7, v4, vcc_lo
	s_delay_alu instid0(VALU_DEP_3) | instskip(SKIP_1) | instid1(VALU_DEP_1)
	v_cmp_le_i64_e32 vcc_lo, s[8:9], v[7:8]
	v_add_co_u32 v5, s0, v5, s10
	v_add_co_ci_u32_e64 v6, s0, s11, v6, s0
	s_or_b32 s5, vcc_lo, s5
	s_delay_alu instid0(SALU_CYCLE_1)
	s_and_not1_b32 exec_lo, exec_lo, s5
	s_cbranch_execz .LBB84_31
.LBB84_3:                               ; =>This Inner Loop Header: Depth=1
	global_load_b128 v[19:22], v[5:6], off
	s_mov_b32 s0, exec_lo
	s_waitcnt vmcnt(0)
	v_sub_co_u32 v9, vcc_lo, v21, v19
	v_sub_co_ci_u32_e32 v10, vcc_lo, v22, v20, vcc_lo
	s_delay_alu instid0(VALU_DEP_1)
	v_cmpx_lt_i64_e32 8, v[9:10]
	s_xor_b32 s0, exec_lo, s0
	s_cbranch_execz .LBB84_29
; %bb.4:                                ;   in Loop: Header=BB84_3 Depth=1
	s_mov_b32 s1, exec_lo
	v_cmpx_lt_u64_e32 16, v[9:10]
	s_xor_b32 s1, exec_lo, s1
	s_cbranch_execz .LBB84_26
; %bb.5:                                ;   in Loop: Header=BB84_3 Depth=1
	s_mov_b32 s13, exec_lo
	v_cmpx_lt_u64_e32 32, v[9:10]
	;; [unrolled: 5-line block ×6, first 2 shown]
	s_xor_b32 s18, exec_lo, s18
	s_cbranch_execz .LBB84_11
; %bb.10:                               ;   in Loop: Header=BB84_3 Depth=1
	ds_load_b64 v[9:10], v11 offset:56
	global_store_b32 v[3:4], v12, off
	s_waitcnt lgkmcnt(0)
	v_add_co_u32 v9, vcc_lo, v9, 1
	v_add_co_ci_u32_e32 v10, vcc_lo, 0, v10, vcc_lo
	ds_store_b64 v11, v[9:10] offset:56
.LBB84_11:                              ;   in Loop: Header=BB84_3 Depth=1
	s_and_not1_saveexec_b32 s18, s18
	s_cbranch_execz .LBB84_13
; %bb.12:                               ;   in Loop: Header=BB84_3 Depth=1
	ds_load_b64 v[9:10], v11 offset:48
	global_store_b32 v[3:4], v13, off
	s_waitcnt lgkmcnt(0)
	v_add_co_u32 v9, vcc_lo, v9, 1
	v_add_co_ci_u32_e32 v10, vcc_lo, 0, v10, vcc_lo
	ds_store_b64 v11, v[9:10] offset:48
.LBB84_13:                              ;   in Loop: Header=BB84_3 Depth=1
	s_or_b32 exec_lo, exec_lo, s18
.LBB84_14:                              ;   in Loop: Header=BB84_3 Depth=1
	s_and_not1_saveexec_b32 s17, s17
	s_cbranch_execz .LBB84_16
; %bb.15:                               ;   in Loop: Header=BB84_3 Depth=1
	ds_load_b64 v[9:10], v11 offset:40
	global_store_b32 v[3:4], v14, off
	s_waitcnt lgkmcnt(0)
	v_add_co_u32 v9, vcc_lo, v9, 1
	v_add_co_ci_u32_e32 v10, vcc_lo, 0, v10, vcc_lo
	ds_store_b64 v11, v[9:10] offset:40
.LBB84_16:                              ;   in Loop: Header=BB84_3 Depth=1
	s_or_b32 exec_lo, exec_lo, s17
.LBB84_17:                              ;   in Loop: Header=BB84_3 Depth=1
	s_and_not1_saveexec_b32 s16, s16
	s_cbranch_execz .LBB84_19
; %bb.18:                               ;   in Loop: Header=BB84_3 Depth=1
	ds_load_b64 v[9:10], v11 offset:32
	global_store_b32 v[3:4], v15, off
	s_waitcnt lgkmcnt(0)
	v_add_co_u32 v9, vcc_lo, v9, 1
	v_add_co_ci_u32_e32 v10, vcc_lo, 0, v10, vcc_lo
	ds_store_b64 v11, v[9:10] offset:32
.LBB84_19:                              ;   in Loop: Header=BB84_3 Depth=1
	s_or_b32 exec_lo, exec_lo, s16
.LBB84_20:                              ;   in Loop: Header=BB84_3 Depth=1
	s_and_not1_saveexec_b32 s14, s14
	s_cbranch_execz .LBB84_22
; %bb.21:                               ;   in Loop: Header=BB84_3 Depth=1
	ds_load_b64 v[9:10], v11 offset:24
	global_store_b32 v[3:4], v16, off
	s_waitcnt lgkmcnt(0)
	v_add_co_u32 v9, vcc_lo, v9, 1
	v_add_co_ci_u32_e32 v10, vcc_lo, 0, v10, vcc_lo
	ds_store_b64 v11, v[9:10] offset:24
.LBB84_22:                              ;   in Loop: Header=BB84_3 Depth=1
	s_or_b32 exec_lo, exec_lo, s14
.LBB84_23:                              ;   in Loop: Header=BB84_3 Depth=1
	s_and_not1_saveexec_b32 s13, s13
	s_cbranch_execz .LBB84_25
; %bb.24:                               ;   in Loop: Header=BB84_3 Depth=1
	ds_load_b64 v[9:10], v11 offset:16
	global_store_b32 v[3:4], v17, off
	s_waitcnt lgkmcnt(0)
	v_add_co_u32 v9, vcc_lo, v9, 1
	v_add_co_ci_u32_e32 v10, vcc_lo, 0, v10, vcc_lo
	ds_store_b64 v11, v[9:10] offset:16
.LBB84_25:                              ;   in Loop: Header=BB84_3 Depth=1
	s_or_b32 exec_lo, exec_lo, s13
.LBB84_26:                              ;   in Loop: Header=BB84_3 Depth=1
	s_and_not1_saveexec_b32 s1, s1
	s_cbranch_execz .LBB84_28
; %bb.27:                               ;   in Loop: Header=BB84_3 Depth=1
	ds_load_b64 v[9:10], v11 offset:8
	global_store_b32 v[3:4], v18, off
	s_waitcnt lgkmcnt(0)
	v_add_co_u32 v9, vcc_lo, v9, 1
	v_add_co_ci_u32_e32 v10, vcc_lo, 0, v10, vcc_lo
	ds_store_b64 v11, v[9:10] offset:8
.LBB84_28:                              ;   in Loop: Header=BB84_3 Depth=1
	s_or_b32 exec_lo, exec_lo, s1
.LBB84_29:                              ;   in Loop: Header=BB84_3 Depth=1
	s_and_not1_saveexec_b32 s0, s0
	s_cbranch_execz .LBB84_2
; %bb.30:                               ;   in Loop: Header=BB84_3 Depth=1
	ds_load_b64 v[9:10], v11
	global_store_b32 v[3:4], v2, off
	s_waitcnt lgkmcnt(0)
	v_add_co_u32 v9, vcc_lo, v9, 1
	v_add_co_ci_u32_e32 v10, vcc_lo, 0, v10, vcc_lo
	ds_store_b64 v11, v[9:10]
	s_branch .LBB84_2
.LBB84_31:
	s_or_b32 exec_lo, exec_lo, s12
	s_delay_alu instid0(SALU_CYCLE_1)
	s_mov_b32 s0, exec_lo
	s_waitcnt lgkmcnt(0)
	s_waitcnt_vscnt null, 0x0
	s_barrier
	buffer_gl0_inv
	s_barrier
	buffer_gl0_inv
	s_barrier
	buffer_gl0_inv
	v_cmpx_gt_u32_e32 0x80, v0
	s_cbranch_execz .LBB84_33
; %bb.32:
	ds_load_b128 v[1:4], v11 offset:8192
	ds_load_b128 v[5:8], v11
	ds_load_b128 v[12:15], v11 offset:16
	ds_load_b128 v[16:19], v11 offset:8208
	ds_load_b128 v[20:23], v11 offset:8224
	ds_load_b128 v[24:27], v11 offset:32
	ds_load_b128 v[28:31], v11 offset:48
	ds_load_b128 v[32:35], v11 offset:8240
	s_waitcnt lgkmcnt(6)
	v_add_co_u32 v1, vcc_lo, v5, v1
	v_add_co_ci_u32_e32 v2, vcc_lo, v6, v2, vcc_lo
	v_add_co_u32 v3, vcc_lo, v7, v3
	v_add_co_ci_u32_e32 v4, vcc_lo, v8, v4, vcc_lo
	s_waitcnt lgkmcnt(4)
	v_add_co_u32 v5, vcc_lo, v12, v16
	v_add_co_ci_u32_e32 v6, vcc_lo, v13, v17, vcc_lo
	v_add_co_u32 v7, vcc_lo, v14, v18
	v_add_co_ci_u32_e32 v8, vcc_lo, v15, v19, vcc_lo
	s_waitcnt lgkmcnt(2)
	v_add_co_u32 v12, vcc_lo, v24, v20
	v_add_co_ci_u32_e32 v13, vcc_lo, v25, v21, vcc_lo
	v_add_co_u32 v14, vcc_lo, v26, v22
	v_add_co_ci_u32_e32 v15, vcc_lo, v27, v23, vcc_lo
	s_waitcnt lgkmcnt(0)
	v_add_co_u32 v16, vcc_lo, v28, v32
	v_add_co_ci_u32_e32 v17, vcc_lo, v29, v33, vcc_lo
	v_add_co_u32 v18, vcc_lo, v30, v34
	v_add_co_ci_u32_e32 v19, vcc_lo, v31, v35, vcc_lo
	ds_store_b128 v11, v[1:4]
	ds_store_b128 v11, v[5:8] offset:16
	ds_store_b128 v11, v[12:15] offset:32
	ds_store_b128 v11, v[16:19] offset:48
.LBB84_33:
	s_or_b32 exec_lo, exec_lo, s0
	s_delay_alu instid0(SALU_CYCLE_1)
	s_mov_b32 s0, exec_lo
	s_waitcnt lgkmcnt(0)
	s_barrier
	buffer_gl0_inv
	v_cmpx_gt_u32_e32 64, v0
	s_cbranch_execz .LBB84_35
; %bb.34:
	ds_load_b128 v[1:4], v11 offset:4096
	ds_load_b128 v[5:8], v11
	ds_load_b128 v[12:15], v11 offset:16
	ds_load_b128 v[16:19], v11 offset:4112
	ds_load_b128 v[20:23], v11 offset:4128
	ds_load_b128 v[24:27], v11 offset:32
	ds_load_b128 v[28:31], v11 offset:48
	ds_load_b128 v[32:35], v11 offset:4144
	s_waitcnt lgkmcnt(6)
	v_add_co_u32 v1, vcc_lo, v5, v1
	v_add_co_ci_u32_e32 v2, vcc_lo, v6, v2, vcc_lo
	v_add_co_u32 v3, vcc_lo, v7, v3
	v_add_co_ci_u32_e32 v4, vcc_lo, v8, v4, vcc_lo
	s_waitcnt lgkmcnt(4)
	v_add_co_u32 v5, vcc_lo, v12, v16
	v_add_co_ci_u32_e32 v6, vcc_lo, v13, v17, vcc_lo
	v_add_co_u32 v7, vcc_lo, v14, v18
	v_add_co_ci_u32_e32 v8, vcc_lo, v15, v19, vcc_lo
	s_waitcnt lgkmcnt(2)
	v_add_co_u32 v12, vcc_lo, v24, v20
	v_add_co_ci_u32_e32 v13, vcc_lo, v25, v21, vcc_lo
	v_add_co_u32 v14, vcc_lo, v26, v22
	v_add_co_ci_u32_e32 v15, vcc_lo, v27, v23, vcc_lo
	s_waitcnt lgkmcnt(0)
	v_add_co_u32 v16, vcc_lo, v28, v32
	v_add_co_ci_u32_e32 v17, vcc_lo, v29, v33, vcc_lo
	v_add_co_u32 v18, vcc_lo, v30, v34
	v_add_co_ci_u32_e32 v19, vcc_lo, v31, v35, vcc_lo
	ds_store_b128 v11, v[1:4]
	ds_store_b128 v11, v[5:8] offset:16
	ds_store_b128 v11, v[12:15] offset:32
	ds_store_b128 v11, v[16:19] offset:48
.LBB84_35:
	s_or_b32 exec_lo, exec_lo, s0
	s_delay_alu instid0(SALU_CYCLE_1)
	s_mov_b32 s0, exec_lo
	s_waitcnt lgkmcnt(0)
	s_barrier
	buffer_gl0_inv
	;; [unrolled: 42-line block ×3, first 2 shown]
	v_cmpx_gt_u32_e32 16, v0
	s_cbranch_execz .LBB84_39
; %bb.38:
	ds_load_b128 v[1:4], v11 offset:1024
	ds_load_b128 v[5:8], v11
	ds_load_b128 v[12:15], v11 offset:16
	ds_load_b128 v[16:19], v11 offset:1040
	;; [unrolled: 1-line block ×6, first 2 shown]
	s_waitcnt lgkmcnt(6)
	v_add_co_u32 v1, vcc_lo, v5, v1
	v_add_co_ci_u32_e32 v2, vcc_lo, v6, v2, vcc_lo
	v_add_co_u32 v3, vcc_lo, v7, v3
	v_add_co_ci_u32_e32 v4, vcc_lo, v8, v4, vcc_lo
	s_waitcnt lgkmcnt(4)
	v_add_co_u32 v5, vcc_lo, v12, v16
	v_add_co_ci_u32_e32 v6, vcc_lo, v13, v17, vcc_lo
	v_add_co_u32 v7, vcc_lo, v14, v18
	v_add_co_ci_u32_e32 v8, vcc_lo, v15, v19, vcc_lo
	;; [unrolled: 5-line block ×4, first 2 shown]
	ds_store_b128 v11, v[1:4]
	ds_store_b128 v11, v[5:8] offset:16
	ds_store_b128 v11, v[12:15] offset:32
	ds_store_b128 v11, v[16:19] offset:48
.LBB84_39:
	s_or_b32 exec_lo, exec_lo, s0
	v_cmp_gt_u32_e32 vcc_lo, 8, v0
	s_waitcnt lgkmcnt(0)
	s_barrier
	buffer_gl0_inv
	s_and_saveexec_b32 s1, vcc_lo
	s_cbranch_execz .LBB84_41
; %bb.40:
	ds_load_b128 v[1:4], v11 offset:512
	ds_load_b128 v[5:8], v11
	ds_load_b128 v[12:15], v11 offset:16
	ds_load_b128 v[16:19], v11 offset:528
	ds_load_b128 v[20:23], v11 offset:544
	ds_load_b128 v[24:27], v11 offset:32
	ds_load_b128 v[28:31], v11 offset:48
	ds_load_b128 v[32:35], v11 offset:560
	s_waitcnt lgkmcnt(6)
	v_add_co_u32 v1, s0, v5, v1
	s_delay_alu instid0(VALU_DEP_1) | instskip(SKIP_1) | instid1(VALU_DEP_1)
	v_add_co_ci_u32_e64 v2, s0, v6, v2, s0
	v_add_co_u32 v3, s0, v7, v3
	v_add_co_ci_u32_e64 v4, s0, v8, v4, s0
	s_waitcnt lgkmcnt(4)
	v_add_co_u32 v5, s0, v12, v16
	s_delay_alu instid0(VALU_DEP_1) | instskip(SKIP_1) | instid1(VALU_DEP_1)
	v_add_co_ci_u32_e64 v6, s0, v13, v17, s0
	v_add_co_u32 v7, s0, v14, v18
	v_add_co_ci_u32_e64 v8, s0, v15, v19, s0
	;; [unrolled: 6-line block ×4, first 2 shown]
	ds_store_b128 v11, v[1:4]
	ds_store_b128 v11, v[5:8] offset:16
	ds_store_b128 v11, v[12:15] offset:32
	;; [unrolled: 1-line block ×3, first 2 shown]
.LBB84_41:
	s_or_b32 exec_lo, exec_lo, s1
	s_delay_alu instid0(SALU_CYCLE_1)
	s_mov_b32 s1, exec_lo
	s_waitcnt lgkmcnt(0)
	s_barrier
	buffer_gl0_inv
	v_cmpx_gt_u32_e32 4, v0
	s_cbranch_execz .LBB84_43
; %bb.42:
	ds_load_b128 v[1:4], v11 offset:256
	ds_load_b128 v[5:8], v11
	ds_load_b128 v[12:15], v11 offset:16
	ds_load_b128 v[16:19], v11 offset:272
	;; [unrolled: 1-line block ×6, first 2 shown]
	s_waitcnt lgkmcnt(6)
	v_add_co_u32 v1, s0, v5, v1
	s_delay_alu instid0(VALU_DEP_1) | instskip(SKIP_1) | instid1(VALU_DEP_1)
	v_add_co_ci_u32_e64 v2, s0, v6, v2, s0
	v_add_co_u32 v3, s0, v7, v3
	v_add_co_ci_u32_e64 v4, s0, v8, v4, s0
	s_waitcnt lgkmcnt(4)
	v_add_co_u32 v5, s0, v12, v16
	s_delay_alu instid0(VALU_DEP_1) | instskip(SKIP_1) | instid1(VALU_DEP_1)
	v_add_co_ci_u32_e64 v6, s0, v13, v17, s0
	v_add_co_u32 v7, s0, v14, v18
	v_add_co_ci_u32_e64 v8, s0, v15, v19, s0
	;; [unrolled: 6-line block ×4, first 2 shown]
	ds_store_b128 v11, v[1:4]
	ds_store_b128 v11, v[5:8] offset:16
	ds_store_b128 v11, v[12:15] offset:32
	;; [unrolled: 1-line block ×3, first 2 shown]
.LBB84_43:
	s_or_b32 exec_lo, exec_lo, s1
	s_delay_alu instid0(SALU_CYCLE_1)
	s_mov_b32 s1, exec_lo
	s_waitcnt lgkmcnt(0)
	s_barrier
	buffer_gl0_inv
	v_cmpx_gt_u32_e32 2, v0
	s_cbranch_execz .LBB84_45
; %bb.44:
	ds_load_b128 v[1:4], v11 offset:128
	ds_load_b128 v[5:8], v11
	ds_load_b128 v[12:15], v11 offset:16
	ds_load_b128 v[16:19], v11 offset:144
	;; [unrolled: 1-line block ×6, first 2 shown]
	s_waitcnt lgkmcnt(6)
	v_add_co_u32 v1, s0, v5, v1
	s_delay_alu instid0(VALU_DEP_1) | instskip(SKIP_1) | instid1(VALU_DEP_1)
	v_add_co_ci_u32_e64 v2, s0, v6, v2, s0
	v_add_co_u32 v3, s0, v7, v3
	v_add_co_ci_u32_e64 v4, s0, v8, v4, s0
	s_waitcnt lgkmcnt(4)
	v_add_co_u32 v5, s0, v12, v16
	s_delay_alu instid0(VALU_DEP_1) | instskip(SKIP_1) | instid1(VALU_DEP_1)
	v_add_co_ci_u32_e64 v6, s0, v13, v17, s0
	v_add_co_u32 v7, s0, v14, v18
	v_add_co_ci_u32_e64 v8, s0, v15, v19, s0
	s_waitcnt lgkmcnt(2)
	v_add_co_u32 v12, s0, v24, v20
	s_delay_alu instid0(VALU_DEP_1) | instskip(SKIP_1) | instid1(VALU_DEP_1)
	v_add_co_ci_u32_e64 v13, s0, v25, v21, s0
	v_add_co_u32 v14, s0, v26, v22
	v_add_co_ci_u32_e64 v15, s0, v27, v23, s0
	s_waitcnt lgkmcnt(0)
	v_add_co_u32 v16, s0, v28, v32
	s_delay_alu instid0(VALU_DEP_1) | instskip(SKIP_1) | instid1(VALU_DEP_1)
	v_add_co_ci_u32_e64 v17, s0, v29, v33, s0
	v_add_co_u32 v18, s0, v30, v34
	v_add_co_ci_u32_e64 v19, s0, v31, v35, s0
	ds_store_b128 v11, v[1:4]
	ds_store_b128 v11, v[5:8] offset:16
	ds_store_b128 v11, v[12:15] offset:32
	;; [unrolled: 1-line block ×3, first 2 shown]
.LBB84_45:
	s_or_b32 exec_lo, exec_lo, s1
	s_delay_alu instid0(SALU_CYCLE_1)
	s_mov_b32 s1, exec_lo
	s_waitcnt lgkmcnt(0)
	s_barrier
	buffer_gl0_inv
	v_cmpx_eq_u32_e32 0, v0
	s_cbranch_execz .LBB84_47
; %bb.46:
	v_mov_b32_e32 v33, 0
	ds_load_b128 v[1:4], v33 offset:64
	ds_load_b128 v[5:8], v33
	ds_load_b128 v[9:12], v33 offset:16
	ds_load_b128 v[13:16], v33 offset:80
	;; [unrolled: 1-line block ×6, first 2 shown]
	s_waitcnt lgkmcnt(6)
	v_add_co_u32 v1, s0, v5, v1
	s_delay_alu instid0(VALU_DEP_1) | instskip(SKIP_1) | instid1(VALU_DEP_1)
	v_add_co_ci_u32_e64 v2, s0, v6, v2, s0
	v_add_co_u32 v3, s0, v7, v3
	v_add_co_ci_u32_e64 v4, s0, v8, v4, s0
	s_waitcnt lgkmcnt(4)
	v_add_co_u32 v5, s0, v9, v13
	s_delay_alu instid0(VALU_DEP_1) | instskip(SKIP_1) | instid1(VALU_DEP_1)
	v_add_co_ci_u32_e64 v6, s0, v10, v14, s0
	v_add_co_u32 v7, s0, v11, v15
	v_add_co_ci_u32_e64 v8, s0, v12, v16, s0
	;; [unrolled: 6-line block ×4, first 2 shown]
	ds_store_b128 v33, v[1:4]
	ds_store_b128 v33, v[5:8] offset:16
	ds_store_b128 v33, v[9:12] offset:32
	;; [unrolled: 1-line block ×3, first 2 shown]
.LBB84_47:
	s_or_b32 exec_lo, exec_lo, s1
	s_waitcnt lgkmcnt(0)
	s_barrier
	buffer_gl0_inv
	s_and_saveexec_b32 s0, vcc_lo
	s_cbranch_execz .LBB84_49
; %bb.48:
	v_dual_mov_b32 v4, 0 :: v_dual_lshlrev_b32 v1, 3, v0
	v_lshl_or_b32 v3, s15, 3, v0
	ds_load_b64 v[1:2], v1
	v_lshlrev_b64 v[3:4], 3, v[3:4]
	s_delay_alu instid0(VALU_DEP_1) | instskip(NEXT) | instid1(VALU_DEP_2)
	v_add_co_u32 v3, vcc_lo, s2, v3
	v_add_co_ci_u32_e32 v4, vcc_lo, s3, v4, vcc_lo
	s_waitcnt lgkmcnt(0)
	global_store_b64 v[3:4], v[1:2], off
.LBB84_49:
	s_nop 0
	s_sendmsg sendmsg(MSG_DEALLOC_VGPRS)
	s_endpgm
	.section	.rodata,"a",@progbits
	.p2align	6, 0x0
	.amdhsa_kernel _ZN9rocsparseL26bsrgemm_group_reduce_part2ILj256ELj8ELj2EfllEEvT4_PKT3_PS1_Pi
		.amdhsa_group_segment_fixed_size 16384
		.amdhsa_private_segment_fixed_size 0
		.amdhsa_kernarg_size 288
		.amdhsa_user_sgpr_count 15
		.amdhsa_user_sgpr_dispatch_ptr 0
		.amdhsa_user_sgpr_queue_ptr 0
		.amdhsa_user_sgpr_kernarg_segment_ptr 1
		.amdhsa_user_sgpr_dispatch_id 0
		.amdhsa_user_sgpr_private_segment_size 0
		.amdhsa_wavefront_size32 1
		.amdhsa_uses_dynamic_stack 0
		.amdhsa_enable_private_segment 0
		.amdhsa_system_sgpr_workgroup_id_x 1
		.amdhsa_system_sgpr_workgroup_id_y 0
		.amdhsa_system_sgpr_workgroup_id_z 0
		.amdhsa_system_sgpr_workgroup_info 0
		.amdhsa_system_vgpr_workitem_id 0
		.amdhsa_next_free_vgpr 36
		.amdhsa_next_free_sgpr 19
		.amdhsa_reserve_vcc 1
		.amdhsa_float_round_mode_32 0
		.amdhsa_float_round_mode_16_64 0
		.amdhsa_float_denorm_mode_32 3
		.amdhsa_float_denorm_mode_16_64 3
		.amdhsa_dx10_clamp 1
		.amdhsa_ieee_mode 1
		.amdhsa_fp16_overflow 0
		.amdhsa_workgroup_processor_mode 1
		.amdhsa_memory_ordered 1
		.amdhsa_forward_progress 0
		.amdhsa_shared_vgpr_count 0
		.amdhsa_exception_fp_ieee_invalid_op 0
		.amdhsa_exception_fp_denorm_src 0
		.amdhsa_exception_fp_ieee_div_zero 0
		.amdhsa_exception_fp_ieee_overflow 0
		.amdhsa_exception_fp_ieee_underflow 0
		.amdhsa_exception_fp_ieee_inexact 0
		.amdhsa_exception_int_div_zero 0
	.end_amdhsa_kernel
	.section	.text._ZN9rocsparseL26bsrgemm_group_reduce_part2ILj256ELj8ELj2EfllEEvT4_PKT3_PS1_Pi,"axG",@progbits,_ZN9rocsparseL26bsrgemm_group_reduce_part2ILj256ELj8ELj2EfllEEvT4_PKT3_PS1_Pi,comdat
.Lfunc_end84:
	.size	_ZN9rocsparseL26bsrgemm_group_reduce_part2ILj256ELj8ELj2EfllEEvT4_PKT3_PS1_Pi, .Lfunc_end84-_ZN9rocsparseL26bsrgemm_group_reduce_part2ILj256ELj8ELj2EfllEEvT4_PKT3_PS1_Pi
                                        ; -- End function
	.section	.AMDGPU.csdata,"",@progbits
; Kernel info:
; codeLenInByte = 3152
; NumSgprs: 21
; NumVgprs: 36
; ScratchSize: 0
; MemoryBound: 0
; FloatMode: 240
; IeeeMode: 1
; LDSByteSize: 16384 bytes/workgroup (compile time only)
; SGPRBlocks: 2
; VGPRBlocks: 4
; NumSGPRsForWavesPerEU: 21
; NumVGPRsForWavesPerEU: 36
; Occupancy: 16
; WaveLimiterHint : 0
; COMPUTE_PGM_RSRC2:SCRATCH_EN: 0
; COMPUTE_PGM_RSRC2:USER_SGPR: 15
; COMPUTE_PGM_RSRC2:TRAP_HANDLER: 0
; COMPUTE_PGM_RSRC2:TGID_X_EN: 1
; COMPUTE_PGM_RSRC2:TGID_Y_EN: 0
; COMPUTE_PGM_RSRC2:TGID_Z_EN: 0
; COMPUTE_PGM_RSRC2:TIDIG_COMP_CNT: 0
	.section	.text._ZN9rocsparseL26bsrgemm_group_reduce_part2ILj256ELj8ELj8EfllEEvT4_PKT3_PS1_Pi,"axG",@progbits,_ZN9rocsparseL26bsrgemm_group_reduce_part2ILj256ELj8ELj8EfllEEvT4_PKT3_PS1_Pi,comdat
	.globl	_ZN9rocsparseL26bsrgemm_group_reduce_part2ILj256ELj8ELj8EfllEEvT4_PKT3_PS1_Pi ; -- Begin function _ZN9rocsparseL26bsrgemm_group_reduce_part2ILj256ELj8ELj8EfllEEvT4_PKT3_PS1_Pi
	.p2align	8
	.type	_ZN9rocsparseL26bsrgemm_group_reduce_part2ILj256ELj8ELj8EfllEEvT4_PKT3_PS1_Pi,@function
_ZN9rocsparseL26bsrgemm_group_reduce_part2ILj256ELj8ELj8EfllEEvT4_PKT3_PS1_Pi: ; @_ZN9rocsparseL26bsrgemm_group_reduce_part2ILj256ELj8ELj8EfllEEvT4_PKT3_PS1_Pi
; %bb.0:
	s_clause 0x1
	s_load_b64 s[8:9], s[0:1], 0x0
	s_load_b64 s[2:3], s[0:1], 0x10
	s_mov_b32 s5, 0
	v_lshl_or_b32 v1, s15, 8, v0
	s_mov_b32 s4, s5
	s_mov_b32 s6, s5
	;; [unrolled: 1-line block ×3, first 2 shown]
	v_dual_mov_b32 v3, s4 :: v_dual_mov_b32 v4, s5
	v_dual_mov_b32 v2, 0 :: v_dual_lshlrev_b32 v11, 6, v0
	v_dual_mov_b32 v5, s6 :: v_dual_mov_b32 v6, s7
	s_mov_b32 s12, exec_lo
	ds_store_b128 v11, v[3:6]
	ds_store_b128 v11, v[3:6] offset:16
	ds_store_b128 v11, v[3:6] offset:32
	;; [unrolled: 1-line block ×3, first 2 shown]
	s_waitcnt lgkmcnt(0)
	buffer_gl0_inv
	v_cmpx_gt_i64_e64 s[8:9], v[1:2]
	s_cbranch_execz .LBB85_31
; %bb.1:
	s_clause 0x2
	s_load_b32 s4, s[0:1], 0x20
	s_load_b64 s[6:7], s[0:1], 0x18
	s_load_b64 s[0:1], s[0:1], 0x8
	v_lshlrev_b64 v[3:4], 2, v[1:2]
	v_lshlrev_b64 v[5:6], 3, v[1:2]
	v_mov_b32_e32 v8, v2
	v_dual_mov_b32 v12, 7 :: v_dual_mov_b32 v13, 6
	v_dual_mov_b32 v14, 5 :: v_dual_mov_b32 v15, 4
	;; [unrolled: 1-line block ×4, first 2 shown]
	s_waitcnt lgkmcnt(0)
	s_lshl_b32 s4, s4, 8
	v_add_co_u32 v3, vcc_lo, s6, v3
	v_add_co_ci_u32_e32 v4, vcc_lo, s7, v4, vcc_lo
	v_add_co_u32 v5, vcc_lo, s0, v5
	v_add_co_ci_u32_e32 v6, vcc_lo, s1, v6, vcc_lo
	s_lshl_b64 s[6:7], s[4:5], 2
	s_lshl_b64 s[10:11], s[4:5], 3
	s_branch .LBB85_3
.LBB85_2:                               ;   in Loop: Header=BB85_3 Depth=1
	s_or_b32 exec_lo, exec_lo, s0
	v_add_co_u32 v7, vcc_lo, v7, s4
	v_add_co_ci_u32_e32 v8, vcc_lo, 0, v8, vcc_lo
	v_add_co_u32 v3, vcc_lo, v3, s6
	v_add_co_ci_u32_e32 v4, vcc_lo, s7, v4, vcc_lo
	s_delay_alu instid0(VALU_DEP_3) | instskip(SKIP_1) | instid1(VALU_DEP_1)
	v_cmp_le_i64_e32 vcc_lo, s[8:9], v[7:8]
	v_add_co_u32 v5, s0, v5, s10
	v_add_co_ci_u32_e64 v6, s0, s11, v6, s0
	s_or_b32 s5, vcc_lo, s5
	s_delay_alu instid0(SALU_CYCLE_1)
	s_and_not1_b32 exec_lo, exec_lo, s5
	s_cbranch_execz .LBB85_31
.LBB85_3:                               ; =>This Inner Loop Header: Depth=1
	global_load_b128 v[19:22], v[5:6], off
	s_mov_b32 s0, exec_lo
	s_waitcnt vmcnt(0)
	v_sub_co_u32 v9, vcc_lo, v21, v19
	v_sub_co_ci_u32_e32 v10, vcc_lo, v22, v20, vcc_lo
	s_delay_alu instid0(VALU_DEP_1)
	v_cmpx_lt_i64_e32 8, v[9:10]
	s_xor_b32 s0, exec_lo, s0
	s_cbranch_execz .LBB85_29
; %bb.4:                                ;   in Loop: Header=BB85_3 Depth=1
	s_mov_b32 s1, exec_lo
	v_cmpx_lt_u64_e32 16, v[9:10]
	s_xor_b32 s1, exec_lo, s1
	s_cbranch_execz .LBB85_26
; %bb.5:                                ;   in Loop: Header=BB85_3 Depth=1
	s_mov_b32 s13, exec_lo
	v_cmpx_lt_u64_e32 32, v[9:10]
	;; [unrolled: 5-line block ×6, first 2 shown]
	s_xor_b32 s18, exec_lo, s18
	s_cbranch_execz .LBB85_11
; %bb.10:                               ;   in Loop: Header=BB85_3 Depth=1
	ds_load_b64 v[9:10], v11 offset:56
	global_store_b32 v[3:4], v12, off
	s_waitcnt lgkmcnt(0)
	v_add_co_u32 v9, vcc_lo, v9, 1
	v_add_co_ci_u32_e32 v10, vcc_lo, 0, v10, vcc_lo
	ds_store_b64 v11, v[9:10] offset:56
.LBB85_11:                              ;   in Loop: Header=BB85_3 Depth=1
	s_and_not1_saveexec_b32 s18, s18
	s_cbranch_execz .LBB85_13
; %bb.12:                               ;   in Loop: Header=BB85_3 Depth=1
	ds_load_b64 v[9:10], v11 offset:48
	global_store_b32 v[3:4], v13, off
	s_waitcnt lgkmcnt(0)
	v_add_co_u32 v9, vcc_lo, v9, 1
	v_add_co_ci_u32_e32 v10, vcc_lo, 0, v10, vcc_lo
	ds_store_b64 v11, v[9:10] offset:48
.LBB85_13:                              ;   in Loop: Header=BB85_3 Depth=1
	s_or_b32 exec_lo, exec_lo, s18
.LBB85_14:                              ;   in Loop: Header=BB85_3 Depth=1
	s_and_not1_saveexec_b32 s17, s17
	s_cbranch_execz .LBB85_16
; %bb.15:                               ;   in Loop: Header=BB85_3 Depth=1
	ds_load_b64 v[9:10], v11 offset:40
	global_store_b32 v[3:4], v14, off
	s_waitcnt lgkmcnt(0)
	v_add_co_u32 v9, vcc_lo, v9, 1
	v_add_co_ci_u32_e32 v10, vcc_lo, 0, v10, vcc_lo
	ds_store_b64 v11, v[9:10] offset:40
.LBB85_16:                              ;   in Loop: Header=BB85_3 Depth=1
	s_or_b32 exec_lo, exec_lo, s17
.LBB85_17:                              ;   in Loop: Header=BB85_3 Depth=1
	s_and_not1_saveexec_b32 s16, s16
	s_cbranch_execz .LBB85_19
; %bb.18:                               ;   in Loop: Header=BB85_3 Depth=1
	ds_load_b64 v[9:10], v11 offset:32
	global_store_b32 v[3:4], v15, off
	s_waitcnt lgkmcnt(0)
	v_add_co_u32 v9, vcc_lo, v9, 1
	v_add_co_ci_u32_e32 v10, vcc_lo, 0, v10, vcc_lo
	ds_store_b64 v11, v[9:10] offset:32
.LBB85_19:                              ;   in Loop: Header=BB85_3 Depth=1
	s_or_b32 exec_lo, exec_lo, s16
.LBB85_20:                              ;   in Loop: Header=BB85_3 Depth=1
	s_and_not1_saveexec_b32 s14, s14
	s_cbranch_execz .LBB85_22
; %bb.21:                               ;   in Loop: Header=BB85_3 Depth=1
	ds_load_b64 v[9:10], v11 offset:24
	global_store_b32 v[3:4], v16, off
	s_waitcnt lgkmcnt(0)
	v_add_co_u32 v9, vcc_lo, v9, 1
	v_add_co_ci_u32_e32 v10, vcc_lo, 0, v10, vcc_lo
	ds_store_b64 v11, v[9:10] offset:24
.LBB85_22:                              ;   in Loop: Header=BB85_3 Depth=1
	s_or_b32 exec_lo, exec_lo, s14
.LBB85_23:                              ;   in Loop: Header=BB85_3 Depth=1
	s_and_not1_saveexec_b32 s13, s13
	s_cbranch_execz .LBB85_25
; %bb.24:                               ;   in Loop: Header=BB85_3 Depth=1
	ds_load_b64 v[9:10], v11 offset:16
	global_store_b32 v[3:4], v17, off
	s_waitcnt lgkmcnt(0)
	v_add_co_u32 v9, vcc_lo, v9, 1
	v_add_co_ci_u32_e32 v10, vcc_lo, 0, v10, vcc_lo
	ds_store_b64 v11, v[9:10] offset:16
.LBB85_25:                              ;   in Loop: Header=BB85_3 Depth=1
	s_or_b32 exec_lo, exec_lo, s13
.LBB85_26:                              ;   in Loop: Header=BB85_3 Depth=1
	s_and_not1_saveexec_b32 s1, s1
	s_cbranch_execz .LBB85_28
; %bb.27:                               ;   in Loop: Header=BB85_3 Depth=1
	ds_load_b64 v[9:10], v11 offset:8
	global_store_b32 v[3:4], v18, off
	s_waitcnt lgkmcnt(0)
	v_add_co_u32 v9, vcc_lo, v9, 1
	v_add_co_ci_u32_e32 v10, vcc_lo, 0, v10, vcc_lo
	ds_store_b64 v11, v[9:10] offset:8
.LBB85_28:                              ;   in Loop: Header=BB85_3 Depth=1
	s_or_b32 exec_lo, exec_lo, s1
.LBB85_29:                              ;   in Loop: Header=BB85_3 Depth=1
	s_and_not1_saveexec_b32 s0, s0
	s_cbranch_execz .LBB85_2
; %bb.30:                               ;   in Loop: Header=BB85_3 Depth=1
	ds_load_b64 v[9:10], v11
	global_store_b32 v[3:4], v2, off
	s_waitcnt lgkmcnt(0)
	v_add_co_u32 v9, vcc_lo, v9, 1
	v_add_co_ci_u32_e32 v10, vcc_lo, 0, v10, vcc_lo
	ds_store_b64 v11, v[9:10]
	s_branch .LBB85_2
.LBB85_31:
	s_or_b32 exec_lo, exec_lo, s12
	s_delay_alu instid0(SALU_CYCLE_1)
	s_mov_b32 s0, exec_lo
	s_waitcnt lgkmcnt(0)
	s_waitcnt_vscnt null, 0x0
	s_barrier
	buffer_gl0_inv
	s_barrier
	buffer_gl0_inv
	;; [unrolled: 2-line block ×3, first 2 shown]
	v_cmpx_gt_u32_e32 0x80, v0
	s_cbranch_execz .LBB85_33
; %bb.32:
	ds_load_b128 v[1:4], v11 offset:8192
	ds_load_b128 v[5:8], v11
	ds_load_b128 v[12:15], v11 offset:16
	ds_load_b128 v[16:19], v11 offset:8208
	ds_load_b128 v[20:23], v11 offset:8224
	ds_load_b128 v[24:27], v11 offset:32
	ds_load_b128 v[28:31], v11 offset:48
	ds_load_b128 v[32:35], v11 offset:8240
	s_waitcnt lgkmcnt(6)
	v_add_co_u32 v1, vcc_lo, v5, v1
	v_add_co_ci_u32_e32 v2, vcc_lo, v6, v2, vcc_lo
	v_add_co_u32 v3, vcc_lo, v7, v3
	v_add_co_ci_u32_e32 v4, vcc_lo, v8, v4, vcc_lo
	s_waitcnt lgkmcnt(4)
	v_add_co_u32 v5, vcc_lo, v12, v16
	v_add_co_ci_u32_e32 v6, vcc_lo, v13, v17, vcc_lo
	v_add_co_u32 v7, vcc_lo, v14, v18
	v_add_co_ci_u32_e32 v8, vcc_lo, v15, v19, vcc_lo
	s_waitcnt lgkmcnt(2)
	v_add_co_u32 v12, vcc_lo, v24, v20
	v_add_co_ci_u32_e32 v13, vcc_lo, v25, v21, vcc_lo
	v_add_co_u32 v14, vcc_lo, v26, v22
	v_add_co_ci_u32_e32 v15, vcc_lo, v27, v23, vcc_lo
	s_waitcnt lgkmcnt(0)
	v_add_co_u32 v16, vcc_lo, v28, v32
	v_add_co_ci_u32_e32 v17, vcc_lo, v29, v33, vcc_lo
	v_add_co_u32 v18, vcc_lo, v30, v34
	v_add_co_ci_u32_e32 v19, vcc_lo, v31, v35, vcc_lo
	ds_store_b128 v11, v[1:4]
	ds_store_b128 v11, v[5:8] offset:16
	ds_store_b128 v11, v[12:15] offset:32
	ds_store_b128 v11, v[16:19] offset:48
.LBB85_33:
	s_or_b32 exec_lo, exec_lo, s0
	s_delay_alu instid0(SALU_CYCLE_1)
	s_mov_b32 s0, exec_lo
	s_waitcnt lgkmcnt(0)
	s_barrier
	buffer_gl0_inv
	v_cmpx_gt_u32_e32 64, v0
	s_cbranch_execz .LBB85_35
; %bb.34:
	ds_load_b128 v[1:4], v11 offset:4096
	ds_load_b128 v[5:8], v11
	ds_load_b128 v[12:15], v11 offset:16
	ds_load_b128 v[16:19], v11 offset:4112
	ds_load_b128 v[20:23], v11 offset:4128
	ds_load_b128 v[24:27], v11 offset:32
	ds_load_b128 v[28:31], v11 offset:48
	ds_load_b128 v[32:35], v11 offset:4144
	s_waitcnt lgkmcnt(6)
	v_add_co_u32 v1, vcc_lo, v5, v1
	v_add_co_ci_u32_e32 v2, vcc_lo, v6, v2, vcc_lo
	v_add_co_u32 v3, vcc_lo, v7, v3
	v_add_co_ci_u32_e32 v4, vcc_lo, v8, v4, vcc_lo
	s_waitcnt lgkmcnt(4)
	v_add_co_u32 v5, vcc_lo, v12, v16
	v_add_co_ci_u32_e32 v6, vcc_lo, v13, v17, vcc_lo
	v_add_co_u32 v7, vcc_lo, v14, v18
	v_add_co_ci_u32_e32 v8, vcc_lo, v15, v19, vcc_lo
	s_waitcnt lgkmcnt(2)
	v_add_co_u32 v12, vcc_lo, v24, v20
	v_add_co_ci_u32_e32 v13, vcc_lo, v25, v21, vcc_lo
	v_add_co_u32 v14, vcc_lo, v26, v22
	v_add_co_ci_u32_e32 v15, vcc_lo, v27, v23, vcc_lo
	s_waitcnt lgkmcnt(0)
	v_add_co_u32 v16, vcc_lo, v28, v32
	v_add_co_ci_u32_e32 v17, vcc_lo, v29, v33, vcc_lo
	v_add_co_u32 v18, vcc_lo, v30, v34
	v_add_co_ci_u32_e32 v19, vcc_lo, v31, v35, vcc_lo
	ds_store_b128 v11, v[1:4]
	ds_store_b128 v11, v[5:8] offset:16
	ds_store_b128 v11, v[12:15] offset:32
	ds_store_b128 v11, v[16:19] offset:48
.LBB85_35:
	s_or_b32 exec_lo, exec_lo, s0
	s_delay_alu instid0(SALU_CYCLE_1)
	s_mov_b32 s0, exec_lo
	s_waitcnt lgkmcnt(0)
	s_barrier
	buffer_gl0_inv
	;; [unrolled: 42-line block ×3, first 2 shown]
	v_cmpx_gt_u32_e32 16, v0
	s_cbranch_execz .LBB85_39
; %bb.38:
	ds_load_b128 v[1:4], v11 offset:1024
	ds_load_b128 v[5:8], v11
	ds_load_b128 v[12:15], v11 offset:16
	ds_load_b128 v[16:19], v11 offset:1040
	;; [unrolled: 1-line block ×6, first 2 shown]
	s_waitcnt lgkmcnt(6)
	v_add_co_u32 v1, vcc_lo, v5, v1
	v_add_co_ci_u32_e32 v2, vcc_lo, v6, v2, vcc_lo
	v_add_co_u32 v3, vcc_lo, v7, v3
	v_add_co_ci_u32_e32 v4, vcc_lo, v8, v4, vcc_lo
	s_waitcnt lgkmcnt(4)
	v_add_co_u32 v5, vcc_lo, v12, v16
	v_add_co_ci_u32_e32 v6, vcc_lo, v13, v17, vcc_lo
	v_add_co_u32 v7, vcc_lo, v14, v18
	v_add_co_ci_u32_e32 v8, vcc_lo, v15, v19, vcc_lo
	;; [unrolled: 5-line block ×4, first 2 shown]
	ds_store_b128 v11, v[1:4]
	ds_store_b128 v11, v[5:8] offset:16
	ds_store_b128 v11, v[12:15] offset:32
	;; [unrolled: 1-line block ×3, first 2 shown]
.LBB85_39:
	s_or_b32 exec_lo, exec_lo, s0
	v_cmp_gt_u32_e32 vcc_lo, 8, v0
	s_waitcnt lgkmcnt(0)
	s_barrier
	buffer_gl0_inv
	s_and_saveexec_b32 s1, vcc_lo
	s_cbranch_execz .LBB85_41
; %bb.40:
	ds_load_b128 v[1:4], v11 offset:512
	ds_load_b128 v[5:8], v11
	ds_load_b128 v[12:15], v11 offset:16
	ds_load_b128 v[16:19], v11 offset:528
	;; [unrolled: 1-line block ×6, first 2 shown]
	s_waitcnt lgkmcnt(6)
	v_add_co_u32 v1, s0, v5, v1
	s_delay_alu instid0(VALU_DEP_1) | instskip(SKIP_1) | instid1(VALU_DEP_1)
	v_add_co_ci_u32_e64 v2, s0, v6, v2, s0
	v_add_co_u32 v3, s0, v7, v3
	v_add_co_ci_u32_e64 v4, s0, v8, v4, s0
	s_waitcnt lgkmcnt(4)
	v_add_co_u32 v5, s0, v12, v16
	s_delay_alu instid0(VALU_DEP_1) | instskip(SKIP_1) | instid1(VALU_DEP_1)
	v_add_co_ci_u32_e64 v6, s0, v13, v17, s0
	v_add_co_u32 v7, s0, v14, v18
	v_add_co_ci_u32_e64 v8, s0, v15, v19, s0
	;; [unrolled: 6-line block ×4, first 2 shown]
	ds_store_b128 v11, v[1:4]
	ds_store_b128 v11, v[5:8] offset:16
	ds_store_b128 v11, v[12:15] offset:32
	;; [unrolled: 1-line block ×3, first 2 shown]
.LBB85_41:
	s_or_b32 exec_lo, exec_lo, s1
	s_delay_alu instid0(SALU_CYCLE_1)
	s_mov_b32 s1, exec_lo
	s_waitcnt lgkmcnt(0)
	s_barrier
	buffer_gl0_inv
	v_cmpx_gt_u32_e32 4, v0
	s_cbranch_execz .LBB85_43
; %bb.42:
	ds_load_b128 v[1:4], v11 offset:256
	ds_load_b128 v[5:8], v11
	ds_load_b128 v[12:15], v11 offset:16
	ds_load_b128 v[16:19], v11 offset:272
	;; [unrolled: 1-line block ×6, first 2 shown]
	s_waitcnt lgkmcnt(6)
	v_add_co_u32 v1, s0, v5, v1
	s_delay_alu instid0(VALU_DEP_1) | instskip(SKIP_1) | instid1(VALU_DEP_1)
	v_add_co_ci_u32_e64 v2, s0, v6, v2, s0
	v_add_co_u32 v3, s0, v7, v3
	v_add_co_ci_u32_e64 v4, s0, v8, v4, s0
	s_waitcnt lgkmcnt(4)
	v_add_co_u32 v5, s0, v12, v16
	s_delay_alu instid0(VALU_DEP_1) | instskip(SKIP_1) | instid1(VALU_DEP_1)
	v_add_co_ci_u32_e64 v6, s0, v13, v17, s0
	v_add_co_u32 v7, s0, v14, v18
	v_add_co_ci_u32_e64 v8, s0, v15, v19, s0
	;; [unrolled: 6-line block ×4, first 2 shown]
	ds_store_b128 v11, v[1:4]
	ds_store_b128 v11, v[5:8] offset:16
	ds_store_b128 v11, v[12:15] offset:32
	;; [unrolled: 1-line block ×3, first 2 shown]
.LBB85_43:
	s_or_b32 exec_lo, exec_lo, s1
	s_delay_alu instid0(SALU_CYCLE_1)
	s_mov_b32 s1, exec_lo
	s_waitcnt lgkmcnt(0)
	s_barrier
	buffer_gl0_inv
	v_cmpx_gt_u32_e32 2, v0
	s_cbranch_execz .LBB85_45
; %bb.44:
	ds_load_b128 v[1:4], v11 offset:128
	ds_load_b128 v[5:8], v11
	ds_load_b128 v[12:15], v11 offset:16
	ds_load_b128 v[16:19], v11 offset:144
	;; [unrolled: 1-line block ×6, first 2 shown]
	s_waitcnt lgkmcnt(6)
	v_add_co_u32 v1, s0, v5, v1
	s_delay_alu instid0(VALU_DEP_1) | instskip(SKIP_1) | instid1(VALU_DEP_1)
	v_add_co_ci_u32_e64 v2, s0, v6, v2, s0
	v_add_co_u32 v3, s0, v7, v3
	v_add_co_ci_u32_e64 v4, s0, v8, v4, s0
	s_waitcnt lgkmcnt(4)
	v_add_co_u32 v5, s0, v12, v16
	s_delay_alu instid0(VALU_DEP_1) | instskip(SKIP_1) | instid1(VALU_DEP_1)
	v_add_co_ci_u32_e64 v6, s0, v13, v17, s0
	v_add_co_u32 v7, s0, v14, v18
	v_add_co_ci_u32_e64 v8, s0, v15, v19, s0
	;; [unrolled: 6-line block ×4, first 2 shown]
	ds_store_b128 v11, v[1:4]
	ds_store_b128 v11, v[5:8] offset:16
	ds_store_b128 v11, v[12:15] offset:32
	;; [unrolled: 1-line block ×3, first 2 shown]
.LBB85_45:
	s_or_b32 exec_lo, exec_lo, s1
	s_delay_alu instid0(SALU_CYCLE_1)
	s_mov_b32 s1, exec_lo
	s_waitcnt lgkmcnt(0)
	s_barrier
	buffer_gl0_inv
	v_cmpx_eq_u32_e32 0, v0
	s_cbranch_execz .LBB85_47
; %bb.46:
	v_mov_b32_e32 v33, 0
	ds_load_b128 v[1:4], v33 offset:64
	ds_load_b128 v[5:8], v33
	ds_load_b128 v[9:12], v33 offset:16
	ds_load_b128 v[13:16], v33 offset:80
	;; [unrolled: 1-line block ×6, first 2 shown]
	s_waitcnt lgkmcnt(6)
	v_add_co_u32 v1, s0, v5, v1
	s_delay_alu instid0(VALU_DEP_1) | instskip(SKIP_1) | instid1(VALU_DEP_1)
	v_add_co_ci_u32_e64 v2, s0, v6, v2, s0
	v_add_co_u32 v3, s0, v7, v3
	v_add_co_ci_u32_e64 v4, s0, v8, v4, s0
	s_waitcnt lgkmcnt(4)
	v_add_co_u32 v5, s0, v9, v13
	s_delay_alu instid0(VALU_DEP_1) | instskip(SKIP_1) | instid1(VALU_DEP_1)
	v_add_co_ci_u32_e64 v6, s0, v10, v14, s0
	v_add_co_u32 v7, s0, v11, v15
	v_add_co_ci_u32_e64 v8, s0, v12, v16, s0
	;; [unrolled: 6-line block ×4, first 2 shown]
	ds_store_b128 v33, v[1:4]
	ds_store_b128 v33, v[5:8] offset:16
	ds_store_b128 v33, v[9:12] offset:32
	;; [unrolled: 1-line block ×3, first 2 shown]
.LBB85_47:
	s_or_b32 exec_lo, exec_lo, s1
	s_waitcnt lgkmcnt(0)
	s_barrier
	buffer_gl0_inv
	s_and_saveexec_b32 s0, vcc_lo
	s_cbranch_execz .LBB85_49
; %bb.48:
	v_dual_mov_b32 v4, 0 :: v_dual_lshlrev_b32 v1, 3, v0
	v_lshl_or_b32 v3, s15, 3, v0
	ds_load_b64 v[1:2], v1
	v_lshlrev_b64 v[3:4], 3, v[3:4]
	s_delay_alu instid0(VALU_DEP_1) | instskip(NEXT) | instid1(VALU_DEP_2)
	v_add_co_u32 v3, vcc_lo, s2, v3
	v_add_co_ci_u32_e32 v4, vcc_lo, s3, v4, vcc_lo
	s_waitcnt lgkmcnt(0)
	global_store_b64 v[3:4], v[1:2], off
.LBB85_49:
	s_nop 0
	s_sendmsg sendmsg(MSG_DEALLOC_VGPRS)
	s_endpgm
	.section	.rodata,"a",@progbits
	.p2align	6, 0x0
	.amdhsa_kernel _ZN9rocsparseL26bsrgemm_group_reduce_part2ILj256ELj8ELj8EfllEEvT4_PKT3_PS1_Pi
		.amdhsa_group_segment_fixed_size 16384
		.amdhsa_private_segment_fixed_size 0
		.amdhsa_kernarg_size 288
		.amdhsa_user_sgpr_count 15
		.amdhsa_user_sgpr_dispatch_ptr 0
		.amdhsa_user_sgpr_queue_ptr 0
		.amdhsa_user_sgpr_kernarg_segment_ptr 1
		.amdhsa_user_sgpr_dispatch_id 0
		.amdhsa_user_sgpr_private_segment_size 0
		.amdhsa_wavefront_size32 1
		.amdhsa_uses_dynamic_stack 0
		.amdhsa_enable_private_segment 0
		.amdhsa_system_sgpr_workgroup_id_x 1
		.amdhsa_system_sgpr_workgroup_id_y 0
		.amdhsa_system_sgpr_workgroup_id_z 0
		.amdhsa_system_sgpr_workgroup_info 0
		.amdhsa_system_vgpr_workitem_id 0
		.amdhsa_next_free_vgpr 36
		.amdhsa_next_free_sgpr 19
		.amdhsa_reserve_vcc 1
		.amdhsa_float_round_mode_32 0
		.amdhsa_float_round_mode_16_64 0
		.amdhsa_float_denorm_mode_32 3
		.amdhsa_float_denorm_mode_16_64 3
		.amdhsa_dx10_clamp 1
		.amdhsa_ieee_mode 1
		.amdhsa_fp16_overflow 0
		.amdhsa_workgroup_processor_mode 1
		.amdhsa_memory_ordered 1
		.amdhsa_forward_progress 0
		.amdhsa_shared_vgpr_count 0
		.amdhsa_exception_fp_ieee_invalid_op 0
		.amdhsa_exception_fp_denorm_src 0
		.amdhsa_exception_fp_ieee_div_zero 0
		.amdhsa_exception_fp_ieee_overflow 0
		.amdhsa_exception_fp_ieee_underflow 0
		.amdhsa_exception_fp_ieee_inexact 0
		.amdhsa_exception_int_div_zero 0
	.end_amdhsa_kernel
	.section	.text._ZN9rocsparseL26bsrgemm_group_reduce_part2ILj256ELj8ELj8EfllEEvT4_PKT3_PS1_Pi,"axG",@progbits,_ZN9rocsparseL26bsrgemm_group_reduce_part2ILj256ELj8ELj8EfllEEvT4_PKT3_PS1_Pi,comdat
.Lfunc_end85:
	.size	_ZN9rocsparseL26bsrgemm_group_reduce_part2ILj256ELj8ELj8EfllEEvT4_PKT3_PS1_Pi, .Lfunc_end85-_ZN9rocsparseL26bsrgemm_group_reduce_part2ILj256ELj8ELj8EfllEEvT4_PKT3_PS1_Pi
                                        ; -- End function
	.section	.AMDGPU.csdata,"",@progbits
; Kernel info:
; codeLenInByte = 3152
; NumSgprs: 21
; NumVgprs: 36
; ScratchSize: 0
; MemoryBound: 0
; FloatMode: 240
; IeeeMode: 1
; LDSByteSize: 16384 bytes/workgroup (compile time only)
; SGPRBlocks: 2
; VGPRBlocks: 4
; NumSGPRsForWavesPerEU: 21
; NumVGPRsForWavesPerEU: 36
; Occupancy: 16
; WaveLimiterHint : 0
; COMPUTE_PGM_RSRC2:SCRATCH_EN: 0
; COMPUTE_PGM_RSRC2:USER_SGPR: 15
; COMPUTE_PGM_RSRC2:TRAP_HANDLER: 0
; COMPUTE_PGM_RSRC2:TGID_X_EN: 1
; COMPUTE_PGM_RSRC2:TGID_Y_EN: 0
; COMPUTE_PGM_RSRC2:TGID_Z_EN: 0
; COMPUTE_PGM_RSRC2:TIDIG_COMP_CNT: 0
	.section	.text._ZN9rocsparseL26bsrgemm_group_reduce_part3ILj256ELj8ElEEvPT1_,"axG",@progbits,_ZN9rocsparseL26bsrgemm_group_reduce_part3ILj256ELj8ElEEvPT1_,comdat
	.globl	_ZN9rocsparseL26bsrgemm_group_reduce_part3ILj256ELj8ElEEvPT1_ ; -- Begin function _ZN9rocsparseL26bsrgemm_group_reduce_part3ILj256ELj8ElEEvPT1_
	.p2align	8
	.type	_ZN9rocsparseL26bsrgemm_group_reduce_part3ILj256ELj8ElEEvPT1_,@function
_ZN9rocsparseL26bsrgemm_group_reduce_part3ILj256ELj8ElEEvPT1_: ; @_ZN9rocsparseL26bsrgemm_group_reduce_part3ILj256ELj8ElEEvPT1_
; %bb.0:
	s_load_b64 s[0:1], s[0:1], 0x0
	v_lshlrev_b32_e32 v3, 3, v0
	v_or_b32_e32 v14, 0x400, v0
	s_delay_alu instid0(VALU_DEP_1) | instskip(SKIP_1) | instid1(VALU_DEP_3)
	v_lshlrev_b32_e32 v12, 3, v14
	s_waitcnt lgkmcnt(0)
	v_add_co_u32 v1, s2, s0, v3
	s_delay_alu instid0(VALU_DEP_1) | instskip(SKIP_1) | instid1(VALU_DEP_2)
	v_add_co_ci_u32_e64 v2, null, s1, 0, s2
	s_mov_b32 s2, exec_lo
	v_add_co_u32 v4, vcc_lo, 0x1000, v1
	s_delay_alu instid0(VALU_DEP_2)
	v_add_co_ci_u32_e32 v5, vcc_lo, 0, v2, vcc_lo
	s_clause 0x4
	global_load_b64 v[6:7], v3, s[0:1]
	global_load_b64 v[8:9], v3, s[0:1] offset:2048
	global_load_b64 v[10:11], v[4:5], off
	global_load_b64 v[4:5], v[4:5], off offset:2048
	global_load_b64 v[12:13], v12, s[0:1]
	s_waitcnt vmcnt(3)
	ds_store_2addr_stride64_b64 v3, v[6:7], v[8:9] offset1:4
	s_waitcnt vmcnt(1)
	ds_store_2addr_stride64_b64 v3, v[10:11], v[4:5] offset0:8 offset1:12
	s_waitcnt vmcnt(0)
	ds_store_b64 v3, v[12:13] offset:8192
	v_cmpx_gt_u32_e32 0x700, v14
	s_cbranch_execz .LBB86_4
; %bb.1:
	v_add_co_u32 v4, vcc_lo, 0x2000, v1
	v_add_co_ci_u32_e32 v5, vcc_lo, 0, v2, vcc_lo
	s_mov_b32 s3, exec_lo
	global_load_b64 v[4:5], v[4:5], off offset:2048
	s_waitcnt vmcnt(0)
	ds_store_b64 v3, v[4:5] offset:10240
	v_cmpx_gt_u32_e32 0x200, v0
	s_xor_b32 s3, exec_lo, s3
	s_cbranch_execz .LBB86_4
; %bb.2:
	v_lshl_or_b32 v4, v0, 3, 0x3000
	global_load_b64 v[4:5], v4, s[0:1]
	s_mov_b32 s0, exec_lo
	s_waitcnt vmcnt(0)
	ds_store_b64 v3, v[4:5] offset:12288
	v_cmpx_gt_u32_e32 0x100, v0
	s_xor_b32 s0, exec_lo, s0
	s_cbranch_execz .LBB86_4
; %bb.3:
	v_add_co_u32 v4, vcc_lo, 0x3000, v1
	v_add_co_ci_u32_e32 v5, vcc_lo, 0, v2, vcc_lo
	global_load_b64 v[4:5], v[4:5], off offset:2048
	s_waitcnt vmcnt(0)
	ds_store_b64 v3, v[4:5] offset:14336
.LBB86_4:
	s_or_b32 exec_lo, exec_lo, s2
	s_delay_alu instid0(SALU_CYCLE_1)
	s_mov_b32 s0, exec_lo
	s_waitcnt lgkmcnt(0)
	s_barrier
	buffer_gl0_inv
	s_barrier
	buffer_gl0_inv
	s_barrier
	buffer_gl0_inv
	v_cmpx_gt_u32_e32 0x80, v0
	s_cbranch_execz .LBB86_6
; %bb.5:
	v_mad_u32_u24 v36, v0, 56, v3
	ds_load_b128 v[4:7], v36 offset:8192
	ds_load_b128 v[8:11], v36
	ds_load_b128 v[12:15], v36 offset:16
	ds_load_b128 v[16:19], v36 offset:8208
	;; [unrolled: 1-line block ×6, first 2 shown]
	s_waitcnt lgkmcnt(6)
	v_add_co_u32 v4, vcc_lo, v8, v4
	v_add_co_ci_u32_e32 v5, vcc_lo, v9, v5, vcc_lo
	v_add_co_u32 v6, vcc_lo, v10, v6
	v_add_co_ci_u32_e32 v7, vcc_lo, v11, v7, vcc_lo
	s_waitcnt lgkmcnt(4)
	v_add_co_u32 v8, vcc_lo, v12, v16
	v_add_co_ci_u32_e32 v9, vcc_lo, v13, v17, vcc_lo
	v_add_co_u32 v10, vcc_lo, v14, v18
	v_add_co_ci_u32_e32 v11, vcc_lo, v15, v19, vcc_lo
	;; [unrolled: 5-line block ×4, first 2 shown]
	ds_store_b128 v36, v[4:7]
	ds_store_b128 v36, v[8:11] offset:16
	ds_store_b128 v36, v[12:15] offset:32
	ds_store_b128 v36, v[16:19] offset:48
.LBB86_6:
	s_or_b32 exec_lo, exec_lo, s0
	v_lshlrev_b32_e32 v4, 6, v0
	s_mov_b32 s0, exec_lo
	s_waitcnt lgkmcnt(0)
	s_barrier
	buffer_gl0_inv
	v_cmpx_gt_u32_e32 64, v0
	s_cbranch_execz .LBB86_8
; %bb.7:
	ds_load_b128 v[5:8], v4 offset:4096
	ds_load_b128 v[9:12], v4
	ds_load_b128 v[13:16], v4 offset:16
	ds_load_b128 v[17:20], v4 offset:4112
	;; [unrolled: 1-line block ×6, first 2 shown]
	s_waitcnt lgkmcnt(6)
	v_add_co_u32 v5, vcc_lo, v9, v5
	v_add_co_ci_u32_e32 v6, vcc_lo, v10, v6, vcc_lo
	v_add_co_u32 v7, vcc_lo, v11, v7
	v_add_co_ci_u32_e32 v8, vcc_lo, v12, v8, vcc_lo
	s_waitcnt lgkmcnt(4)
	v_add_co_u32 v9, vcc_lo, v13, v17
	v_add_co_ci_u32_e32 v10, vcc_lo, v14, v18, vcc_lo
	v_add_co_u32 v11, vcc_lo, v15, v19
	v_add_co_ci_u32_e32 v12, vcc_lo, v16, v20, vcc_lo
	;; [unrolled: 5-line block ×4, first 2 shown]
	ds_store_b128 v4, v[5:8]
	ds_store_b128 v4, v[9:12] offset:16
	ds_store_b128 v4, v[13:16] offset:32
	;; [unrolled: 1-line block ×3, first 2 shown]
.LBB86_8:
	s_or_b32 exec_lo, exec_lo, s0
	s_delay_alu instid0(SALU_CYCLE_1)
	s_mov_b32 s0, exec_lo
	s_waitcnt lgkmcnt(0)
	s_barrier
	buffer_gl0_inv
	v_cmpx_gt_u32_e32 32, v0
	s_cbranch_execz .LBB86_10
; %bb.9:
	ds_load_b128 v[5:8], v4 offset:2048
	ds_load_b128 v[9:12], v4
	ds_load_b128 v[13:16], v4 offset:16
	ds_load_b128 v[17:20], v4 offset:2064
	;; [unrolled: 1-line block ×6, first 2 shown]
	s_waitcnt lgkmcnt(6)
	v_add_co_u32 v5, vcc_lo, v9, v5
	v_add_co_ci_u32_e32 v6, vcc_lo, v10, v6, vcc_lo
	v_add_co_u32 v7, vcc_lo, v11, v7
	v_add_co_ci_u32_e32 v8, vcc_lo, v12, v8, vcc_lo
	s_waitcnt lgkmcnt(4)
	v_add_co_u32 v9, vcc_lo, v13, v17
	v_add_co_ci_u32_e32 v10, vcc_lo, v14, v18, vcc_lo
	v_add_co_u32 v11, vcc_lo, v15, v19
	v_add_co_ci_u32_e32 v12, vcc_lo, v16, v20, vcc_lo
	;; [unrolled: 5-line block ×4, first 2 shown]
	ds_store_b128 v4, v[5:8]
	ds_store_b128 v4, v[9:12] offset:16
	ds_store_b128 v4, v[13:16] offset:32
	;; [unrolled: 1-line block ×3, first 2 shown]
.LBB86_10:
	s_or_b32 exec_lo, exec_lo, s0
	s_delay_alu instid0(SALU_CYCLE_1)
	s_mov_b32 s0, exec_lo
	s_waitcnt lgkmcnt(0)
	s_barrier
	buffer_gl0_inv
	v_cmpx_gt_u32_e32 16, v0
	s_cbranch_execz .LBB86_12
; %bb.11:
	ds_load_b128 v[5:8], v4 offset:1024
	ds_load_b128 v[9:12], v4
	ds_load_b128 v[13:16], v4 offset:16
	ds_load_b128 v[17:20], v4 offset:1040
	;; [unrolled: 1-line block ×6, first 2 shown]
	s_waitcnt lgkmcnt(6)
	v_add_co_u32 v5, vcc_lo, v9, v5
	v_add_co_ci_u32_e32 v6, vcc_lo, v10, v6, vcc_lo
	v_add_co_u32 v7, vcc_lo, v11, v7
	v_add_co_ci_u32_e32 v8, vcc_lo, v12, v8, vcc_lo
	s_waitcnt lgkmcnt(4)
	v_add_co_u32 v9, vcc_lo, v13, v17
	v_add_co_ci_u32_e32 v10, vcc_lo, v14, v18, vcc_lo
	v_add_co_u32 v11, vcc_lo, v15, v19
	v_add_co_ci_u32_e32 v12, vcc_lo, v16, v20, vcc_lo
	;; [unrolled: 5-line block ×4, first 2 shown]
	ds_store_b128 v4, v[5:8]
	ds_store_b128 v4, v[9:12] offset:16
	ds_store_b128 v4, v[13:16] offset:32
	;; [unrolled: 1-line block ×3, first 2 shown]
.LBB86_12:
	s_or_b32 exec_lo, exec_lo, s0
	v_cmp_gt_u32_e32 vcc_lo, 8, v0
	s_waitcnt lgkmcnt(0)
	s_barrier
	buffer_gl0_inv
	s_and_saveexec_b32 s1, vcc_lo
	s_cbranch_execz .LBB86_14
; %bb.13:
	ds_load_b128 v[5:8], v4 offset:512
	ds_load_b128 v[9:12], v4
	ds_load_b128 v[13:16], v4 offset:16
	ds_load_b128 v[17:20], v4 offset:528
	;; [unrolled: 1-line block ×6, first 2 shown]
	s_waitcnt lgkmcnt(6)
	v_add_co_u32 v5, s0, v9, v5
	s_delay_alu instid0(VALU_DEP_1) | instskip(SKIP_1) | instid1(VALU_DEP_1)
	v_add_co_ci_u32_e64 v6, s0, v10, v6, s0
	v_add_co_u32 v7, s0, v11, v7
	v_add_co_ci_u32_e64 v8, s0, v12, v8, s0
	s_waitcnt lgkmcnt(4)
	v_add_co_u32 v9, s0, v13, v17
	s_delay_alu instid0(VALU_DEP_1) | instskip(SKIP_1) | instid1(VALU_DEP_1)
	v_add_co_ci_u32_e64 v10, s0, v14, v18, s0
	v_add_co_u32 v11, s0, v15, v19
	v_add_co_ci_u32_e64 v12, s0, v16, v20, s0
	;; [unrolled: 6-line block ×4, first 2 shown]
	ds_store_b128 v4, v[5:8]
	ds_store_b128 v4, v[9:12] offset:16
	ds_store_b128 v4, v[13:16] offset:32
	;; [unrolled: 1-line block ×3, first 2 shown]
.LBB86_14:
	s_or_b32 exec_lo, exec_lo, s1
	s_delay_alu instid0(SALU_CYCLE_1)
	s_mov_b32 s1, exec_lo
	s_waitcnt lgkmcnt(0)
	s_barrier
	buffer_gl0_inv
	v_cmpx_gt_u32_e32 4, v0
	s_cbranch_execz .LBB86_16
; %bb.15:
	ds_load_b128 v[5:8], v4 offset:256
	ds_load_b128 v[9:12], v4
	ds_load_b128 v[13:16], v4 offset:16
	ds_load_b128 v[17:20], v4 offset:272
	;; [unrolled: 1-line block ×6, first 2 shown]
	s_waitcnt lgkmcnt(6)
	v_add_co_u32 v5, s0, v9, v5
	s_delay_alu instid0(VALU_DEP_1) | instskip(SKIP_1) | instid1(VALU_DEP_1)
	v_add_co_ci_u32_e64 v6, s0, v10, v6, s0
	v_add_co_u32 v7, s0, v11, v7
	v_add_co_ci_u32_e64 v8, s0, v12, v8, s0
	s_waitcnt lgkmcnt(4)
	v_add_co_u32 v9, s0, v13, v17
	s_delay_alu instid0(VALU_DEP_1) | instskip(SKIP_1) | instid1(VALU_DEP_1)
	v_add_co_ci_u32_e64 v10, s0, v14, v18, s0
	v_add_co_u32 v11, s0, v15, v19
	v_add_co_ci_u32_e64 v12, s0, v16, v20, s0
	;; [unrolled: 6-line block ×4, first 2 shown]
	ds_store_b128 v4, v[5:8]
	ds_store_b128 v4, v[9:12] offset:16
	ds_store_b128 v4, v[13:16] offset:32
	;; [unrolled: 1-line block ×3, first 2 shown]
.LBB86_16:
	s_or_b32 exec_lo, exec_lo, s1
	s_delay_alu instid0(SALU_CYCLE_1)
	s_mov_b32 s1, exec_lo
	s_waitcnt lgkmcnt(0)
	s_barrier
	buffer_gl0_inv
	v_cmpx_gt_u32_e32 2, v0
	s_cbranch_execz .LBB86_18
; %bb.17:
	ds_load_b128 v[5:8], v4 offset:128
	ds_load_b128 v[9:12], v4
	ds_load_b128 v[13:16], v4 offset:16
	ds_load_b128 v[17:20], v4 offset:144
	;; [unrolled: 1-line block ×6, first 2 shown]
	s_waitcnt lgkmcnt(6)
	v_add_co_u32 v5, s0, v9, v5
	s_delay_alu instid0(VALU_DEP_1) | instskip(SKIP_1) | instid1(VALU_DEP_1)
	v_add_co_ci_u32_e64 v6, s0, v10, v6, s0
	v_add_co_u32 v7, s0, v11, v7
	v_add_co_ci_u32_e64 v8, s0, v12, v8, s0
	s_waitcnt lgkmcnt(4)
	v_add_co_u32 v9, s0, v13, v17
	s_delay_alu instid0(VALU_DEP_1) | instskip(SKIP_1) | instid1(VALU_DEP_1)
	v_add_co_ci_u32_e64 v10, s0, v14, v18, s0
	v_add_co_u32 v11, s0, v15, v19
	v_add_co_ci_u32_e64 v12, s0, v16, v20, s0
	;; [unrolled: 6-line block ×4, first 2 shown]
	ds_store_b128 v4, v[5:8]
	ds_store_b128 v4, v[9:12] offset:16
	ds_store_b128 v4, v[13:16] offset:32
	;; [unrolled: 1-line block ×3, first 2 shown]
.LBB86_18:
	s_or_b32 exec_lo, exec_lo, s1
	s_delay_alu instid0(SALU_CYCLE_1)
	s_mov_b32 s1, exec_lo
	s_waitcnt lgkmcnt(0)
	s_barrier
	buffer_gl0_inv
	v_cmpx_eq_u32_e32 0, v0
	s_cbranch_execz .LBB86_20
; %bb.19:
	v_mov_b32_e32 v0, 0
	ds_load_b128 v[4:7], v0 offset:64
	ds_load_b128 v[8:11], v0
	ds_load_b128 v[12:15], v0 offset:16
	ds_load_b128 v[16:19], v0 offset:80
	;; [unrolled: 1-line block ×6, first 2 shown]
	s_waitcnt lgkmcnt(6)
	v_add_co_u32 v4, s0, v8, v4
	s_delay_alu instid0(VALU_DEP_1) | instskip(SKIP_1) | instid1(VALU_DEP_1)
	v_add_co_ci_u32_e64 v5, s0, v9, v5, s0
	v_add_co_u32 v6, s0, v10, v6
	v_add_co_ci_u32_e64 v7, s0, v11, v7, s0
	s_waitcnt lgkmcnt(4)
	v_add_co_u32 v8, s0, v12, v16
	s_delay_alu instid0(VALU_DEP_1) | instskip(SKIP_1) | instid1(VALU_DEP_1)
	v_add_co_ci_u32_e64 v9, s0, v13, v17, s0
	v_add_co_u32 v10, s0, v14, v18
	v_add_co_ci_u32_e64 v11, s0, v15, v19, s0
	s_waitcnt lgkmcnt(2)
	v_add_co_u32 v12, s0, v24, v20
	s_delay_alu instid0(VALU_DEP_1) | instskip(SKIP_1) | instid1(VALU_DEP_1)
	v_add_co_ci_u32_e64 v13, s0, v25, v21, s0
	v_add_co_u32 v14, s0, v26, v22
	v_add_co_ci_u32_e64 v15, s0, v27, v23, s0
	s_waitcnt lgkmcnt(0)
	v_add_co_u32 v16, s0, v28, v32
	s_delay_alu instid0(VALU_DEP_1) | instskip(SKIP_1) | instid1(VALU_DEP_1)
	v_add_co_ci_u32_e64 v17, s0, v29, v33, s0
	v_add_co_u32 v18, s0, v30, v34
	v_add_co_ci_u32_e64 v19, s0, v31, v35, s0
	ds_store_b128 v0, v[4:7]
	ds_store_b128 v0, v[8:11] offset:16
	ds_store_b128 v0, v[12:15] offset:32
	;; [unrolled: 1-line block ×3, first 2 shown]
.LBB86_20:
	s_or_b32 exec_lo, exec_lo, s1
	s_waitcnt lgkmcnt(0)
	s_barrier
	buffer_gl0_inv
	s_and_saveexec_b32 s0, vcc_lo
	s_cbranch_execz .LBB86_22
; %bb.21:
	ds_load_b64 v[3:4], v3
	s_waitcnt lgkmcnt(0)
	global_store_b64 v[1:2], v[3:4], off
.LBB86_22:
	s_nop 0
	s_sendmsg sendmsg(MSG_DEALLOC_VGPRS)
	s_endpgm
	.section	.rodata,"a",@progbits
	.p2align	6, 0x0
	.amdhsa_kernel _ZN9rocsparseL26bsrgemm_group_reduce_part3ILj256ELj8ElEEvPT1_
		.amdhsa_group_segment_fixed_size 16384
		.amdhsa_private_segment_fixed_size 0
		.amdhsa_kernarg_size 8
		.amdhsa_user_sgpr_count 15
		.amdhsa_user_sgpr_dispatch_ptr 0
		.amdhsa_user_sgpr_queue_ptr 0
		.amdhsa_user_sgpr_kernarg_segment_ptr 1
		.amdhsa_user_sgpr_dispatch_id 0
		.amdhsa_user_sgpr_private_segment_size 0
		.amdhsa_wavefront_size32 1
		.amdhsa_uses_dynamic_stack 0
		.amdhsa_enable_private_segment 0
		.amdhsa_system_sgpr_workgroup_id_x 1
		.amdhsa_system_sgpr_workgroup_id_y 0
		.amdhsa_system_sgpr_workgroup_id_z 0
		.amdhsa_system_sgpr_workgroup_info 0
		.amdhsa_system_vgpr_workitem_id 0
		.amdhsa_next_free_vgpr 37
		.amdhsa_next_free_sgpr 4
		.amdhsa_reserve_vcc 1
		.amdhsa_float_round_mode_32 0
		.amdhsa_float_round_mode_16_64 0
		.amdhsa_float_denorm_mode_32 3
		.amdhsa_float_denorm_mode_16_64 3
		.amdhsa_dx10_clamp 1
		.amdhsa_ieee_mode 1
		.amdhsa_fp16_overflow 0
		.amdhsa_workgroup_processor_mode 1
		.amdhsa_memory_ordered 1
		.amdhsa_forward_progress 0
		.amdhsa_shared_vgpr_count 0
		.amdhsa_exception_fp_ieee_invalid_op 0
		.amdhsa_exception_fp_denorm_src 0
		.amdhsa_exception_fp_ieee_div_zero 0
		.amdhsa_exception_fp_ieee_overflow 0
		.amdhsa_exception_fp_ieee_underflow 0
		.amdhsa_exception_fp_ieee_inexact 0
		.amdhsa_exception_int_div_zero 0
	.end_amdhsa_kernel
	.section	.text._ZN9rocsparseL26bsrgemm_group_reduce_part3ILj256ELj8ElEEvPT1_,"axG",@progbits,_ZN9rocsparseL26bsrgemm_group_reduce_part3ILj256ELj8ElEEvPT1_,comdat
.Lfunc_end86:
	.size	_ZN9rocsparseL26bsrgemm_group_reduce_part3ILj256ELj8ElEEvPT1_, .Lfunc_end86-_ZN9rocsparseL26bsrgemm_group_reduce_part3ILj256ELj8ElEEvPT1_
                                        ; -- End function
	.section	.AMDGPU.csdata,"",@progbits
; Kernel info:
; codeLenInByte = 2552
; NumSgprs: 6
; NumVgprs: 37
; ScratchSize: 0
; MemoryBound: 1
; FloatMode: 240
; IeeeMode: 1
; LDSByteSize: 16384 bytes/workgroup (compile time only)
; SGPRBlocks: 0
; VGPRBlocks: 4
; NumSGPRsForWavesPerEU: 6
; NumVGPRsForWavesPerEU: 37
; Occupancy: 16
; WaveLimiterHint : 1
; COMPUTE_PGM_RSRC2:SCRATCH_EN: 0
; COMPUTE_PGM_RSRC2:USER_SGPR: 15
; COMPUTE_PGM_RSRC2:TRAP_HANDLER: 0
; COMPUTE_PGM_RSRC2:TGID_X_EN: 1
; COMPUTE_PGM_RSRC2:TGID_Y_EN: 0
; COMPUTE_PGM_RSRC2:TGID_Z_EN: 0
; COMPUTE_PGM_RSRC2:TIDIG_COMP_CNT: 0
	.section	.text._ZN9rocsparseL27bsrgemm_fill_wf_per_row_2x2ILj256ELj16ELj8ELj137EllfEEv20rocsparse_direction_T4_S2_PKS2_S4_NS_24const_host_device_scalarIT5_EEPKT3_S4_PKS6_SA_S4_SC_S7_SA_S4_SC_SA_PS2_PS6_21rocsparse_index_base_SF_SF_SF_bbb,"axG",@progbits,_ZN9rocsparseL27bsrgemm_fill_wf_per_row_2x2ILj256ELj16ELj8ELj137EllfEEv20rocsparse_direction_T4_S2_PKS2_S4_NS_24const_host_device_scalarIT5_EEPKT3_S4_PKS6_SA_S4_SC_S7_SA_S4_SC_SA_PS2_PS6_21rocsparse_index_base_SF_SF_SF_bbb,comdat
	.globl	_ZN9rocsparseL27bsrgemm_fill_wf_per_row_2x2ILj256ELj16ELj8ELj137EllfEEv20rocsparse_direction_T4_S2_PKS2_S4_NS_24const_host_device_scalarIT5_EEPKT3_S4_PKS6_SA_S4_SC_S7_SA_S4_SC_SA_PS2_PS6_21rocsparse_index_base_SF_SF_SF_bbb ; -- Begin function _ZN9rocsparseL27bsrgemm_fill_wf_per_row_2x2ILj256ELj16ELj8ELj137EllfEEv20rocsparse_direction_T4_S2_PKS2_S4_NS_24const_host_device_scalarIT5_EEPKT3_S4_PKS6_SA_S4_SC_S7_SA_S4_SC_SA_PS2_PS6_21rocsparse_index_base_SF_SF_SF_bbb
	.p2align	8
	.type	_ZN9rocsparseL27bsrgemm_fill_wf_per_row_2x2ILj256ELj16ELj8ELj137EllfEEv20rocsparse_direction_T4_S2_PKS2_S4_NS_24const_host_device_scalarIT5_EEPKT3_S4_PKS6_SA_S4_SC_S7_SA_S4_SC_SA_PS2_PS6_21rocsparse_index_base_SF_SF_SF_bbb,@function
_ZN9rocsparseL27bsrgemm_fill_wf_per_row_2x2ILj256ELj16ELj8ELj137EllfEEv20rocsparse_direction_T4_S2_PKS2_S4_NS_24const_host_device_scalarIT5_EEPKT3_S4_PKS6_SA_S4_SC_S7_SA_S4_SC_SA_PS2_PS6_21rocsparse_index_base_SF_SF_SF_bbb: ; @_ZN9rocsparseL27bsrgemm_fill_wf_per_row_2x2ILj256ELj16ELj8ELj137EllfEEv20rocsparse_direction_T4_S2_PKS2_S4_NS_24const_host_device_scalarIT5_EEPKT3_S4_PKS6_SA_S4_SC_S7_SA_S4_SC_SA_PS2_PS6_21rocsparse_index_base_SF_SF_SF_bbb
; %bb.0:
	s_clause 0x2
	s_load_b32 s6, s[0:1], 0xa8
	s_load_b64 s[4:5], s[0:1], 0x28
	s_load_b64 s[2:3], s[0:1], 0x60
	s_waitcnt lgkmcnt(0)
	s_bitcmp1_b32 s6, 0
	s_cselect_b32 s13, -1, 0
	s_bitcmp1_b32 s6, 16
	s_cselect_b32 s7, -1, 0
	s_xor_b32 s8, s13, -1
	s_delay_alu instid0(SALU_CYCLE_1) | instskip(NEXT) | instid1(SALU_CYCLE_1)
	s_or_b32 s8, s8, s7
	s_and_b32 vcc_lo, exec_lo, s8
	s_cbranch_vccnz .LBB87_2
; %bb.1:
	s_load_b32 s4, s[4:5], 0x0
	s_waitcnt lgkmcnt(0)
	v_mov_b32_e32 v21, s4
	s_branch .LBB87_3
.LBB87_2:
	v_cndmask_b32_e64 v21, 0, s4, s13
.LBB87_3:
	s_load_b128 s[36:39], s[0:1], 0x98
	s_bitcmp1_b32 s6, 8
	s_cselect_b32 s12, -1, 0
	s_delay_alu instid0(SALU_CYCLE_1) | instskip(NEXT) | instid1(SALU_CYCLE_1)
	s_xor_b32 s4, s12, -1
	s_or_b32 s4, s4, s7
	s_delay_alu instid0(SALU_CYCLE_1)
	s_and_b32 vcc_lo, exec_lo, s4
	s_cbranch_vccnz .LBB87_5
; %bb.4:
	s_load_b32 s2, s[2:3], 0x0
	s_waitcnt lgkmcnt(0)
	v_mov_b32_e32 v19, s2
	s_branch .LBB87_6
.LBB87_5:
	v_cndmask_b32_e64 v19, 0, s2, s12
.LBB87_6:
	s_clause 0x4
	s_load_b128 s[40:43], s[0:1], 0x88
	s_load_b256 s[4:11], s[0:1], 0x68
	s_load_b128 s[44:47], s[0:1], 0x50
	s_load_b256 s[16:23], s[0:1], 0x8
	s_load_b256 s[24:31], s[0:1], 0x30
	v_lshrrev_b32_e32 v1, 4, v0
	v_and_b32_e32 v20, 15, v0
	s_delay_alu instid0(VALU_DEP_2) | instskip(NEXT) | instid1(VALU_DEP_2)
	v_lshl_or_b32 v16, v1, 6, 0x800
	v_cmp_gt_u32_e64 s2, 8, v20
	s_delay_alu instid0(VALU_DEP_1)
	s_and_saveexec_b32 s3, s2
	s_cbranch_execz .LBB87_8
; %bb.7:
	s_delay_alu instid0(VALU_DEP_2)
	v_lshl_add_u32 v0, v20, 3, v16
	s_waitcnt lgkmcnt(0)
	v_dual_mov_b32 v2, s18 :: v_dual_mov_b32 v3, s19
	ds_store_b64 v0, v[2:3]
.LBB87_8:
	s_or_b32 exec_lo, exec_lo, s3
	v_lshlrev_b32_e32 v17, 2, v20
	v_or_b32_e32 v0, -16, v20
	v_mov_b32_e32 v3, 0
	s_mov_b32 s3, 0
	s_delay_alu instid0(VALU_DEP_3)
	v_lshl_or_b32 v2, v1, 7, v17
.LBB87_9:                               ; =>This Inner Loop Header: Depth=1
	s_delay_alu instid0(VALU_DEP_3) | instskip(NEXT) | instid1(VALU_DEP_1)
	v_add_co_u32 v0, s14, v0, 16
	s_xor_b32 s14, s14, -1
	ds_store_b32 v2, v3
	v_add_nc_u32_e32 v2, 64, v2
	s_and_b32 s14, exec_lo, s14
	s_delay_alu instid0(SALU_CYCLE_1) | instskip(NEXT) | instid1(SALU_CYCLE_1)
	s_or_b32 s3, s14, s3
	s_and_not1_b32 exec_lo, exec_lo, s3
	s_cbranch_execnz .LBB87_9
; %bb.10:
	s_or_b32 exec_lo, exec_lo, s3
	v_lshl_or_b32 v4, s15, 4, v1
	v_mov_b32_e32 v5, 0
	s_waitcnt lgkmcnt(0)
	s_barrier
	buffer_gl0_inv
	s_mov_b32 s3, exec_lo
	v_cmpx_gt_i64_e64 s[16:17], v[4:5]
	s_cbranch_execz .LBB87_16
; %bb.11:
	s_cmp_eq_u64 s[22:23], 0
	s_cbranch_scc1 .LBB87_13
; %bb.12:
	s_load_b64 s[14:15], s[20:21], 0x0
	v_lshlrev_b64 v[2:3], 3, v[4:5]
	s_waitcnt lgkmcnt(0)
	s_lshl_b64 s[14:15], s[14:15], 3
	s_delay_alu instid0(SALU_CYCLE_1) | instskip(SKIP_1) | instid1(VALU_DEP_1)
	s_add_u32 s3, s22, s14
	s_addc_u32 s14, s23, s15
	v_add_co_u32 v2, vcc_lo, s3, v2
	v_add_co_ci_u32_e32 v3, vcc_lo, s14, v3, vcc_lo
	global_load_b64 v[4:5], v[2:3], off
.LBB87_13:
	s_load_b32 s0, s[0:1], 0x0
	v_lshlrev_b32_e32 v18, 7, v1
	s_and_not1_b32 vcc_lo, exec_lo, s13
	s_cbranch_vccz .LBB87_17
; %bb.14:
	s_and_not1_b32 vcc_lo, exec_lo, s12
	s_waitcnt vmcnt(0) lgkmcnt(0)
	buffer_gl0_inv
	s_cbranch_vccz .LBB87_72
.LBB87_15:
	buffer_gl0_inv
	s_and_b32 exec_lo, exec_lo, s2
	s_cbranch_execnz .LBB87_124
.LBB87_16:
	s_endpgm
.LBB87_17:
	s_waitcnt vmcnt(0)
	v_lshlrev_b64 v[0:1], 3, v[4:5]
	v_sub_co_u32 v8, s1, v20, s36
	s_delay_alu instid0(VALU_DEP_1) | instskip(SKIP_1) | instid1(VALU_DEP_3)
	v_sub_co_ci_u32_e64 v9, null, 0, 0, s1
	s_mov_b32 s3, 0
	v_add_co_u32 v0, vcc_lo, s24, v0
	s_delay_alu instid0(VALU_DEP_4)
	v_add_co_ci_u32_e32 v1, vcc_lo, s25, v1, vcc_lo
	s_mov_b32 s1, exec_lo
	global_load_b128 v[0:3], v[0:1], off
	s_waitcnt vmcnt(0)
	v_sub_co_u32 v6, vcc_lo, v2, s36
	v_subrev_co_ci_u32_e32 v7, vcc_lo, 0, v3, vcc_lo
	v_add_co_u32 v8, vcc_lo, v0, v8
	v_add_co_ci_u32_e32 v9, vcc_lo, v1, v9, vcc_lo
	s_delay_alu instid0(VALU_DEP_1)
	v_cmpx_lt_i64_e64 v[8:9], v[6:7]
	s_cbranch_execz .LBB87_71
; %bb.18:
	s_waitcnt lgkmcnt(0)
	s_cmp_eq_u32 s0, 0
	s_mov_b32 s13, s37
	s_cselect_b32 s14, 1, 2
	s_cselect_b32 s15, 2, 1
	s_branch .LBB87_20
.LBB87_19:                              ;   in Loop: Header=BB87_20 Depth=1
	s_or_b32 exec_lo, exec_lo, s16
	v_add_co_u32 v8, vcc_lo, v8, 16
	v_add_co_ci_u32_e32 v9, vcc_lo, 0, v9, vcc_lo
	s_delay_alu instid0(VALU_DEP_1) | instskip(SKIP_1) | instid1(SALU_CYCLE_1)
	v_cmp_ge_i64_e32 vcc_lo, v[8:9], v[6:7]
	s_or_b32 s3, vcc_lo, s3
	s_and_not1_b32 exec_lo, exec_lo, s3
	s_cbranch_execz .LBB87_71
.LBB87_20:                              ; =>This Loop Header: Depth=1
                                        ;     Child Loop BB87_23 Depth 2
                                        ;       Child Loop BB87_25 Depth 3
                                        ;       Child Loop BB87_37 Depth 3
                                        ;       Child Loop BB87_49 Depth 3
                                        ;       Child Loop BB87_61 Depth 3
	v_lshlrev_b64 v[0:1], 3, v[8:9]
	s_mov_b32 s16, exec_lo
	s_delay_alu instid0(VALU_DEP_1) | instskip(NEXT) | instid1(VALU_DEP_2)
	v_add_co_u32 v0, vcc_lo, s26, v0
	v_add_co_ci_u32_e32 v1, vcc_lo, s27, v1, vcc_lo
	global_load_b64 v[0:1], v[0:1], off
	s_waitcnt vmcnt(0)
	v_sub_co_u32 v0, vcc_lo, v0, s36
	v_subrev_co_ci_u32_e32 v1, vcc_lo, 0, v1, vcc_lo
	s_delay_alu instid0(VALU_DEP_1) | instskip(NEXT) | instid1(VALU_DEP_1)
	v_lshlrev_b64 v[0:1], 3, v[0:1]
	v_add_co_u32 v0, vcc_lo, s30, v0
	s_delay_alu instid0(VALU_DEP_2)
	v_add_co_ci_u32_e32 v1, vcc_lo, s31, v1, vcc_lo
	global_load_b128 v[0:3], v[0:1], off
	s_waitcnt vmcnt(0)
	v_cmpx_lt_i64_e64 v[0:1], v[2:3]
	s_cbranch_execz .LBB87_19
; %bb.21:                               ;   in Loop: Header=BB87_20 Depth=1
	v_lshlrev_b64 v[10:11], 2, v[8:9]
	v_lshlrev_b64 v[14:15], 4, v[8:9]
	s_mov_b32 s17, 0
	s_delay_alu instid0(VALU_DEP_2) | instskip(NEXT) | instid1(VALU_DEP_3)
	v_or_b32_e32 v13, 0, v11
	v_or_b32_e32 v12, s15, v10
	v_or_b32_e32 v11, 0, v11
	v_or_b32_e32 v10, s14, v10
	v_add_co_u32 v14, vcc_lo, s28, v14
	s_delay_alu instid0(VALU_DEP_4) | instskip(SKIP_1) | instid1(VALU_DEP_4)
	v_lshlrev_b64 v[12:13], 2, v[12:13]
	v_add_co_ci_u32_e32 v15, vcc_lo, s29, v15, vcc_lo
	v_lshlrev_b64 v[10:11], 2, v[10:11]
	s_delay_alu instid0(VALU_DEP_3) | instskip(NEXT) | instid1(VALU_DEP_4)
	v_add_co_u32 v12, vcc_lo, s28, v12
	v_add_co_ci_u32_e32 v13, vcc_lo, s29, v13, vcc_lo
	s_delay_alu instid0(VALU_DEP_3) | instskip(NEXT) | instid1(VALU_DEP_4)
	v_add_co_u32 v10, vcc_lo, s28, v10
	v_add_co_ci_u32_e32 v11, vcc_lo, s29, v11, vcc_lo
	s_clause 0x3
	global_load_b32 v22, v[14:15], off offset:12
	global_load_b32 v12, v[12:13], off
	global_load_b32 v10, v[10:11], off
	;; [unrolled: 1-line block ×3, first 2 shown]
	v_sub_co_u32 v2, vcc_lo, v2, s13
	v_subrev_co_ci_u32_e32 v3, vcc_lo, 0, v3, vcc_lo
	v_sub_co_u32 v0, vcc_lo, v0, s13
	v_subrev_co_ci_u32_e32 v1, vcc_lo, 0, v1, vcc_lo
	s_waitcnt vmcnt(3)
	v_mul_f32_e32 v22, v21, v22
	s_waitcnt vmcnt(2)
	v_mul_f32_e32 v23, v21, v12
	;; [unrolled: 2-line block ×4, first 2 shown]
	s_branch .LBB87_23
.LBB87_22:                              ;   in Loop: Header=BB87_23 Depth=2
	s_or_b32 exec_lo, exec_lo, s20
	v_add_co_u32 v0, vcc_lo, v0, 1
	v_add_co_ci_u32_e32 v1, vcc_lo, 0, v1, vcc_lo
	s_delay_alu instid0(VALU_DEP_1) | instskip(SKIP_1) | instid1(SALU_CYCLE_1)
	v_cmp_ge_i64_e32 vcc_lo, v[0:1], v[2:3]
	s_or_b32 s17, vcc_lo, s17
	s_and_not1_b32 exec_lo, exec_lo, s17
	s_cbranch_execz .LBB87_19
.LBB87_23:                              ;   Parent Loop BB87_20 Depth=1
                                        ; =>  This Loop Header: Depth=2
                                        ;       Child Loop BB87_25 Depth 3
                                        ;       Child Loop BB87_37 Depth 3
	;; [unrolled: 1-line block ×4, first 2 shown]
	v_lshlrev_b64 v[10:11], 2, v[0:1]
	v_lshlrev_b64 v[12:13], 3, v[0:1]
	;; [unrolled: 1-line block ×3, first 2 shown]
	s_mov_b32 s20, 0
	s_delay_alu instid0(VALU_DEP_3) | instskip(NEXT) | instid1(VALU_DEP_4)
	v_or_b32_e32 v15, 0, v11
	v_or_b32_e32 v14, s14, v10
	;; [unrolled: 1-line block ×4, first 2 shown]
	v_add_co_u32 v12, vcc_lo, s44, v12
	v_add_co_ci_u32_e32 v13, vcc_lo, s45, v13, vcc_lo
	s_delay_alu instid0(VALU_DEP_3)
	v_lshlrev_b64 v[10:11], 2, v[10:11]
	v_lshlrev_b64 v[14:15], 2, v[14:15]
	global_load_b64 v[12:13], v[12:13], off
	v_add_co_u32 v10, vcc_lo, s46, v10
	v_add_co_ci_u32_e32 v11, vcc_lo, s47, v11, vcc_lo
	v_add_co_u32 v30, vcc_lo, s46, v26
	v_add_co_ci_u32_e32 v31, vcc_lo, s47, v27, vcc_lo
	global_load_b32 v28, v[10:11], off
	v_add_co_u32 v10, vcc_lo, s46, v14
	v_add_co_ci_u32_e32 v11, vcc_lo, s47, v15, vcc_lo
	s_clause 0x2
	global_load_b32 v29, v[30:31], off
	global_load_b32 v26, v[10:11], off
	global_load_b32 v27, v[30:31], off offset:12
	s_waitcnt vmcnt(4)
	v_sub_co_u32 v10, vcc_lo, v12, s13
	v_subrev_co_ci_u32_e32 v11, vcc_lo, 0, v13, vcc_lo
	s_delay_alu instid0(VALU_DEP_2) | instskip(SKIP_2) | instid1(VALU_DEP_2)
	v_and_b32_e32 v12, 7, v10
	v_mov_b32_e32 v14, v13
	s_waitcnt vmcnt(3)
	v_dual_mov_b32 v13, v12 :: v_dual_mul_f32 v30, v25, v28
	s_waitcnt vmcnt(2)
	s_delay_alu instid0(VALU_DEP_1)
	v_fmac_f32_e32 v30, v24, v29
	s_branch .LBB87_25
.LBB87_24:                              ;   in Loop: Header=BB87_25 Depth=3
	s_or_b32 exec_lo, exec_lo, s21
	s_xor_b32 s21, s22, -1
	s_delay_alu instid0(SALU_CYCLE_1) | instskip(NEXT) | instid1(SALU_CYCLE_1)
	s_and_b32 s21, exec_lo, s21
	s_or_b32 s20, s21, s20
	s_delay_alu instid0(SALU_CYCLE_1)
	s_and_not1_b32 exec_lo, exec_lo, s20
	s_cbranch_execz .LBB87_35
.LBB87_25:                              ;   Parent Loop BB87_20 Depth=1
                                        ;     Parent Loop BB87_23 Depth=2
                                        ; =>    This Inner Loop Header: Depth=3
	s_delay_alu instid0(VALU_DEP_2)
	v_lshl_add_u32 v31, v13, 3, v16
	s_mov_b32 s21, exec_lo
                                        ; implicit-def: $sgpr22
	ds_load_b64 v[14:15], v31
	s_waitcnt lgkmcnt(0)
	v_cmpx_ne_u64_e64 v[14:15], v[10:11]
	s_xor_b32 s21, exec_lo, s21
	s_cbranch_execz .LBB87_33
; %bb.26:                               ;   in Loop: Header=BB87_25 Depth=3
	s_mov_b32 s23, exec_lo
                                        ; implicit-def: $sgpr22
	v_cmpx_ne_u64_e64 s[18:19], v[14:15]
	s_xor_b32 s23, exec_lo, s23
; %bb.27:                               ;   in Loop: Header=BB87_25 Depth=3
	v_add_nc_u32_e32 v13, 1, v13
	s_mov_b32 s22, -1
                                        ; implicit-def: $vgpr31
	s_delay_alu instid0(VALU_DEP_1)
	v_and_b32_e32 v13, 7, v13
; %bb.28:                               ;   in Loop: Header=BB87_25 Depth=3
	s_and_not1_saveexec_b32 s23, s23
	s_cbranch_execz .LBB87_32
; %bb.29:                               ;   in Loop: Header=BB87_25 Depth=3
	v_dual_mov_b32 v14, s18 :: v_dual_mov_b32 v15, s19
	s_mov_b32 s24, -1
	s_mov_b32 s25, exec_lo
	ds_cmpstore_rtn_b64 v[14:15], v31, v[10:11], v[14:15]
	s_waitcnt lgkmcnt(0)
	v_cmpx_eq_u64_e64 s[18:19], v[14:15]
	s_cbranch_execz .LBB87_31
; %bb.30:                               ;   in Loop: Header=BB87_25 Depth=3
	v_lshl_add_u32 v14, v13, 4, v18
	s_xor_b32 s24, exec_lo, -1
	ds_add_f32 v14, v30
.LBB87_31:                              ;   in Loop: Header=BB87_25 Depth=3
	s_or_b32 exec_lo, exec_lo, s25
	s_delay_alu instid0(SALU_CYCLE_1) | instskip(SKIP_1) | instid1(SALU_CYCLE_1)
	s_and_not1_b32 s22, s22, exec_lo
	s_and_b32 s24, s24, exec_lo
	s_or_b32 s22, s22, s24
.LBB87_32:                              ;   in Loop: Header=BB87_25 Depth=3
	s_or_b32 exec_lo, exec_lo, s23
	s_delay_alu instid0(SALU_CYCLE_1)
	s_and_b32 s22, s22, exec_lo
.LBB87_33:                              ;   in Loop: Header=BB87_25 Depth=3
	s_and_not1_saveexec_b32 s21, s21
	s_cbranch_execz .LBB87_24
; %bb.34:                               ;   in Loop: Header=BB87_25 Depth=3
	v_lshl_add_u32 v14, v13, 4, v18
	s_and_not1_b32 s22, s22, exec_lo
	ds_add_f32 v14, v30
	s_branch .LBB87_24
.LBB87_35:                              ;   in Loop: Header=BB87_23 Depth=2
	s_or_b32 exec_lo, exec_lo, s20
	v_mov_b32_e32 v14, v13
	s_waitcnt vmcnt(0)
	v_dual_mul_f32 v30, v25, v27 :: v_dual_mov_b32 v13, v12
	s_mov_b32 s20, 0
	s_delay_alu instid0(VALU_DEP_1)
	v_fmac_f32_e32 v30, v24, v26
	s_branch .LBB87_37
.LBB87_36:                              ;   in Loop: Header=BB87_37 Depth=3
	s_or_b32 exec_lo, exec_lo, s21
	s_xor_b32 s21, s22, -1
	s_delay_alu instid0(SALU_CYCLE_1) | instskip(NEXT) | instid1(SALU_CYCLE_1)
	s_and_b32 s21, exec_lo, s21
	s_or_b32 s20, s21, s20
	s_delay_alu instid0(SALU_CYCLE_1)
	s_and_not1_b32 exec_lo, exec_lo, s20
	s_cbranch_execz .LBB87_47
.LBB87_37:                              ;   Parent Loop BB87_20 Depth=1
                                        ;     Parent Loop BB87_23 Depth=2
                                        ; =>    This Inner Loop Header: Depth=3
	s_delay_alu instid0(VALU_DEP_2)
	v_lshl_add_u32 v31, v13, 3, v16
	s_mov_b32 s21, exec_lo
                                        ; implicit-def: $sgpr22
	ds_load_b64 v[14:15], v31
	s_waitcnt lgkmcnt(0)
	v_cmpx_ne_u64_e64 v[14:15], v[10:11]
	s_xor_b32 s21, exec_lo, s21
	s_cbranch_execz .LBB87_45
; %bb.38:                               ;   in Loop: Header=BB87_37 Depth=3
	s_mov_b32 s23, exec_lo
                                        ; implicit-def: $sgpr22
	v_cmpx_ne_u64_e64 s[18:19], v[14:15]
	s_xor_b32 s23, exec_lo, s23
; %bb.39:                               ;   in Loop: Header=BB87_37 Depth=3
	v_add_nc_u32_e32 v13, 1, v13
	s_mov_b32 s22, -1
                                        ; implicit-def: $vgpr31
	s_delay_alu instid0(VALU_DEP_1)
	v_and_b32_e32 v13, 7, v13
; %bb.40:                               ;   in Loop: Header=BB87_37 Depth=3
	s_and_not1_saveexec_b32 s23, s23
	s_cbranch_execz .LBB87_44
; %bb.41:                               ;   in Loop: Header=BB87_37 Depth=3
	v_dual_mov_b32 v14, s18 :: v_dual_mov_b32 v15, s19
	s_mov_b32 s24, -1
	s_mov_b32 s25, exec_lo
	ds_cmpstore_rtn_b64 v[14:15], v31, v[10:11], v[14:15]
	s_waitcnt lgkmcnt(0)
	v_cmpx_eq_u64_e64 s[18:19], v[14:15]
	s_cbranch_execz .LBB87_43
; %bb.42:                               ;   in Loop: Header=BB87_37 Depth=3
	v_lshl_add_u32 v14, v13, 4, v18
	s_xor_b32 s24, exec_lo, -1
	ds_add_f32 v14, v30 offset:4
.LBB87_43:                              ;   in Loop: Header=BB87_37 Depth=3
	s_or_b32 exec_lo, exec_lo, s25
	s_delay_alu instid0(SALU_CYCLE_1) | instskip(SKIP_1) | instid1(SALU_CYCLE_1)
	s_and_not1_b32 s22, s22, exec_lo
	s_and_b32 s24, s24, exec_lo
	s_or_b32 s22, s22, s24
.LBB87_44:                              ;   in Loop: Header=BB87_37 Depth=3
	s_or_b32 exec_lo, exec_lo, s23
	s_delay_alu instid0(SALU_CYCLE_1)
	s_and_b32 s22, s22, exec_lo
.LBB87_45:                              ;   in Loop: Header=BB87_37 Depth=3
	s_and_not1_saveexec_b32 s21, s21
	s_cbranch_execz .LBB87_36
; %bb.46:                               ;   in Loop: Header=BB87_37 Depth=3
	v_lshl_add_u32 v14, v13, 4, v18
	s_and_not1_b32 s22, s22, exec_lo
	ds_add_f32 v14, v30 offset:4
	s_branch .LBB87_36
.LBB87_47:                              ;   in Loop: Header=BB87_23 Depth=2
	s_or_b32 exec_lo, exec_lo, s20
	v_mov_b32_e32 v14, v13
	v_dual_mul_f32 v28, v22, v28 :: v_dual_mov_b32 v13, v12
	s_mov_b32 s20, 0
	s_delay_alu instid0(VALU_DEP_1)
	v_fmac_f32_e32 v28, v23, v29
	s_branch .LBB87_49
.LBB87_48:                              ;   in Loop: Header=BB87_49 Depth=3
	s_or_b32 exec_lo, exec_lo, s21
	s_xor_b32 s21, s22, -1
	s_delay_alu instid0(SALU_CYCLE_1) | instskip(NEXT) | instid1(SALU_CYCLE_1)
	s_and_b32 s21, exec_lo, s21
	s_or_b32 s20, s21, s20
	s_delay_alu instid0(SALU_CYCLE_1)
	s_and_not1_b32 exec_lo, exec_lo, s20
	s_cbranch_execz .LBB87_59
.LBB87_49:                              ;   Parent Loop BB87_20 Depth=1
                                        ;     Parent Loop BB87_23 Depth=2
                                        ; =>    This Inner Loop Header: Depth=3
	s_delay_alu instid0(VALU_DEP_2)
	v_lshl_add_u32 v29, v13, 3, v16
	s_mov_b32 s21, exec_lo
                                        ; implicit-def: $sgpr22
	ds_load_b64 v[14:15], v29
	s_waitcnt lgkmcnt(0)
	v_cmpx_ne_u64_e64 v[14:15], v[10:11]
	s_xor_b32 s21, exec_lo, s21
	s_cbranch_execz .LBB87_57
; %bb.50:                               ;   in Loop: Header=BB87_49 Depth=3
	s_mov_b32 s23, exec_lo
                                        ; implicit-def: $sgpr22
	v_cmpx_ne_u64_e64 s[18:19], v[14:15]
	s_xor_b32 s23, exec_lo, s23
; %bb.51:                               ;   in Loop: Header=BB87_49 Depth=3
	v_add_nc_u32_e32 v13, 1, v13
	s_mov_b32 s22, -1
                                        ; implicit-def: $vgpr29
	s_delay_alu instid0(VALU_DEP_1)
	v_and_b32_e32 v13, 7, v13
; %bb.52:                               ;   in Loop: Header=BB87_49 Depth=3
	s_and_not1_saveexec_b32 s23, s23
	s_cbranch_execz .LBB87_56
; %bb.53:                               ;   in Loop: Header=BB87_49 Depth=3
	v_dual_mov_b32 v14, s18 :: v_dual_mov_b32 v15, s19
	s_mov_b32 s24, -1
	s_mov_b32 s25, exec_lo
	ds_cmpstore_rtn_b64 v[14:15], v29, v[10:11], v[14:15]
	s_waitcnt lgkmcnt(0)
	v_cmpx_eq_u64_e64 s[18:19], v[14:15]
	s_cbranch_execz .LBB87_55
; %bb.54:                               ;   in Loop: Header=BB87_49 Depth=3
	v_lshl_add_u32 v14, v13, 4, v18
	s_xor_b32 s24, exec_lo, -1
	ds_add_f32 v14, v28 offset:8
.LBB87_55:                              ;   in Loop: Header=BB87_49 Depth=3
	s_or_b32 exec_lo, exec_lo, s25
	s_delay_alu instid0(SALU_CYCLE_1) | instskip(SKIP_1) | instid1(SALU_CYCLE_1)
	s_and_not1_b32 s22, s22, exec_lo
	s_and_b32 s24, s24, exec_lo
	s_or_b32 s22, s22, s24
.LBB87_56:                              ;   in Loop: Header=BB87_49 Depth=3
	s_or_b32 exec_lo, exec_lo, s23
	s_delay_alu instid0(SALU_CYCLE_1)
	s_and_b32 s22, s22, exec_lo
.LBB87_57:                              ;   in Loop: Header=BB87_49 Depth=3
	s_and_not1_saveexec_b32 s21, s21
	s_cbranch_execz .LBB87_48
; %bb.58:                               ;   in Loop: Header=BB87_49 Depth=3
	v_lshl_add_u32 v14, v13, 4, v18
	s_and_not1_b32 s22, s22, exec_lo
	ds_add_f32 v14, v28 offset:8
	s_branch .LBB87_48
.LBB87_59:                              ;   in Loop: Header=BB87_23 Depth=2
	s_or_b32 exec_lo, exec_lo, s20
	v_mul_f32_e32 v15, v22, v27
	s_mov_b32 s20, 0
	s_delay_alu instid0(VALU_DEP_1)
	v_fmac_f32_e32 v15, v23, v26
	s_branch .LBB87_61
.LBB87_60:                              ;   in Loop: Header=BB87_61 Depth=3
	s_or_b32 exec_lo, exec_lo, s21
	s_xor_b32 s21, s22, -1
	s_delay_alu instid0(SALU_CYCLE_1) | instskip(NEXT) | instid1(SALU_CYCLE_1)
	s_and_b32 s21, exec_lo, s21
	s_or_b32 s20, s21, s20
	s_delay_alu instid0(SALU_CYCLE_1)
	s_and_not1_b32 exec_lo, exec_lo, s20
	s_cbranch_execz .LBB87_22
.LBB87_61:                              ;   Parent Loop BB87_20 Depth=1
                                        ;     Parent Loop BB87_23 Depth=2
                                        ; =>    This Inner Loop Header: Depth=3
	v_lshl_add_u32 v26, v12, 3, v16
	s_mov_b32 s21, exec_lo
                                        ; implicit-def: $sgpr22
	ds_load_b64 v[13:14], v26
	s_waitcnt lgkmcnt(0)
	v_cmpx_ne_u64_e64 v[13:14], v[10:11]
	s_xor_b32 s21, exec_lo, s21
	s_cbranch_execz .LBB87_69
; %bb.62:                               ;   in Loop: Header=BB87_61 Depth=3
	s_mov_b32 s23, exec_lo
                                        ; implicit-def: $sgpr22
	v_cmpx_ne_u64_e64 s[18:19], v[13:14]
	s_xor_b32 s23, exec_lo, s23
; %bb.63:                               ;   in Loop: Header=BB87_61 Depth=3
	v_add_nc_u32_e32 v12, 1, v12
	s_mov_b32 s22, -1
                                        ; implicit-def: $vgpr26
	s_delay_alu instid0(VALU_DEP_1)
	v_and_b32_e32 v12, 7, v12
; %bb.64:                               ;   in Loop: Header=BB87_61 Depth=3
	s_and_not1_saveexec_b32 s23, s23
	s_cbranch_execz .LBB87_68
; %bb.65:                               ;   in Loop: Header=BB87_61 Depth=3
	v_dual_mov_b32 v13, s18 :: v_dual_mov_b32 v14, s19
	s_mov_b32 s24, -1
	s_mov_b32 s25, exec_lo
	ds_cmpstore_rtn_b64 v[13:14], v26, v[10:11], v[13:14]
	s_waitcnt lgkmcnt(0)
	v_cmpx_eq_u64_e64 s[18:19], v[13:14]
	s_cbranch_execz .LBB87_67
; %bb.66:                               ;   in Loop: Header=BB87_61 Depth=3
	v_lshl_add_u32 v13, v12, 4, v18
	s_xor_b32 s24, exec_lo, -1
	ds_add_f32 v13, v15 offset:12
.LBB87_67:                              ;   in Loop: Header=BB87_61 Depth=3
	s_or_b32 exec_lo, exec_lo, s25
	s_delay_alu instid0(SALU_CYCLE_1) | instskip(SKIP_1) | instid1(SALU_CYCLE_1)
	s_and_not1_b32 s22, s22, exec_lo
	s_and_b32 s24, s24, exec_lo
	s_or_b32 s22, s22, s24
.LBB87_68:                              ;   in Loop: Header=BB87_61 Depth=3
	s_or_b32 exec_lo, exec_lo, s23
	s_delay_alu instid0(SALU_CYCLE_1)
	s_and_b32 s22, s22, exec_lo
.LBB87_69:                              ;   in Loop: Header=BB87_61 Depth=3
	s_and_not1_saveexec_b32 s21, s21
	s_cbranch_execz .LBB87_60
; %bb.70:                               ;   in Loop: Header=BB87_61 Depth=3
	v_lshl_add_u32 v13, v12, 4, v18
	s_and_not1_b32 s22, s22, exec_lo
	ds_add_f32 v13, v15 offset:12
	s_branch .LBB87_60
.LBB87_71:
	s_or_b32 exec_lo, exec_lo, s1
	s_delay_alu instid0(SALU_CYCLE_1)
	s_and_not1_b32 vcc_lo, exec_lo, s12
	s_waitcnt lgkmcnt(0)
	buffer_gl0_inv
	s_cbranch_vccnz .LBB87_15
.LBB87_72:
	v_lshlrev_b64 v[0:1], 3, v[4:5]
	v_sub_co_u32 v2, s1, v20, s39
	s_delay_alu instid0(VALU_DEP_1) | instskip(SKIP_1) | instid1(VALU_DEP_3)
	v_sub_co_ci_u32_e64 v3, null, 0, 0, s1
	s_mov_b32 s1, 0
	v_add_co_u32 v0, vcc_lo, s4, v0
	s_delay_alu instid0(VALU_DEP_4)
	v_add_co_ci_u32_e32 v1, vcc_lo, s5, v1, vcc_lo
	s_mov_b32 s3, exec_lo
	global_load_b128 v[6:9], v[0:1], off
	s_waitcnt vmcnt(0)
	v_sub_co_u32 v0, vcc_lo, v8, s39
	v_subrev_co_ci_u32_e32 v1, vcc_lo, 0, v9, vcc_lo
	v_add_co_u32 v2, vcc_lo, v6, v2
	v_add_co_ci_u32_e32 v3, vcc_lo, v7, v3, vcc_lo
	s_delay_alu instid0(VALU_DEP_1)
	v_cmpx_lt_i64_e64 v[2:3], v[0:1]
	s_cbranch_execz .LBB87_123
; %bb.73:
	s_cmp_eq_u32 s0, 0
	s_mov_b32 s4, s39
	s_cselect_b32 s5, 1, 2
	s_cselect_b32 s12, 2, 1
	s_branch .LBB87_75
.LBB87_74:                              ;   in Loop: Header=BB87_75 Depth=1
	s_or_b32 exec_lo, exec_lo, s13
	v_add_co_u32 v2, vcc_lo, v2, 16
	v_add_co_ci_u32_e32 v3, vcc_lo, 0, v3, vcc_lo
	s_delay_alu instid0(VALU_DEP_1) | instskip(SKIP_1) | instid1(SALU_CYCLE_1)
	v_cmp_ge_i64_e32 vcc_lo, v[2:3], v[0:1]
	s_or_b32 s1, vcc_lo, s1
	s_and_not1_b32 exec_lo, exec_lo, s1
	s_cbranch_execz .LBB87_123
.LBB87_75:                              ; =>This Loop Header: Depth=1
                                        ;     Child Loop BB87_77 Depth 2
                                        ;     Child Loop BB87_89 Depth 2
	;; [unrolled: 1-line block ×4, first 2 shown]
	v_lshlrev_b64 v[6:7], 2, v[2:3]
	v_lshlrev_b64 v[8:9], 4, v[2:3]
	;; [unrolled: 1-line block ×3, first 2 shown]
	s_mov_b32 s13, 0
	s_delay_alu instid0(VALU_DEP_3) | instskip(SKIP_1) | instid1(VALU_DEP_4)
	v_or_b32_e32 v12, 0, v7
	v_or_b32_e32 v14, 0, v7
	v_add_co_u32 v7, vcc_lo, s8, v8
	v_add_co_ci_u32_e32 v8, vcc_lo, s9, v9, vcc_lo
	v_or_b32_e32 v13, s12, v6
	v_add_co_u32 v9, vcc_lo, s6, v10
	v_add_co_ci_u32_e32 v10, vcc_lo, s7, v11, vcc_lo
	v_or_b32_e32 v11, s5, v6
	s_delay_alu instid0(VALU_DEP_4)
	v_lshlrev_b64 v[13:14], 2, v[13:14]
	global_load_b32 v15, v[7:8], off
	global_load_b64 v[9:10], v[9:10], off
	v_lshlrev_b64 v[11:12], 2, v[11:12]
	v_add_co_u32 v13, vcc_lo, s8, v13
	v_add_co_ci_u32_e32 v14, vcc_lo, s9, v14, vcc_lo
	s_delay_alu instid0(VALU_DEP_3) | instskip(NEXT) | instid1(VALU_DEP_4)
	v_add_co_u32 v11, vcc_lo, s8, v11
	v_add_co_ci_u32_e32 v12, vcc_lo, s9, v12, vcc_lo
	s_clause 0x2
	global_load_b32 v13, v[13:14], off
	global_load_b32 v14, v[11:12], off
	global_load_b32 v12, v[7:8], off offset:12
	s_waitcnt vmcnt(4)
	v_mul_f32_e32 v15, v19, v15
	s_waitcnt vmcnt(3)
	v_sub_co_u32 v6, vcc_lo, v9, s4
	v_subrev_co_ci_u32_e32 v7, vcc_lo, 0, v10, vcc_lo
	s_delay_alu instid0(VALU_DEP_2) | instskip(SKIP_1) | instid1(VALU_DEP_2)
	v_and_b32_e32 v8, 7, v6
	v_mov_b32_e32 v10, v9
	v_mov_b32_e32 v9, v8
	s_branch .LBB87_77
.LBB87_76:                              ;   in Loop: Header=BB87_77 Depth=2
	s_or_b32 exec_lo, exec_lo, s14
	s_xor_b32 s14, s15, -1
	s_delay_alu instid0(SALU_CYCLE_1) | instskip(NEXT) | instid1(SALU_CYCLE_1)
	s_and_b32 s14, exec_lo, s14
	s_or_b32 s13, s14, s13
	s_delay_alu instid0(SALU_CYCLE_1)
	s_and_not1_b32 exec_lo, exec_lo, s13
	s_cbranch_execz .LBB87_87
.LBB87_77:                              ;   Parent Loop BB87_75 Depth=1
                                        ; =>  This Inner Loop Header: Depth=2
	s_delay_alu instid0(VALU_DEP_1)
	v_lshl_add_u32 v21, v9, 3, v16
	s_mov_b32 s14, exec_lo
                                        ; implicit-def: $sgpr15
	ds_load_b64 v[10:11], v21
	s_waitcnt lgkmcnt(0)
	v_cmpx_ne_u64_e64 v[10:11], v[6:7]
	s_xor_b32 s14, exec_lo, s14
	s_cbranch_execz .LBB87_85
; %bb.78:                               ;   in Loop: Header=BB87_77 Depth=2
	s_mov_b32 s16, exec_lo
                                        ; implicit-def: $sgpr15
	v_cmpx_ne_u64_e64 s[18:19], v[10:11]
	s_xor_b32 s16, exec_lo, s16
; %bb.79:                               ;   in Loop: Header=BB87_77 Depth=2
	v_add_nc_u32_e32 v9, 1, v9
	s_mov_b32 s15, -1
                                        ; implicit-def: $vgpr21
	s_delay_alu instid0(VALU_DEP_1)
	v_and_b32_e32 v9, 7, v9
; %bb.80:                               ;   in Loop: Header=BB87_77 Depth=2
	s_and_not1_saveexec_b32 s16, s16
	s_cbranch_execz .LBB87_84
; %bb.81:                               ;   in Loop: Header=BB87_77 Depth=2
	v_dual_mov_b32 v10, s18 :: v_dual_mov_b32 v11, s19
	s_mov_b32 s17, -1
	s_mov_b32 s20, exec_lo
	ds_cmpstore_rtn_b64 v[10:11], v21, v[6:7], v[10:11]
	s_waitcnt lgkmcnt(0)
	v_cmpx_eq_u64_e64 s[18:19], v[10:11]
	s_cbranch_execz .LBB87_83
; %bb.82:                               ;   in Loop: Header=BB87_77 Depth=2
	v_lshl_add_u32 v10, v9, 4, v18
	s_xor_b32 s17, exec_lo, -1
	ds_add_f32 v10, v15
.LBB87_83:                              ;   in Loop: Header=BB87_77 Depth=2
	s_or_b32 exec_lo, exec_lo, s20
	s_delay_alu instid0(SALU_CYCLE_1) | instskip(SKIP_1) | instid1(SALU_CYCLE_1)
	s_and_not1_b32 s15, s15, exec_lo
	s_and_b32 s17, s17, exec_lo
	s_or_b32 s15, s15, s17
.LBB87_84:                              ;   in Loop: Header=BB87_77 Depth=2
	s_or_b32 exec_lo, exec_lo, s16
	s_delay_alu instid0(SALU_CYCLE_1)
	s_and_b32 s15, s15, exec_lo
.LBB87_85:                              ;   in Loop: Header=BB87_77 Depth=2
	s_and_not1_saveexec_b32 s14, s14
	s_cbranch_execz .LBB87_76
; %bb.86:                               ;   in Loop: Header=BB87_77 Depth=2
	v_lshl_add_u32 v10, v9, 4, v18
	s_and_not1_b32 s15, s15, exec_lo
	ds_add_f32 v10, v15
	s_branch .LBB87_76
.LBB87_87:                              ;   in Loop: Header=BB87_75 Depth=1
	s_or_b32 exec_lo, exec_lo, s13
	v_mov_b32_e32 v10, v9
	s_waitcnt vmcnt(1)
	v_dual_mul_f32 v14, v19, v14 :: v_dual_mov_b32 v9, v8
	s_mov_b32 s13, 0
	s_branch .LBB87_89
.LBB87_88:                              ;   in Loop: Header=BB87_89 Depth=2
	s_or_b32 exec_lo, exec_lo, s14
	s_xor_b32 s14, s15, -1
	s_delay_alu instid0(SALU_CYCLE_1) | instskip(NEXT) | instid1(SALU_CYCLE_1)
	s_and_b32 s14, exec_lo, s14
	s_or_b32 s13, s14, s13
	s_delay_alu instid0(SALU_CYCLE_1)
	s_and_not1_b32 exec_lo, exec_lo, s13
	s_cbranch_execz .LBB87_99
.LBB87_89:                              ;   Parent Loop BB87_75 Depth=1
                                        ; =>  This Inner Loop Header: Depth=2
	s_delay_alu instid0(VALU_DEP_1)
	v_lshl_add_u32 v15, v9, 3, v16
	s_mov_b32 s14, exec_lo
                                        ; implicit-def: $sgpr15
	ds_load_b64 v[10:11], v15
	s_waitcnt lgkmcnt(0)
	v_cmpx_ne_u64_e64 v[10:11], v[6:7]
	s_xor_b32 s14, exec_lo, s14
	s_cbranch_execz .LBB87_97
; %bb.90:                               ;   in Loop: Header=BB87_89 Depth=2
	s_mov_b32 s16, exec_lo
                                        ; implicit-def: $sgpr15
	v_cmpx_ne_u64_e64 s[18:19], v[10:11]
	s_xor_b32 s16, exec_lo, s16
; %bb.91:                               ;   in Loop: Header=BB87_89 Depth=2
	v_add_nc_u32_e32 v9, 1, v9
	s_mov_b32 s15, -1
                                        ; implicit-def: $vgpr15
	s_delay_alu instid0(VALU_DEP_1)
	v_and_b32_e32 v9, 7, v9
; %bb.92:                               ;   in Loop: Header=BB87_89 Depth=2
	s_and_not1_saveexec_b32 s16, s16
	s_cbranch_execz .LBB87_96
; %bb.93:                               ;   in Loop: Header=BB87_89 Depth=2
	v_dual_mov_b32 v10, s18 :: v_dual_mov_b32 v11, s19
	s_mov_b32 s17, -1
	s_mov_b32 s20, exec_lo
	ds_cmpstore_rtn_b64 v[10:11], v15, v[6:7], v[10:11]
	s_waitcnt lgkmcnt(0)
	v_cmpx_eq_u64_e64 s[18:19], v[10:11]
	s_cbranch_execz .LBB87_95
; %bb.94:                               ;   in Loop: Header=BB87_89 Depth=2
	v_lshl_add_u32 v10, v9, 4, v18
	s_xor_b32 s17, exec_lo, -1
	ds_add_f32 v10, v14 offset:4
.LBB87_95:                              ;   in Loop: Header=BB87_89 Depth=2
	s_or_b32 exec_lo, exec_lo, s20
	s_delay_alu instid0(SALU_CYCLE_1) | instskip(SKIP_1) | instid1(SALU_CYCLE_1)
	s_and_not1_b32 s15, s15, exec_lo
	s_and_b32 s17, s17, exec_lo
	s_or_b32 s15, s15, s17
.LBB87_96:                              ;   in Loop: Header=BB87_89 Depth=2
	s_or_b32 exec_lo, exec_lo, s16
	s_delay_alu instid0(SALU_CYCLE_1)
	s_and_b32 s15, s15, exec_lo
.LBB87_97:                              ;   in Loop: Header=BB87_89 Depth=2
	s_and_not1_saveexec_b32 s14, s14
	s_cbranch_execz .LBB87_88
; %bb.98:                               ;   in Loop: Header=BB87_89 Depth=2
	v_lshl_add_u32 v10, v9, 4, v18
	s_and_not1_b32 s15, s15, exec_lo
	ds_add_f32 v10, v14 offset:4
	s_branch .LBB87_88
.LBB87_99:                              ;   in Loop: Header=BB87_75 Depth=1
	s_or_b32 exec_lo, exec_lo, s13
	v_dual_mul_f32 v13, v19, v13 :: v_dual_mov_b32 v10, v9
	v_mov_b32_e32 v9, v8
	s_mov_b32 s13, 0
	s_branch .LBB87_101
.LBB87_100:                             ;   in Loop: Header=BB87_101 Depth=2
	s_or_b32 exec_lo, exec_lo, s14
	s_xor_b32 s14, s15, -1
	s_delay_alu instid0(SALU_CYCLE_1) | instskip(NEXT) | instid1(SALU_CYCLE_1)
	s_and_b32 s14, exec_lo, s14
	s_or_b32 s13, s14, s13
	s_delay_alu instid0(SALU_CYCLE_1)
	s_and_not1_b32 exec_lo, exec_lo, s13
	s_cbranch_execz .LBB87_111
.LBB87_101:                             ;   Parent Loop BB87_75 Depth=1
                                        ; =>  This Inner Loop Header: Depth=2
	s_delay_alu instid0(VALU_DEP_1)
	v_lshl_add_u32 v14, v9, 3, v16
	s_mov_b32 s14, exec_lo
                                        ; implicit-def: $sgpr15
	ds_load_b64 v[10:11], v14
	s_waitcnt lgkmcnt(0)
	v_cmpx_ne_u64_e64 v[10:11], v[6:7]
	s_xor_b32 s14, exec_lo, s14
	s_cbranch_execz .LBB87_109
; %bb.102:                              ;   in Loop: Header=BB87_101 Depth=2
	s_mov_b32 s16, exec_lo
                                        ; implicit-def: $sgpr15
	v_cmpx_ne_u64_e64 s[18:19], v[10:11]
	s_xor_b32 s16, exec_lo, s16
; %bb.103:                              ;   in Loop: Header=BB87_101 Depth=2
	v_add_nc_u32_e32 v9, 1, v9
	s_mov_b32 s15, -1
                                        ; implicit-def: $vgpr14
	s_delay_alu instid0(VALU_DEP_1)
	v_and_b32_e32 v9, 7, v9
; %bb.104:                              ;   in Loop: Header=BB87_101 Depth=2
	s_and_not1_saveexec_b32 s16, s16
	s_cbranch_execz .LBB87_108
; %bb.105:                              ;   in Loop: Header=BB87_101 Depth=2
	v_dual_mov_b32 v10, s18 :: v_dual_mov_b32 v11, s19
	s_mov_b32 s17, -1
	s_mov_b32 s20, exec_lo
	ds_cmpstore_rtn_b64 v[10:11], v14, v[6:7], v[10:11]
	s_waitcnt lgkmcnt(0)
	v_cmpx_eq_u64_e64 s[18:19], v[10:11]
	s_cbranch_execz .LBB87_107
; %bb.106:                              ;   in Loop: Header=BB87_101 Depth=2
	v_lshl_add_u32 v10, v9, 4, v18
	s_xor_b32 s17, exec_lo, -1
	ds_add_f32 v10, v13 offset:8
.LBB87_107:                             ;   in Loop: Header=BB87_101 Depth=2
	s_or_b32 exec_lo, exec_lo, s20
	s_delay_alu instid0(SALU_CYCLE_1) | instskip(SKIP_1) | instid1(SALU_CYCLE_1)
	s_and_not1_b32 s15, s15, exec_lo
	s_and_b32 s17, s17, exec_lo
	s_or_b32 s15, s15, s17
.LBB87_108:                             ;   in Loop: Header=BB87_101 Depth=2
	s_or_b32 exec_lo, exec_lo, s16
	s_delay_alu instid0(SALU_CYCLE_1)
	s_and_b32 s15, s15, exec_lo
.LBB87_109:                             ;   in Loop: Header=BB87_101 Depth=2
	s_and_not1_saveexec_b32 s14, s14
	s_cbranch_execz .LBB87_100
; %bb.110:                              ;   in Loop: Header=BB87_101 Depth=2
	v_lshl_add_u32 v10, v9, 4, v18
	s_and_not1_b32 s15, s15, exec_lo
	ds_add_f32 v10, v13 offset:8
	s_branch .LBB87_100
.LBB87_111:                             ;   in Loop: Header=BB87_75 Depth=1
	s_or_b32 exec_lo, exec_lo, s13
	s_waitcnt vmcnt(0)
	v_mul_f32_e32 v11, v19, v12
	s_mov_b32 s13, 0
	s_branch .LBB87_113
.LBB87_112:                             ;   in Loop: Header=BB87_113 Depth=2
	s_or_b32 exec_lo, exec_lo, s14
	s_xor_b32 s14, s15, -1
	s_delay_alu instid0(SALU_CYCLE_1) | instskip(NEXT) | instid1(SALU_CYCLE_1)
	s_and_b32 s14, exec_lo, s14
	s_or_b32 s13, s14, s13
	s_delay_alu instid0(SALU_CYCLE_1)
	s_and_not1_b32 exec_lo, exec_lo, s13
	s_cbranch_execz .LBB87_74
.LBB87_113:                             ;   Parent Loop BB87_75 Depth=1
                                        ; =>  This Inner Loop Header: Depth=2
	v_lshl_add_u32 v12, v8, 3, v16
	s_mov_b32 s14, exec_lo
                                        ; implicit-def: $sgpr15
	ds_load_b64 v[9:10], v12
	s_waitcnt lgkmcnt(0)
	v_cmpx_ne_u64_e64 v[9:10], v[6:7]
	s_xor_b32 s14, exec_lo, s14
	s_cbranch_execz .LBB87_121
; %bb.114:                              ;   in Loop: Header=BB87_113 Depth=2
	s_mov_b32 s16, exec_lo
                                        ; implicit-def: $sgpr15
	v_cmpx_ne_u64_e64 s[18:19], v[9:10]
	s_xor_b32 s16, exec_lo, s16
; %bb.115:                              ;   in Loop: Header=BB87_113 Depth=2
	v_add_nc_u32_e32 v8, 1, v8
	s_mov_b32 s15, -1
                                        ; implicit-def: $vgpr12
	s_delay_alu instid0(VALU_DEP_1)
	v_and_b32_e32 v8, 7, v8
; %bb.116:                              ;   in Loop: Header=BB87_113 Depth=2
	s_and_not1_saveexec_b32 s16, s16
	s_cbranch_execz .LBB87_120
; %bb.117:                              ;   in Loop: Header=BB87_113 Depth=2
	v_dual_mov_b32 v9, s18 :: v_dual_mov_b32 v10, s19
	s_mov_b32 s17, -1
	s_mov_b32 s20, exec_lo
	ds_cmpstore_rtn_b64 v[9:10], v12, v[6:7], v[9:10]
	s_waitcnt lgkmcnt(0)
	v_cmpx_eq_u64_e64 s[18:19], v[9:10]
	s_cbranch_execz .LBB87_119
; %bb.118:                              ;   in Loop: Header=BB87_113 Depth=2
	v_lshl_add_u32 v9, v8, 4, v18
	s_xor_b32 s17, exec_lo, -1
	ds_add_f32 v9, v11 offset:12
.LBB87_119:                             ;   in Loop: Header=BB87_113 Depth=2
	s_or_b32 exec_lo, exec_lo, s20
	s_delay_alu instid0(SALU_CYCLE_1) | instskip(SKIP_1) | instid1(SALU_CYCLE_1)
	s_and_not1_b32 s15, s15, exec_lo
	s_and_b32 s17, s17, exec_lo
	s_or_b32 s15, s15, s17
.LBB87_120:                             ;   in Loop: Header=BB87_113 Depth=2
	s_or_b32 exec_lo, exec_lo, s16
	s_delay_alu instid0(SALU_CYCLE_1)
	s_and_b32 s15, s15, exec_lo
.LBB87_121:                             ;   in Loop: Header=BB87_113 Depth=2
	s_and_not1_saveexec_b32 s14, s14
	s_cbranch_execz .LBB87_112
; %bb.122:                              ;   in Loop: Header=BB87_113 Depth=2
	v_lshl_add_u32 v9, v8, 4, v18
	s_and_not1_b32 s15, s15, exec_lo
	ds_add_f32 v9, v11 offset:12
	s_branch .LBB87_112
.LBB87_123:
	s_or_b32 exec_lo, exec_lo, s3
	s_waitcnt lgkmcnt(0)
	buffer_gl0_inv
	s_and_b32 exec_lo, exec_lo, s2
	s_cbranch_execz .LBB87_16
.LBB87_124:
	v_lshl_add_u32 v0, v20, 3, v16
	ds_load_b64 v[0:1], v0
	s_waitcnt lgkmcnt(0)
	v_cmp_gt_i64_e32 vcc_lo, s[18:19], v[0:1]
	s_and_b32 exec_lo, exec_lo, vcc_lo
	s_cbranch_execz .LBB87_16
; %bb.125:
	v_lshlrev_b64 v[2:3], 3, v[4:5]
	s_cmp_eq_u32 s0, 0
	v_lshl_add_u32 v23, v17, 2, v18
	s_cselect_b32 s0, 1, 2
	s_cselect_b32 s1, 2, 1
	v_or_b32_e32 v24, s0, v17
	v_add_co_u32 v2, vcc_lo, s10, v2
	v_add_co_ci_u32_e32 v3, vcc_lo, s11, v3, vcc_lo
	v_or_b32_e32 v25, s1, v17
	ds_load_b128 v[6:9], v16 offset:16
	global_load_b64 v[14:15], v[2:3], off
	ds_load_b128 v[2:5], v16
	ds_load_b128 v[10:13], v16 offset:32
	ds_load_b128 v[19:22], v16 offset:48
	ds_load_2addr_b32 v[16:17], v23 offset1:3
	v_lshl_add_u32 v23, v24, 2, v18
	s_waitcnt lgkmcnt(3)
	v_cmp_gt_i64_e32 vcc_lo, v[0:1], v[2:3]
	v_cndmask_b32_e64 v2, 0, 1, vcc_lo
	s_waitcnt vmcnt(0)
	v_sub_co_u32 v3, vcc_lo, v14, s38
	v_subrev_co_ci_u32_e32 v14, vcc_lo, 0, v15, vcc_lo
	v_cmp_gt_i64_e32 vcc_lo, v[0:1], v[4:5]
	v_cndmask_b32_e64 v4, 0, 1, vcc_lo
	s_delay_alu instid0(VALU_DEP_4) | instskip(NEXT) | instid1(VALU_DEP_4)
	v_add_co_u32 v2, vcc_lo, v3, v2
	v_add_co_ci_u32_e32 v3, vcc_lo, 0, v14, vcc_lo
	v_cmp_gt_i64_e32 vcc_lo, v[0:1], v[6:7]
	v_lshl_add_u32 v7, v25, 2, v18
	v_cndmask_b32_e64 v5, 0, 1, vcc_lo
	v_add_co_u32 v2, vcc_lo, v2, v4
	v_add_co_ci_u32_e32 v3, vcc_lo, 0, v3, vcc_lo
	v_cmp_gt_i64_e32 vcc_lo, v[0:1], v[8:9]
	v_cndmask_b32_e64 v4, 0, 1, vcc_lo
	s_delay_alu instid0(VALU_DEP_4) | instskip(NEXT) | instid1(VALU_DEP_4)
	v_add_co_u32 v2, vcc_lo, v2, v5
	v_add_co_ci_u32_e32 v3, vcc_lo, 0, v3, vcc_lo
	s_waitcnt lgkmcnt(2)
	v_cmp_gt_i64_e32 vcc_lo, v[0:1], v[10:11]
	v_cndmask_b32_e64 v5, 0, 1, vcc_lo
	v_add_co_u32 v2, vcc_lo, v2, v4
	v_add_co_ci_u32_e32 v3, vcc_lo, 0, v3, vcc_lo
	v_cmp_gt_i64_e32 vcc_lo, v[0:1], v[12:13]
	v_cndmask_b32_e64 v4, 0, 1, vcc_lo
	s_delay_alu instid0(VALU_DEP_4) | instskip(NEXT) | instid1(VALU_DEP_4)
	v_add_co_u32 v2, vcc_lo, v2, v5
	v_add_co_ci_u32_e32 v3, vcc_lo, 0, v3, vcc_lo
	s_waitcnt lgkmcnt(1)
	v_cmp_gt_i64_e32 vcc_lo, v[0:1], v[19:20]
	v_cndmask_b32_e64 v5, 0, 1, vcc_lo
	v_add_co_u32 v2, vcc_lo, v2, v4
	v_add_co_ci_u32_e32 v3, vcc_lo, 0, v3, vcc_lo
	v_cmp_gt_i64_e32 vcc_lo, v[0:1], v[21:22]
	v_cndmask_b32_e64 v4, 0, 1, vcc_lo
	s_delay_alu instid0(VALU_DEP_4) | instskip(NEXT) | instid1(VALU_DEP_4)
	v_add_co_u32 v2, vcc_lo, v2, v5
	v_add_co_ci_u32_e32 v3, vcc_lo, 0, v3, vcc_lo
	s_delay_alu instid0(VALU_DEP_2) | instskip(NEXT) | instid1(VALU_DEP_2)
	v_add_co_u32 v5, vcc_lo, v2, v4
	v_add_co_ci_u32_e32 v6, vcc_lo, 0, v3, vcc_lo
	ds_load_b32 v2, v23
	ds_load_b32 v3, v7
	v_add_co_u32 v9, vcc_lo, v0, s38
	v_lshlrev_b64 v[7:8], 3, v[5:6]
	v_lshlrev_b64 v[5:6], 4, v[5:6]
	v_add_co_ci_u32_e32 v10, vcc_lo, 0, v1, vcc_lo
	s_waitcnt lgkmcnt(2)
	v_dual_mov_b32 v1, v16 :: v_dual_mov_b32 v4, v17
	s_delay_alu instid0(VALU_DEP_4)
	v_add_co_u32 v7, vcc_lo, s40, v7
	v_add_co_ci_u32_e32 v8, vcc_lo, s41, v8, vcc_lo
	v_add_co_u32 v5, vcc_lo, s42, v5
	v_add_co_ci_u32_e32 v6, vcc_lo, s43, v6, vcc_lo
	global_store_b64 v[7:8], v[9:10], off
	s_waitcnt lgkmcnt(0)
	global_store_b128 v[5:6], v[1:4], off
	s_nop 0
	s_sendmsg sendmsg(MSG_DEALLOC_VGPRS)
	s_endpgm
	.section	.rodata,"a",@progbits
	.p2align	6, 0x0
	.amdhsa_kernel _ZN9rocsparseL27bsrgemm_fill_wf_per_row_2x2ILj256ELj16ELj8ELj137EllfEEv20rocsparse_direction_T4_S2_PKS2_S4_NS_24const_host_device_scalarIT5_EEPKT3_S4_PKS6_SA_S4_SC_S7_SA_S4_SC_SA_PS2_PS6_21rocsparse_index_base_SF_SF_SF_bbb
		.amdhsa_group_segment_fixed_size 3072
		.amdhsa_private_segment_fixed_size 0
		.amdhsa_kernarg_size 172
		.amdhsa_user_sgpr_count 15
		.amdhsa_user_sgpr_dispatch_ptr 0
		.amdhsa_user_sgpr_queue_ptr 0
		.amdhsa_user_sgpr_kernarg_segment_ptr 1
		.amdhsa_user_sgpr_dispatch_id 0
		.amdhsa_user_sgpr_private_segment_size 0
		.amdhsa_wavefront_size32 1
		.amdhsa_uses_dynamic_stack 0
		.amdhsa_enable_private_segment 0
		.amdhsa_system_sgpr_workgroup_id_x 1
		.amdhsa_system_sgpr_workgroup_id_y 0
		.amdhsa_system_sgpr_workgroup_id_z 0
		.amdhsa_system_sgpr_workgroup_info 0
		.amdhsa_system_vgpr_workitem_id 0
		.amdhsa_next_free_vgpr 32
		.amdhsa_next_free_sgpr 48
		.amdhsa_reserve_vcc 1
		.amdhsa_float_round_mode_32 0
		.amdhsa_float_round_mode_16_64 0
		.amdhsa_float_denorm_mode_32 3
		.amdhsa_float_denorm_mode_16_64 3
		.amdhsa_dx10_clamp 1
		.amdhsa_ieee_mode 1
		.amdhsa_fp16_overflow 0
		.amdhsa_workgroup_processor_mode 1
		.amdhsa_memory_ordered 1
		.amdhsa_forward_progress 0
		.amdhsa_shared_vgpr_count 0
		.amdhsa_exception_fp_ieee_invalid_op 0
		.amdhsa_exception_fp_denorm_src 0
		.amdhsa_exception_fp_ieee_div_zero 0
		.amdhsa_exception_fp_ieee_overflow 0
		.amdhsa_exception_fp_ieee_underflow 0
		.amdhsa_exception_fp_ieee_inexact 0
		.amdhsa_exception_int_div_zero 0
	.end_amdhsa_kernel
	.section	.text._ZN9rocsparseL27bsrgemm_fill_wf_per_row_2x2ILj256ELj16ELj8ELj137EllfEEv20rocsparse_direction_T4_S2_PKS2_S4_NS_24const_host_device_scalarIT5_EEPKT3_S4_PKS6_SA_S4_SC_S7_SA_S4_SC_SA_PS2_PS6_21rocsparse_index_base_SF_SF_SF_bbb,"axG",@progbits,_ZN9rocsparseL27bsrgemm_fill_wf_per_row_2x2ILj256ELj16ELj8ELj137EllfEEv20rocsparse_direction_T4_S2_PKS2_S4_NS_24const_host_device_scalarIT5_EEPKT3_S4_PKS6_SA_S4_SC_S7_SA_S4_SC_SA_PS2_PS6_21rocsparse_index_base_SF_SF_SF_bbb,comdat
.Lfunc_end87:
	.size	_ZN9rocsparseL27bsrgemm_fill_wf_per_row_2x2ILj256ELj16ELj8ELj137EllfEEv20rocsparse_direction_T4_S2_PKS2_S4_NS_24const_host_device_scalarIT5_EEPKT3_S4_PKS6_SA_S4_SC_S7_SA_S4_SC_SA_PS2_PS6_21rocsparse_index_base_SF_SF_SF_bbb, .Lfunc_end87-_ZN9rocsparseL27bsrgemm_fill_wf_per_row_2x2ILj256ELj16ELj8ELj137EllfEEv20rocsparse_direction_T4_S2_PKS2_S4_NS_24const_host_device_scalarIT5_EEPKT3_S4_PKS6_SA_S4_SC_S7_SA_S4_SC_SA_PS2_PS6_21rocsparse_index_base_SF_SF_SF_bbb
                                        ; -- End function
	.section	.AMDGPU.csdata,"",@progbits
; Kernel info:
; codeLenInByte = 4256
; NumSgprs: 50
; NumVgprs: 32
; ScratchSize: 0
; MemoryBound: 0
; FloatMode: 240
; IeeeMode: 1
; LDSByteSize: 3072 bytes/workgroup (compile time only)
; SGPRBlocks: 6
; VGPRBlocks: 3
; NumSGPRsForWavesPerEU: 50
; NumVGPRsForWavesPerEU: 32
; Occupancy: 16
; WaveLimiterHint : 1
; COMPUTE_PGM_RSRC2:SCRATCH_EN: 0
; COMPUTE_PGM_RSRC2:USER_SGPR: 15
; COMPUTE_PGM_RSRC2:TRAP_HANDLER: 0
; COMPUTE_PGM_RSRC2:TGID_X_EN: 1
; COMPUTE_PGM_RSRC2:TGID_Y_EN: 0
; COMPUTE_PGM_RSRC2:TGID_Z_EN: 0
; COMPUTE_PGM_RSRC2:TIDIG_COMP_CNT: 0
	.section	.text._ZN9rocsparseL27bsrgemm_fill_wf_per_row_2x2ILj256ELj16ELj16ELj137EllfEEv20rocsparse_direction_T4_S2_PKS2_S4_NS_24const_host_device_scalarIT5_EEPKT3_S4_PKS6_SA_S4_SC_S7_SA_S4_SC_SA_PS2_PS6_21rocsparse_index_base_SF_SF_SF_bbb,"axG",@progbits,_ZN9rocsparseL27bsrgemm_fill_wf_per_row_2x2ILj256ELj16ELj16ELj137EllfEEv20rocsparse_direction_T4_S2_PKS2_S4_NS_24const_host_device_scalarIT5_EEPKT3_S4_PKS6_SA_S4_SC_S7_SA_S4_SC_SA_PS2_PS6_21rocsparse_index_base_SF_SF_SF_bbb,comdat
	.globl	_ZN9rocsparseL27bsrgemm_fill_wf_per_row_2x2ILj256ELj16ELj16ELj137EllfEEv20rocsparse_direction_T4_S2_PKS2_S4_NS_24const_host_device_scalarIT5_EEPKT3_S4_PKS6_SA_S4_SC_S7_SA_S4_SC_SA_PS2_PS6_21rocsparse_index_base_SF_SF_SF_bbb ; -- Begin function _ZN9rocsparseL27bsrgemm_fill_wf_per_row_2x2ILj256ELj16ELj16ELj137EllfEEv20rocsparse_direction_T4_S2_PKS2_S4_NS_24const_host_device_scalarIT5_EEPKT3_S4_PKS6_SA_S4_SC_S7_SA_S4_SC_SA_PS2_PS6_21rocsparse_index_base_SF_SF_SF_bbb
	.p2align	8
	.type	_ZN9rocsparseL27bsrgemm_fill_wf_per_row_2x2ILj256ELj16ELj16ELj137EllfEEv20rocsparse_direction_T4_S2_PKS2_S4_NS_24const_host_device_scalarIT5_EEPKT3_S4_PKS6_SA_S4_SC_S7_SA_S4_SC_SA_PS2_PS6_21rocsparse_index_base_SF_SF_SF_bbb,@function
_ZN9rocsparseL27bsrgemm_fill_wf_per_row_2x2ILj256ELj16ELj16ELj137EllfEEv20rocsparse_direction_T4_S2_PKS2_S4_NS_24const_host_device_scalarIT5_EEPKT3_S4_PKS6_SA_S4_SC_S7_SA_S4_SC_SA_PS2_PS6_21rocsparse_index_base_SF_SF_SF_bbb: ; @_ZN9rocsparseL27bsrgemm_fill_wf_per_row_2x2ILj256ELj16ELj16ELj137EllfEEv20rocsparse_direction_T4_S2_PKS2_S4_NS_24const_host_device_scalarIT5_EEPKT3_S4_PKS6_SA_S4_SC_S7_SA_S4_SC_SA_PS2_PS6_21rocsparse_index_base_SF_SF_SF_bbb
; %bb.0:
	s_clause 0x3
	s_load_b32 s12, s[0:1], 0xa8
	s_load_b128 s[24:27], s[0:1], 0x98
	s_load_b64 s[4:5], s[0:1], 0x28
	s_load_b64 s[2:3], s[0:1], 0x60
	s_waitcnt lgkmcnt(0)
	s_bitcmp1_b32 s12, 0
	s_cselect_b32 s13, -1, 0
	s_bitcmp1_b32 s12, 16
	s_cselect_b32 s14, -1, 0
	s_xor_b32 s6, s13, -1
	s_delay_alu instid0(SALU_CYCLE_1) | instskip(NEXT) | instid1(SALU_CYCLE_1)
	s_or_b32 s6, s6, s14
	s_and_b32 vcc_lo, exec_lo, s6
	s_cbranch_vccnz .LBB88_2
; %bb.1:
	s_load_b32 s4, s[4:5], 0x0
	s_waitcnt lgkmcnt(0)
	v_mov_b32_e32 v21, s4
	s_branch .LBB88_3
.LBB88_2:
	v_cndmask_b32_e64 v21, 0, s4, s13
.LBB88_3:
	s_clause 0x4
	s_load_b128 s[28:31], s[0:1], 0x88
	s_load_b256 s[4:11], s[0:1], 0x68
	s_load_b128 s[40:43], s[0:1], 0x50
	s_load_b128 s[44:47], s[0:1], 0x18
	s_load_b256 s[16:23], s[0:1], 0x30
	s_bitcmp1_b32 s12, 8
	s_cselect_b32 s12, -1, 0
	s_delay_alu instid0(SALU_CYCLE_1) | instskip(NEXT) | instid1(SALU_CYCLE_1)
	s_xor_b32 s33, s12, -1
	s_or_b32 s14, s33, s14
	s_delay_alu instid0(SALU_CYCLE_1)
	s_and_b32 vcc_lo, exec_lo, s14
	s_cbranch_vccnz .LBB88_5
; %bb.4:
	s_load_b32 s2, s[2:3], 0x0
	s_waitcnt lgkmcnt(0)
	v_mov_b32_e32 v19, s2
	s_branch .LBB88_6
.LBB88_5:
	v_cndmask_b32_e64 v19, 0, s2, s12
.LBB88_6:
	s_load_b128 s[36:39], s[0:1], 0x8
	v_and_b32_e32 v1, 0xf0, v0
	v_and_b32_e32 v22, 15, v0
	v_lshrrev_b32_e32 v2, 4, v0
	v_mov_b32_e32 v3, 0
	s_mov_b32 s2, 0
	s_waitcnt lgkmcnt(0)
	v_dual_mov_b32 v4, s38 :: v_dual_mov_b32 v5, s39
	v_lshl_or_b32 v16, v1, 3, 0x1000
	v_lshlrev_b32_e32 v17, 2, v22
	v_or_b32_e32 v0, -16, v22
	s_delay_alu instid0(VALU_DEP_3) | instskip(NEXT) | instid1(VALU_DEP_3)
	v_lshl_or_b32 v20, v22, 3, v16
	v_lshl_or_b32 v1, v2, 8, v17
	ds_store_b64 v20, v[4:5]
.LBB88_7:                               ; =>This Inner Loop Header: Depth=1
	v_add_nc_u32_e32 v0, 16, v0
	ds_store_b32 v1, v3
	v_add_nc_u32_e32 v1, 64, v1
	v_cmp_lt_u32_e32 vcc_lo, 47, v0
	s_or_b32 s2, vcc_lo, s2
	s_delay_alu instid0(SALU_CYCLE_1)
	s_and_not1_b32 exec_lo, exec_lo, s2
	s_cbranch_execnz .LBB88_7
; %bb.8:
	s_or_b32 exec_lo, exec_lo, s2
	v_lshl_or_b32 v0, s15, 4, v2
	v_mov_b32_e32 v1, 0
	s_waitcnt lgkmcnt(0)
	s_barrier
	buffer_gl0_inv
	s_mov_b32 s2, exec_lo
	v_cmpx_gt_i64_e64 s[36:37], v[0:1]
	s_cbranch_execz .LBB88_122
; %bb.9:
	s_cmp_eq_u64 s[46:47], 0
	s_cbranch_scc1 .LBB88_11
; %bb.10:
	s_load_b64 s[2:3], s[44:45], 0x0
	v_lshlrev_b64 v[0:1], 3, v[0:1]
	s_waitcnt lgkmcnt(0)
	s_lshl_b64 s[2:3], s[2:3], 3
	s_delay_alu instid0(SALU_CYCLE_1) | instskip(SKIP_1) | instid1(VALU_DEP_1)
	s_add_u32 s2, s46, s2
	s_addc_u32 s3, s47, s3
	v_add_co_u32 v0, vcc_lo, s2, v0
	v_add_co_ci_u32_e32 v1, vcc_lo, s3, v1, vcc_lo
	global_load_b64 v[0:1], v[0:1], off
.LBB88_11:
	s_load_b32 s0, s[0:1], 0x0
	s_waitcnt vmcnt(0)
	v_lshlrev_b64 v[4:5], 3, v[0:1]
	v_lshlrev_b32_e32 v18, 8, v2
	s_and_not1_b32 vcc_lo, exec_lo, s13
	s_cbranch_vccnz .LBB88_67
; %bb.12:
	s_delay_alu instid0(VALU_DEP_2) | instskip(NEXT) | instid1(VALU_DEP_3)
	v_add_co_u32 v0, vcc_lo, s16, v4
	v_add_co_ci_u32_e32 v1, vcc_lo, s17, v5, vcc_lo
	v_sub_co_u32 v8, s1, v22, s24
	s_delay_alu instid0(VALU_DEP_1)
	v_sub_co_ci_u32_e64 v9, null, 0, 0, s1
	global_load_b128 v[0:3], v[0:1], off
	s_mov_b32 s2, 0
	s_mov_b32 s1, exec_lo
	s_waitcnt vmcnt(0)
	v_sub_co_u32 v6, vcc_lo, v2, s24
	v_subrev_co_ci_u32_e32 v7, vcc_lo, 0, v3, vcc_lo
	v_add_co_u32 v8, vcc_lo, v0, v8
	v_add_co_ci_u32_e32 v9, vcc_lo, v1, v9, vcc_lo
	s_delay_alu instid0(VALU_DEP_1)
	v_cmpx_lt_i64_e64 v[8:9], v[6:7]
	s_cbranch_execz .LBB88_66
; %bb.13:
	s_waitcnt lgkmcnt(0)
	s_cmp_eq_u32 s0, 0
	s_mov_b32 s3, s25
	s_cselect_b32 s13, 1, 2
	s_cselect_b32 s14, 2, 1
	s_branch .LBB88_15
.LBB88_14:                              ;   in Loop: Header=BB88_15 Depth=1
	s_or_b32 exec_lo, exec_lo, s15
	v_add_co_u32 v8, vcc_lo, v8, 16
	v_add_co_ci_u32_e32 v9, vcc_lo, 0, v9, vcc_lo
	s_delay_alu instid0(VALU_DEP_1) | instskip(SKIP_1) | instid1(SALU_CYCLE_1)
	v_cmp_ge_i64_e32 vcc_lo, v[8:9], v[6:7]
	s_or_b32 s2, vcc_lo, s2
	s_and_not1_b32 exec_lo, exec_lo, s2
	s_cbranch_execz .LBB88_66
.LBB88_15:                              ; =>This Loop Header: Depth=1
                                        ;     Child Loop BB88_18 Depth 2
                                        ;       Child Loop BB88_20 Depth 3
                                        ;       Child Loop BB88_32 Depth 3
	;; [unrolled: 1-line block ×4, first 2 shown]
	v_lshlrev_b64 v[0:1], 3, v[8:9]
	s_mov_b32 s15, exec_lo
	s_delay_alu instid0(VALU_DEP_1) | instskip(NEXT) | instid1(VALU_DEP_2)
	v_add_co_u32 v0, vcc_lo, s18, v0
	v_add_co_ci_u32_e32 v1, vcc_lo, s19, v1, vcc_lo
	global_load_b64 v[0:1], v[0:1], off
	s_waitcnt vmcnt(0)
	v_sub_co_u32 v0, vcc_lo, v0, s24
	v_subrev_co_ci_u32_e32 v1, vcc_lo, 0, v1, vcc_lo
	s_delay_alu instid0(VALU_DEP_1) | instskip(NEXT) | instid1(VALU_DEP_1)
	v_lshlrev_b64 v[0:1], 3, v[0:1]
	v_add_co_u32 v0, vcc_lo, s22, v0
	s_delay_alu instid0(VALU_DEP_2)
	v_add_co_ci_u32_e32 v1, vcc_lo, s23, v1, vcc_lo
	global_load_b128 v[0:3], v[0:1], off
	s_waitcnt vmcnt(0)
	v_cmpx_lt_i64_e64 v[0:1], v[2:3]
	s_cbranch_execz .LBB88_14
; %bb.16:                               ;   in Loop: Header=BB88_15 Depth=1
	v_lshlrev_b64 v[10:11], 2, v[8:9]
	v_lshlrev_b64 v[14:15], 4, v[8:9]
	s_mov_b32 s16, 0
	s_delay_alu instid0(VALU_DEP_2) | instskip(NEXT) | instid1(VALU_DEP_3)
	v_or_b32_e32 v13, 0, v11
	v_or_b32_e32 v12, s14, v10
	;; [unrolled: 1-line block ×4, first 2 shown]
	v_add_co_u32 v14, vcc_lo, s20, v14
	s_delay_alu instid0(VALU_DEP_4) | instskip(SKIP_1) | instid1(VALU_DEP_4)
	v_lshlrev_b64 v[12:13], 2, v[12:13]
	v_add_co_ci_u32_e32 v15, vcc_lo, s21, v15, vcc_lo
	v_lshlrev_b64 v[10:11], 2, v[10:11]
	s_delay_alu instid0(VALU_DEP_3) | instskip(NEXT) | instid1(VALU_DEP_4)
	v_add_co_u32 v12, vcc_lo, s20, v12
	v_add_co_ci_u32_e32 v13, vcc_lo, s21, v13, vcc_lo
	s_delay_alu instid0(VALU_DEP_3) | instskip(NEXT) | instid1(VALU_DEP_4)
	v_add_co_u32 v10, vcc_lo, s20, v10
	v_add_co_ci_u32_e32 v11, vcc_lo, s21, v11, vcc_lo
	s_clause 0x3
	global_load_b32 v23, v[14:15], off offset:12
	global_load_b32 v12, v[12:13], off
	global_load_b32 v10, v[10:11], off
	;; [unrolled: 1-line block ×3, first 2 shown]
	v_sub_co_u32 v2, vcc_lo, v2, s3
	v_subrev_co_ci_u32_e32 v3, vcc_lo, 0, v3, vcc_lo
	v_sub_co_u32 v0, vcc_lo, v0, s3
	v_subrev_co_ci_u32_e32 v1, vcc_lo, 0, v1, vcc_lo
	s_waitcnt vmcnt(3)
	v_mul_f32_e32 v23, v21, v23
	s_waitcnt vmcnt(2)
	v_mul_f32_e32 v24, v21, v12
	s_waitcnt vmcnt(1)
	v_mul_f32_e32 v26, v21, v10
	s_waitcnt vmcnt(0)
	v_mul_f32_e32 v25, v21, v11
	s_branch .LBB88_18
.LBB88_17:                              ;   in Loop: Header=BB88_18 Depth=2
	s_or_b32 exec_lo, exec_lo, s17
	v_add_co_u32 v0, vcc_lo, v0, 1
	v_add_co_ci_u32_e32 v1, vcc_lo, 0, v1, vcc_lo
	s_delay_alu instid0(VALU_DEP_1) | instskip(SKIP_1) | instid1(SALU_CYCLE_1)
	v_cmp_ge_i64_e32 vcc_lo, v[0:1], v[2:3]
	s_or_b32 s16, vcc_lo, s16
	s_and_not1_b32 exec_lo, exec_lo, s16
	s_cbranch_execz .LBB88_14
.LBB88_18:                              ;   Parent Loop BB88_15 Depth=1
                                        ; =>  This Loop Header: Depth=2
                                        ;       Child Loop BB88_20 Depth 3
                                        ;       Child Loop BB88_32 Depth 3
	;; [unrolled: 1-line block ×4, first 2 shown]
	v_lshlrev_b64 v[10:11], 2, v[0:1]
	v_lshlrev_b64 v[12:13], 3, v[0:1]
	;; [unrolled: 1-line block ×3, first 2 shown]
	s_mov_b32 s17, 0
	s_delay_alu instid0(VALU_DEP_3) | instskip(NEXT) | instid1(VALU_DEP_4)
	v_or_b32_e32 v15, 0, v11
	v_or_b32_e32 v14, s13, v10
	;; [unrolled: 1-line block ×4, first 2 shown]
	v_add_co_u32 v12, vcc_lo, s40, v12
	v_add_co_ci_u32_e32 v13, vcc_lo, s41, v13, vcc_lo
	s_delay_alu instid0(VALU_DEP_3)
	v_lshlrev_b64 v[10:11], 2, v[10:11]
	v_lshlrev_b64 v[14:15], 2, v[14:15]
	global_load_b64 v[12:13], v[12:13], off
	v_add_co_u32 v10, vcc_lo, s42, v10
	v_add_co_ci_u32_e32 v11, vcc_lo, s43, v11, vcc_lo
	v_add_co_u32 v31, vcc_lo, s42, v27
	v_add_co_ci_u32_e32 v32, vcc_lo, s43, v28, vcc_lo
	global_load_b32 v29, v[10:11], off
	v_add_co_u32 v10, vcc_lo, s42, v14
	v_add_co_ci_u32_e32 v11, vcc_lo, s43, v15, vcc_lo
	s_clause 0x2
	global_load_b32 v30, v[31:32], off
	global_load_b32 v27, v[10:11], off
	global_load_b32 v28, v[31:32], off offset:12
	s_waitcnt vmcnt(4)
	v_sub_co_u32 v10, vcc_lo, v12, s3
	v_subrev_co_ci_u32_e32 v11, vcc_lo, 0, v13, vcc_lo
	s_delay_alu instid0(VALU_DEP_2) | instskip(SKIP_1) | instid1(VALU_DEP_1)
	v_lshl_add_u32 v12, v10, 3, v10
	s_waitcnt vmcnt(3)
	v_dual_mul_f32 v31, v26, v29 :: v_dual_and_b32 v12, 15, v12
	v_mov_b32_e32 v14, v13
	s_delay_alu instid0(VALU_DEP_2) | instskip(SKIP_1) | instid1(VALU_DEP_3)
	v_mov_b32_e32 v13, v12
	s_waitcnt vmcnt(2)
	v_fmac_f32_e32 v31, v25, v30
	s_branch .LBB88_20
.LBB88_19:                              ;   in Loop: Header=BB88_20 Depth=3
	s_or_b32 exec_lo, exec_lo, s25
	s_xor_b32 s25, s33, -1
	s_delay_alu instid0(SALU_CYCLE_1) | instskip(NEXT) | instid1(SALU_CYCLE_1)
	s_and_b32 s25, exec_lo, s25
	s_or_b32 s17, s25, s17
	s_delay_alu instid0(SALU_CYCLE_1)
	s_and_not1_b32 exec_lo, exec_lo, s17
	s_cbranch_execz .LBB88_30
.LBB88_20:                              ;   Parent Loop BB88_15 Depth=1
                                        ;     Parent Loop BB88_18 Depth=2
                                        ; =>    This Inner Loop Header: Depth=3
	s_delay_alu instid0(VALU_DEP_2)
	v_lshl_add_u32 v32, v13, 3, v16
	s_mov_b32 s25, exec_lo
                                        ; implicit-def: $sgpr33
	ds_load_b64 v[14:15], v32
	s_waitcnt lgkmcnt(0)
	v_cmpx_ne_u64_e64 v[14:15], v[10:11]
	s_xor_b32 s25, exec_lo, s25
	s_cbranch_execz .LBB88_28
; %bb.21:                               ;   in Loop: Header=BB88_20 Depth=3
	s_mov_b32 s34, exec_lo
                                        ; implicit-def: $sgpr33
	v_cmpx_ne_u64_e64 s[38:39], v[14:15]
	s_xor_b32 s34, exec_lo, s34
; %bb.22:                               ;   in Loop: Header=BB88_20 Depth=3
	v_add_nc_u32_e32 v13, 1, v13
	s_mov_b32 s33, -1
                                        ; implicit-def: $vgpr32
	s_delay_alu instid0(VALU_DEP_1)
	v_and_b32_e32 v13, 15, v13
; %bb.23:                               ;   in Loop: Header=BB88_20 Depth=3
	s_and_not1_saveexec_b32 s34, s34
	s_cbranch_execz .LBB88_27
; %bb.24:                               ;   in Loop: Header=BB88_20 Depth=3
	v_dual_mov_b32 v14, s38 :: v_dual_mov_b32 v15, s39
	s_mov_b32 s35, -1
	s_mov_b32 s36, exec_lo
	ds_cmpstore_rtn_b64 v[14:15], v32, v[10:11], v[14:15]
	s_waitcnt lgkmcnt(0)
	v_cmpx_eq_u64_e64 s[38:39], v[14:15]
	s_cbranch_execz .LBB88_26
; %bb.25:                               ;   in Loop: Header=BB88_20 Depth=3
	v_lshl_add_u32 v14, v13, 4, v18
	s_xor_b32 s35, exec_lo, -1
	ds_add_f32 v14, v31
.LBB88_26:                              ;   in Loop: Header=BB88_20 Depth=3
	s_or_b32 exec_lo, exec_lo, s36
	s_delay_alu instid0(SALU_CYCLE_1) | instskip(SKIP_1) | instid1(SALU_CYCLE_1)
	s_and_not1_b32 s33, s33, exec_lo
	s_and_b32 s35, s35, exec_lo
	s_or_b32 s33, s33, s35
.LBB88_27:                              ;   in Loop: Header=BB88_20 Depth=3
	s_or_b32 exec_lo, exec_lo, s34
	s_delay_alu instid0(SALU_CYCLE_1)
	s_and_b32 s33, s33, exec_lo
.LBB88_28:                              ;   in Loop: Header=BB88_20 Depth=3
	s_and_not1_saveexec_b32 s25, s25
	s_cbranch_execz .LBB88_19
; %bb.29:                               ;   in Loop: Header=BB88_20 Depth=3
	v_lshl_add_u32 v14, v13, 4, v18
	s_and_not1_b32 s33, s33, exec_lo
	ds_add_f32 v14, v31
	s_branch .LBB88_19
.LBB88_30:                              ;   in Loop: Header=BB88_18 Depth=2
	s_or_b32 exec_lo, exec_lo, s17
	s_waitcnt vmcnt(0)
	v_dual_mul_f32 v31, v26, v28 :: v_dual_mov_b32 v14, v13
	v_mov_b32_e32 v13, v12
	s_mov_b32 s17, 0
	s_delay_alu instid0(VALU_DEP_2)
	v_fmac_f32_e32 v31, v25, v27
	s_branch .LBB88_32
.LBB88_31:                              ;   in Loop: Header=BB88_32 Depth=3
	s_or_b32 exec_lo, exec_lo, s25
	s_xor_b32 s25, s33, -1
	s_delay_alu instid0(SALU_CYCLE_1) | instskip(NEXT) | instid1(SALU_CYCLE_1)
	s_and_b32 s25, exec_lo, s25
	s_or_b32 s17, s25, s17
	s_delay_alu instid0(SALU_CYCLE_1)
	s_and_not1_b32 exec_lo, exec_lo, s17
	s_cbranch_execz .LBB88_42
.LBB88_32:                              ;   Parent Loop BB88_15 Depth=1
                                        ;     Parent Loop BB88_18 Depth=2
                                        ; =>    This Inner Loop Header: Depth=3
	s_delay_alu instid0(VALU_DEP_2)
	v_lshl_add_u32 v32, v13, 3, v16
	s_mov_b32 s25, exec_lo
                                        ; implicit-def: $sgpr33
	ds_load_b64 v[14:15], v32
	s_waitcnt lgkmcnt(0)
	v_cmpx_ne_u64_e64 v[14:15], v[10:11]
	s_xor_b32 s25, exec_lo, s25
	s_cbranch_execz .LBB88_40
; %bb.33:                               ;   in Loop: Header=BB88_32 Depth=3
	s_mov_b32 s34, exec_lo
                                        ; implicit-def: $sgpr33
	v_cmpx_ne_u64_e64 s[38:39], v[14:15]
	s_xor_b32 s34, exec_lo, s34
; %bb.34:                               ;   in Loop: Header=BB88_32 Depth=3
	v_add_nc_u32_e32 v13, 1, v13
	s_mov_b32 s33, -1
                                        ; implicit-def: $vgpr32
	s_delay_alu instid0(VALU_DEP_1)
	v_and_b32_e32 v13, 15, v13
; %bb.35:                               ;   in Loop: Header=BB88_32 Depth=3
	s_and_not1_saveexec_b32 s34, s34
	s_cbranch_execz .LBB88_39
; %bb.36:                               ;   in Loop: Header=BB88_32 Depth=3
	v_dual_mov_b32 v14, s38 :: v_dual_mov_b32 v15, s39
	s_mov_b32 s35, -1
	s_mov_b32 s36, exec_lo
	ds_cmpstore_rtn_b64 v[14:15], v32, v[10:11], v[14:15]
	s_waitcnt lgkmcnt(0)
	v_cmpx_eq_u64_e64 s[38:39], v[14:15]
	s_cbranch_execz .LBB88_38
; %bb.37:                               ;   in Loop: Header=BB88_32 Depth=3
	v_lshl_add_u32 v14, v13, 4, v18
	s_xor_b32 s35, exec_lo, -1
	ds_add_f32 v14, v31 offset:4
.LBB88_38:                              ;   in Loop: Header=BB88_32 Depth=3
	s_or_b32 exec_lo, exec_lo, s36
	s_delay_alu instid0(SALU_CYCLE_1) | instskip(SKIP_1) | instid1(SALU_CYCLE_1)
	s_and_not1_b32 s33, s33, exec_lo
	s_and_b32 s35, s35, exec_lo
	s_or_b32 s33, s33, s35
.LBB88_39:                              ;   in Loop: Header=BB88_32 Depth=3
	s_or_b32 exec_lo, exec_lo, s34
	s_delay_alu instid0(SALU_CYCLE_1)
	s_and_b32 s33, s33, exec_lo
.LBB88_40:                              ;   in Loop: Header=BB88_32 Depth=3
	s_and_not1_saveexec_b32 s25, s25
	s_cbranch_execz .LBB88_31
; %bb.41:                               ;   in Loop: Header=BB88_32 Depth=3
	v_lshl_add_u32 v14, v13, 4, v18
	s_and_not1_b32 s33, s33, exec_lo
	ds_add_f32 v14, v31 offset:4
	s_branch .LBB88_31
.LBB88_42:                              ;   in Loop: Header=BB88_18 Depth=2
	s_or_b32 exec_lo, exec_lo, s17
	v_dual_mul_f32 v29, v23, v29 :: v_dual_mov_b32 v14, v13
	v_mov_b32_e32 v13, v12
	s_mov_b32 s17, 0
	s_delay_alu instid0(VALU_DEP_2)
	v_fmac_f32_e32 v29, v24, v30
	s_branch .LBB88_44
.LBB88_43:                              ;   in Loop: Header=BB88_44 Depth=3
	s_or_b32 exec_lo, exec_lo, s25
	s_xor_b32 s25, s33, -1
	s_delay_alu instid0(SALU_CYCLE_1) | instskip(NEXT) | instid1(SALU_CYCLE_1)
	s_and_b32 s25, exec_lo, s25
	s_or_b32 s17, s25, s17
	s_delay_alu instid0(SALU_CYCLE_1)
	s_and_not1_b32 exec_lo, exec_lo, s17
	s_cbranch_execz .LBB88_54
.LBB88_44:                              ;   Parent Loop BB88_15 Depth=1
                                        ;     Parent Loop BB88_18 Depth=2
                                        ; =>    This Inner Loop Header: Depth=3
	s_delay_alu instid0(VALU_DEP_2)
	v_lshl_add_u32 v30, v13, 3, v16
	s_mov_b32 s25, exec_lo
                                        ; implicit-def: $sgpr33
	ds_load_b64 v[14:15], v30
	s_waitcnt lgkmcnt(0)
	v_cmpx_ne_u64_e64 v[14:15], v[10:11]
	s_xor_b32 s25, exec_lo, s25
	s_cbranch_execz .LBB88_52
; %bb.45:                               ;   in Loop: Header=BB88_44 Depth=3
	s_mov_b32 s34, exec_lo
                                        ; implicit-def: $sgpr33
	v_cmpx_ne_u64_e64 s[38:39], v[14:15]
	s_xor_b32 s34, exec_lo, s34
; %bb.46:                               ;   in Loop: Header=BB88_44 Depth=3
	v_add_nc_u32_e32 v13, 1, v13
	s_mov_b32 s33, -1
                                        ; implicit-def: $vgpr30
	s_delay_alu instid0(VALU_DEP_1)
	v_and_b32_e32 v13, 15, v13
; %bb.47:                               ;   in Loop: Header=BB88_44 Depth=3
	s_and_not1_saveexec_b32 s34, s34
	s_cbranch_execz .LBB88_51
; %bb.48:                               ;   in Loop: Header=BB88_44 Depth=3
	v_dual_mov_b32 v14, s38 :: v_dual_mov_b32 v15, s39
	s_mov_b32 s35, -1
	s_mov_b32 s36, exec_lo
	ds_cmpstore_rtn_b64 v[14:15], v30, v[10:11], v[14:15]
	s_waitcnt lgkmcnt(0)
	v_cmpx_eq_u64_e64 s[38:39], v[14:15]
	s_cbranch_execz .LBB88_50
; %bb.49:                               ;   in Loop: Header=BB88_44 Depth=3
	v_lshl_add_u32 v14, v13, 4, v18
	s_xor_b32 s35, exec_lo, -1
	ds_add_f32 v14, v29 offset:8
.LBB88_50:                              ;   in Loop: Header=BB88_44 Depth=3
	s_or_b32 exec_lo, exec_lo, s36
	s_delay_alu instid0(SALU_CYCLE_1) | instskip(SKIP_1) | instid1(SALU_CYCLE_1)
	s_and_not1_b32 s33, s33, exec_lo
	s_and_b32 s35, s35, exec_lo
	s_or_b32 s33, s33, s35
.LBB88_51:                              ;   in Loop: Header=BB88_44 Depth=3
	s_or_b32 exec_lo, exec_lo, s34
	s_delay_alu instid0(SALU_CYCLE_1)
	s_and_b32 s33, s33, exec_lo
.LBB88_52:                              ;   in Loop: Header=BB88_44 Depth=3
	s_and_not1_saveexec_b32 s25, s25
	s_cbranch_execz .LBB88_43
; %bb.53:                               ;   in Loop: Header=BB88_44 Depth=3
	v_lshl_add_u32 v14, v13, 4, v18
	s_and_not1_b32 s33, s33, exec_lo
	ds_add_f32 v14, v29 offset:8
	s_branch .LBB88_43
.LBB88_54:                              ;   in Loop: Header=BB88_18 Depth=2
	s_or_b32 exec_lo, exec_lo, s17
	v_mul_f32_e32 v15, v23, v28
	s_mov_b32 s17, 0
	s_delay_alu instid0(VALU_DEP_1)
	v_fmac_f32_e32 v15, v24, v27
	s_branch .LBB88_56
.LBB88_55:                              ;   in Loop: Header=BB88_56 Depth=3
	s_or_b32 exec_lo, exec_lo, s25
	s_xor_b32 s25, s33, -1
	s_delay_alu instid0(SALU_CYCLE_1) | instskip(NEXT) | instid1(SALU_CYCLE_1)
	s_and_b32 s25, exec_lo, s25
	s_or_b32 s17, s25, s17
	s_delay_alu instid0(SALU_CYCLE_1)
	s_and_not1_b32 exec_lo, exec_lo, s17
	s_cbranch_execz .LBB88_17
.LBB88_56:                              ;   Parent Loop BB88_15 Depth=1
                                        ;     Parent Loop BB88_18 Depth=2
                                        ; =>    This Inner Loop Header: Depth=3
	v_lshl_add_u32 v27, v12, 3, v16
	s_mov_b32 s25, exec_lo
                                        ; implicit-def: $sgpr33
	ds_load_b64 v[13:14], v27
	s_waitcnt lgkmcnt(0)
	v_cmpx_ne_u64_e64 v[13:14], v[10:11]
	s_xor_b32 s25, exec_lo, s25
	s_cbranch_execz .LBB88_64
; %bb.57:                               ;   in Loop: Header=BB88_56 Depth=3
	s_mov_b32 s34, exec_lo
                                        ; implicit-def: $sgpr33
	v_cmpx_ne_u64_e64 s[38:39], v[13:14]
	s_xor_b32 s34, exec_lo, s34
; %bb.58:                               ;   in Loop: Header=BB88_56 Depth=3
	v_add_nc_u32_e32 v12, 1, v12
	s_mov_b32 s33, -1
                                        ; implicit-def: $vgpr27
	s_delay_alu instid0(VALU_DEP_1)
	v_and_b32_e32 v12, 15, v12
; %bb.59:                               ;   in Loop: Header=BB88_56 Depth=3
	s_and_not1_saveexec_b32 s34, s34
	s_cbranch_execz .LBB88_63
; %bb.60:                               ;   in Loop: Header=BB88_56 Depth=3
	v_dual_mov_b32 v13, s38 :: v_dual_mov_b32 v14, s39
	s_mov_b32 s35, -1
	s_mov_b32 s36, exec_lo
	ds_cmpstore_rtn_b64 v[13:14], v27, v[10:11], v[13:14]
	s_waitcnt lgkmcnt(0)
	v_cmpx_eq_u64_e64 s[38:39], v[13:14]
	s_cbranch_execz .LBB88_62
; %bb.61:                               ;   in Loop: Header=BB88_56 Depth=3
	v_lshl_add_u32 v13, v12, 4, v18
	s_xor_b32 s35, exec_lo, -1
	ds_add_f32 v13, v15 offset:12
.LBB88_62:                              ;   in Loop: Header=BB88_56 Depth=3
	s_or_b32 exec_lo, exec_lo, s36
	s_delay_alu instid0(SALU_CYCLE_1) | instskip(SKIP_1) | instid1(SALU_CYCLE_1)
	s_and_not1_b32 s33, s33, exec_lo
	s_and_b32 s35, s35, exec_lo
	s_or_b32 s33, s33, s35
.LBB88_63:                              ;   in Loop: Header=BB88_56 Depth=3
	s_or_b32 exec_lo, exec_lo, s34
	s_delay_alu instid0(SALU_CYCLE_1)
	s_and_b32 s33, s33, exec_lo
.LBB88_64:                              ;   in Loop: Header=BB88_56 Depth=3
	s_and_not1_saveexec_b32 s25, s25
	s_cbranch_execz .LBB88_55
; %bb.65:                               ;   in Loop: Header=BB88_56 Depth=3
	v_lshl_add_u32 v13, v12, 4, v18
	s_and_not1_b32 s33, s33, exec_lo
	ds_add_f32 v13, v15 offset:12
	s_branch .LBB88_55
.LBB88_66:
	s_or_b32 exec_lo, exec_lo, s1
.LBB88_67:
	s_delay_alu instid0(SALU_CYCLE_1)
	s_and_not1_b32 vcc_lo, exec_lo, s12
	s_waitcnt lgkmcnt(0)
	buffer_gl0_inv
	s_cbranch_vccnz .LBB88_120
; %bb.68:
	v_add_co_u32 v0, vcc_lo, s4, v4
	v_add_co_ci_u32_e32 v1, vcc_lo, s5, v5, vcc_lo
	v_sub_co_u32 v2, s1, v22, s27
	s_delay_alu instid0(VALU_DEP_1)
	v_sub_co_ci_u32_e64 v3, null, 0, 0, s1
	global_load_b128 v[6:9], v[0:1], off
	s_mov_b32 s1, 0
	s_mov_b32 s2, exec_lo
	s_waitcnt vmcnt(0)
	v_sub_co_u32 v0, vcc_lo, v8, s27
	v_subrev_co_ci_u32_e32 v1, vcc_lo, 0, v9, vcc_lo
	v_add_co_u32 v2, vcc_lo, v6, v2
	v_add_co_ci_u32_e32 v3, vcc_lo, v7, v3, vcc_lo
	s_delay_alu instid0(VALU_DEP_1)
	v_cmpx_lt_i64_e64 v[2:3], v[0:1]
	s_cbranch_execz .LBB88_119
; %bb.69:
	s_cmp_eq_u32 s0, 0
	s_mov_b32 s3, s27
	s_cselect_b32 s4, 1, 2
	s_cselect_b32 s5, 2, 1
	s_branch .LBB88_71
.LBB88_70:                              ;   in Loop: Header=BB88_71 Depth=1
	s_or_b32 exec_lo, exec_lo, s12
	v_add_co_u32 v2, vcc_lo, v2, 16
	v_add_co_ci_u32_e32 v3, vcc_lo, 0, v3, vcc_lo
	s_delay_alu instid0(VALU_DEP_1) | instskip(SKIP_1) | instid1(SALU_CYCLE_1)
	v_cmp_ge_i64_e32 vcc_lo, v[2:3], v[0:1]
	s_or_b32 s1, vcc_lo, s1
	s_and_not1_b32 exec_lo, exec_lo, s1
	s_cbranch_execz .LBB88_119
.LBB88_71:                              ; =>This Loop Header: Depth=1
                                        ;     Child Loop BB88_73 Depth 2
                                        ;     Child Loop BB88_85 Depth 2
	;; [unrolled: 1-line block ×4, first 2 shown]
	v_lshlrev_b64 v[6:7], 2, v[2:3]
	v_lshlrev_b64 v[8:9], 3, v[2:3]
	v_lshlrev_b64 v[10:11], 4, v[2:3]
	s_mov_b32 s12, 0
	s_delay_alu instid0(VALU_DEP_3) | instskip(SKIP_1) | instid1(VALU_DEP_4)
	v_or_b32_e32 v12, 0, v7
	v_or_b32_e32 v14, 0, v7
	v_add_co_u32 v7, vcc_lo, s6, v8
	v_add_co_ci_u32_e32 v8, vcc_lo, s7, v9, vcc_lo
	v_or_b32_e32 v13, s5, v6
	v_add_co_u32 v9, vcc_lo, s8, v10
	global_load_b64 v[7:8], v[7:8], off
	v_add_co_ci_u32_e32 v10, vcc_lo, s9, v11, vcc_lo
	v_or_b32_e32 v11, s4, v6
	v_lshlrev_b64 v[13:14], 2, v[13:14]
	global_load_b32 v15, v[9:10], off
	v_lshlrev_b64 v[11:12], 2, v[11:12]
	v_add_co_u32 v13, vcc_lo, s8, v13
	v_add_co_ci_u32_e32 v14, vcc_lo, s9, v14, vcc_lo
	s_delay_alu instid0(VALU_DEP_3) | instskip(NEXT) | instid1(VALU_DEP_4)
	v_add_co_u32 v11, vcc_lo, s8, v11
	v_add_co_ci_u32_e32 v12, vcc_lo, s9, v12, vcc_lo
	s_clause 0x2
	global_load_b32 v13, v[13:14], off
	global_load_b32 v14, v[11:12], off
	global_load_b32 v12, v[9:10], off offset:12
	s_waitcnt vmcnt(4)
	v_sub_co_u32 v6, vcc_lo, v7, s3
	v_subrev_co_ci_u32_e32 v7, vcc_lo, 0, v8, vcc_lo
	s_delay_alu instid0(VALU_DEP_2) | instskip(SKIP_1) | instid1(VALU_DEP_1)
	v_lshl_add_u32 v8, v6, 3, v6
	s_waitcnt vmcnt(3)
	v_dual_mul_f32 v15, v19, v15 :: v_dual_and_b32 v8, 15, v8
	v_mov_b32_e32 v10, v9
	s_delay_alu instid0(VALU_DEP_2)
	v_mov_b32_e32 v9, v8
	s_branch .LBB88_73
.LBB88_72:                              ;   in Loop: Header=BB88_73 Depth=2
	s_or_b32 exec_lo, exec_lo, s13
	s_xor_b32 s13, s14, -1
	s_delay_alu instid0(SALU_CYCLE_1) | instskip(NEXT) | instid1(SALU_CYCLE_1)
	s_and_b32 s13, exec_lo, s13
	s_or_b32 s12, s13, s12
	s_delay_alu instid0(SALU_CYCLE_1)
	s_and_not1_b32 exec_lo, exec_lo, s12
	s_cbranch_execz .LBB88_83
.LBB88_73:                              ;   Parent Loop BB88_71 Depth=1
                                        ; =>  This Inner Loop Header: Depth=2
	s_delay_alu instid0(VALU_DEP_1)
	v_lshl_add_u32 v21, v9, 3, v16
	s_mov_b32 s13, exec_lo
                                        ; implicit-def: $sgpr14
	ds_load_b64 v[10:11], v21
	s_waitcnt lgkmcnt(0)
	v_cmpx_ne_u64_e64 v[10:11], v[6:7]
	s_xor_b32 s13, exec_lo, s13
	s_cbranch_execz .LBB88_81
; %bb.74:                               ;   in Loop: Header=BB88_73 Depth=2
	s_mov_b32 s15, exec_lo
                                        ; implicit-def: $sgpr14
	v_cmpx_ne_u64_e64 s[38:39], v[10:11]
	s_xor_b32 s15, exec_lo, s15
; %bb.75:                               ;   in Loop: Header=BB88_73 Depth=2
	v_add_nc_u32_e32 v9, 1, v9
	s_mov_b32 s14, -1
                                        ; implicit-def: $vgpr21
	s_delay_alu instid0(VALU_DEP_1)
	v_and_b32_e32 v9, 15, v9
; %bb.76:                               ;   in Loop: Header=BB88_73 Depth=2
	s_and_not1_saveexec_b32 s15, s15
	s_cbranch_execz .LBB88_80
; %bb.77:                               ;   in Loop: Header=BB88_73 Depth=2
	v_dual_mov_b32 v10, s38 :: v_dual_mov_b32 v11, s39
	s_mov_b32 s16, -1
	s_mov_b32 s17, exec_lo
	ds_cmpstore_rtn_b64 v[10:11], v21, v[6:7], v[10:11]
	s_waitcnt lgkmcnt(0)
	v_cmpx_eq_u64_e64 s[38:39], v[10:11]
	s_cbranch_execz .LBB88_79
; %bb.78:                               ;   in Loop: Header=BB88_73 Depth=2
	v_lshl_add_u32 v10, v9, 4, v18
	s_xor_b32 s16, exec_lo, -1
	ds_add_f32 v10, v15
.LBB88_79:                              ;   in Loop: Header=BB88_73 Depth=2
	s_or_b32 exec_lo, exec_lo, s17
	s_delay_alu instid0(SALU_CYCLE_1) | instskip(SKIP_1) | instid1(SALU_CYCLE_1)
	s_and_not1_b32 s14, s14, exec_lo
	s_and_b32 s16, s16, exec_lo
	s_or_b32 s14, s14, s16
.LBB88_80:                              ;   in Loop: Header=BB88_73 Depth=2
	s_or_b32 exec_lo, exec_lo, s15
	s_delay_alu instid0(SALU_CYCLE_1)
	s_and_b32 s14, s14, exec_lo
.LBB88_81:                              ;   in Loop: Header=BB88_73 Depth=2
	s_and_not1_saveexec_b32 s13, s13
	s_cbranch_execz .LBB88_72
; %bb.82:                               ;   in Loop: Header=BB88_73 Depth=2
	v_lshl_add_u32 v10, v9, 4, v18
	s_and_not1_b32 s14, s14, exec_lo
	ds_add_f32 v10, v15
	s_branch .LBB88_72
.LBB88_83:                              ;   in Loop: Header=BB88_71 Depth=1
	s_or_b32 exec_lo, exec_lo, s12
	v_mov_b32_e32 v10, v9
	s_waitcnt vmcnt(1)
	v_dual_mul_f32 v14, v19, v14 :: v_dual_mov_b32 v9, v8
	s_mov_b32 s12, 0
	s_branch .LBB88_85
.LBB88_84:                              ;   in Loop: Header=BB88_85 Depth=2
	s_or_b32 exec_lo, exec_lo, s13
	s_xor_b32 s13, s14, -1
	s_delay_alu instid0(SALU_CYCLE_1) | instskip(NEXT) | instid1(SALU_CYCLE_1)
	s_and_b32 s13, exec_lo, s13
	s_or_b32 s12, s13, s12
	s_delay_alu instid0(SALU_CYCLE_1)
	s_and_not1_b32 exec_lo, exec_lo, s12
	s_cbranch_execz .LBB88_95
.LBB88_85:                              ;   Parent Loop BB88_71 Depth=1
                                        ; =>  This Inner Loop Header: Depth=2
	s_delay_alu instid0(VALU_DEP_1)
	v_lshl_add_u32 v15, v9, 3, v16
	s_mov_b32 s13, exec_lo
                                        ; implicit-def: $sgpr14
	ds_load_b64 v[10:11], v15
	s_waitcnt lgkmcnt(0)
	v_cmpx_ne_u64_e64 v[10:11], v[6:7]
	s_xor_b32 s13, exec_lo, s13
	s_cbranch_execz .LBB88_93
; %bb.86:                               ;   in Loop: Header=BB88_85 Depth=2
	s_mov_b32 s15, exec_lo
                                        ; implicit-def: $sgpr14
	v_cmpx_ne_u64_e64 s[38:39], v[10:11]
	s_xor_b32 s15, exec_lo, s15
; %bb.87:                               ;   in Loop: Header=BB88_85 Depth=2
	v_add_nc_u32_e32 v9, 1, v9
	s_mov_b32 s14, -1
                                        ; implicit-def: $vgpr15
	s_delay_alu instid0(VALU_DEP_1)
	v_and_b32_e32 v9, 15, v9
; %bb.88:                               ;   in Loop: Header=BB88_85 Depth=2
	s_and_not1_saveexec_b32 s15, s15
	s_cbranch_execz .LBB88_92
; %bb.89:                               ;   in Loop: Header=BB88_85 Depth=2
	v_dual_mov_b32 v10, s38 :: v_dual_mov_b32 v11, s39
	s_mov_b32 s16, -1
	s_mov_b32 s17, exec_lo
	ds_cmpstore_rtn_b64 v[10:11], v15, v[6:7], v[10:11]
	s_waitcnt lgkmcnt(0)
	v_cmpx_eq_u64_e64 s[38:39], v[10:11]
	s_cbranch_execz .LBB88_91
; %bb.90:                               ;   in Loop: Header=BB88_85 Depth=2
	v_lshl_add_u32 v10, v9, 4, v18
	s_xor_b32 s16, exec_lo, -1
	ds_add_f32 v10, v14 offset:4
.LBB88_91:                              ;   in Loop: Header=BB88_85 Depth=2
	s_or_b32 exec_lo, exec_lo, s17
	s_delay_alu instid0(SALU_CYCLE_1) | instskip(SKIP_1) | instid1(SALU_CYCLE_1)
	s_and_not1_b32 s14, s14, exec_lo
	s_and_b32 s16, s16, exec_lo
	s_or_b32 s14, s14, s16
.LBB88_92:                              ;   in Loop: Header=BB88_85 Depth=2
	s_or_b32 exec_lo, exec_lo, s15
	s_delay_alu instid0(SALU_CYCLE_1)
	s_and_b32 s14, s14, exec_lo
.LBB88_93:                              ;   in Loop: Header=BB88_85 Depth=2
	s_and_not1_saveexec_b32 s13, s13
	s_cbranch_execz .LBB88_84
; %bb.94:                               ;   in Loop: Header=BB88_85 Depth=2
	v_lshl_add_u32 v10, v9, 4, v18
	s_and_not1_b32 s14, s14, exec_lo
	ds_add_f32 v10, v14 offset:4
	s_branch .LBB88_84
.LBB88_95:                              ;   in Loop: Header=BB88_71 Depth=1
	s_or_b32 exec_lo, exec_lo, s12
	v_dual_mul_f32 v13, v19, v13 :: v_dual_mov_b32 v10, v9
	v_mov_b32_e32 v9, v8
	s_mov_b32 s12, 0
	s_branch .LBB88_97
.LBB88_96:                              ;   in Loop: Header=BB88_97 Depth=2
	s_or_b32 exec_lo, exec_lo, s13
	s_xor_b32 s13, s14, -1
	s_delay_alu instid0(SALU_CYCLE_1) | instskip(NEXT) | instid1(SALU_CYCLE_1)
	s_and_b32 s13, exec_lo, s13
	s_or_b32 s12, s13, s12
	s_delay_alu instid0(SALU_CYCLE_1)
	s_and_not1_b32 exec_lo, exec_lo, s12
	s_cbranch_execz .LBB88_107
.LBB88_97:                              ;   Parent Loop BB88_71 Depth=1
                                        ; =>  This Inner Loop Header: Depth=2
	s_delay_alu instid0(VALU_DEP_1)
	v_lshl_add_u32 v14, v9, 3, v16
	s_mov_b32 s13, exec_lo
                                        ; implicit-def: $sgpr14
	ds_load_b64 v[10:11], v14
	s_waitcnt lgkmcnt(0)
	v_cmpx_ne_u64_e64 v[10:11], v[6:7]
	s_xor_b32 s13, exec_lo, s13
	s_cbranch_execz .LBB88_105
; %bb.98:                               ;   in Loop: Header=BB88_97 Depth=2
	s_mov_b32 s15, exec_lo
                                        ; implicit-def: $sgpr14
	v_cmpx_ne_u64_e64 s[38:39], v[10:11]
	s_xor_b32 s15, exec_lo, s15
; %bb.99:                               ;   in Loop: Header=BB88_97 Depth=2
	v_add_nc_u32_e32 v9, 1, v9
	s_mov_b32 s14, -1
                                        ; implicit-def: $vgpr14
	s_delay_alu instid0(VALU_DEP_1)
	v_and_b32_e32 v9, 15, v9
; %bb.100:                              ;   in Loop: Header=BB88_97 Depth=2
	s_and_not1_saveexec_b32 s15, s15
	s_cbranch_execz .LBB88_104
; %bb.101:                              ;   in Loop: Header=BB88_97 Depth=2
	v_dual_mov_b32 v10, s38 :: v_dual_mov_b32 v11, s39
	s_mov_b32 s16, -1
	s_mov_b32 s17, exec_lo
	ds_cmpstore_rtn_b64 v[10:11], v14, v[6:7], v[10:11]
	s_waitcnt lgkmcnt(0)
	v_cmpx_eq_u64_e64 s[38:39], v[10:11]
	s_cbranch_execz .LBB88_103
; %bb.102:                              ;   in Loop: Header=BB88_97 Depth=2
	v_lshl_add_u32 v10, v9, 4, v18
	s_xor_b32 s16, exec_lo, -1
	ds_add_f32 v10, v13 offset:8
.LBB88_103:                             ;   in Loop: Header=BB88_97 Depth=2
	s_or_b32 exec_lo, exec_lo, s17
	s_delay_alu instid0(SALU_CYCLE_1) | instskip(SKIP_1) | instid1(SALU_CYCLE_1)
	s_and_not1_b32 s14, s14, exec_lo
	s_and_b32 s16, s16, exec_lo
	s_or_b32 s14, s14, s16
.LBB88_104:                             ;   in Loop: Header=BB88_97 Depth=2
	s_or_b32 exec_lo, exec_lo, s15
	s_delay_alu instid0(SALU_CYCLE_1)
	s_and_b32 s14, s14, exec_lo
.LBB88_105:                             ;   in Loop: Header=BB88_97 Depth=2
	s_and_not1_saveexec_b32 s13, s13
	s_cbranch_execz .LBB88_96
; %bb.106:                              ;   in Loop: Header=BB88_97 Depth=2
	v_lshl_add_u32 v10, v9, 4, v18
	s_and_not1_b32 s14, s14, exec_lo
	ds_add_f32 v10, v13 offset:8
	s_branch .LBB88_96
.LBB88_107:                             ;   in Loop: Header=BB88_71 Depth=1
	s_or_b32 exec_lo, exec_lo, s12
	s_waitcnt vmcnt(0)
	v_mul_f32_e32 v11, v19, v12
	s_mov_b32 s12, 0
	s_branch .LBB88_109
.LBB88_108:                             ;   in Loop: Header=BB88_109 Depth=2
	s_or_b32 exec_lo, exec_lo, s13
	s_xor_b32 s13, s14, -1
	s_delay_alu instid0(SALU_CYCLE_1) | instskip(NEXT) | instid1(SALU_CYCLE_1)
	s_and_b32 s13, exec_lo, s13
	s_or_b32 s12, s13, s12
	s_delay_alu instid0(SALU_CYCLE_1)
	s_and_not1_b32 exec_lo, exec_lo, s12
	s_cbranch_execz .LBB88_70
.LBB88_109:                             ;   Parent Loop BB88_71 Depth=1
                                        ; =>  This Inner Loop Header: Depth=2
	v_lshl_add_u32 v12, v8, 3, v16
	s_mov_b32 s13, exec_lo
                                        ; implicit-def: $sgpr14
	ds_load_b64 v[9:10], v12
	s_waitcnt lgkmcnt(0)
	v_cmpx_ne_u64_e64 v[9:10], v[6:7]
	s_xor_b32 s13, exec_lo, s13
	s_cbranch_execz .LBB88_117
; %bb.110:                              ;   in Loop: Header=BB88_109 Depth=2
	s_mov_b32 s15, exec_lo
                                        ; implicit-def: $sgpr14
	v_cmpx_ne_u64_e64 s[38:39], v[9:10]
	s_xor_b32 s15, exec_lo, s15
; %bb.111:                              ;   in Loop: Header=BB88_109 Depth=2
	v_add_nc_u32_e32 v8, 1, v8
	s_mov_b32 s14, -1
                                        ; implicit-def: $vgpr12
	s_delay_alu instid0(VALU_DEP_1)
	v_and_b32_e32 v8, 15, v8
; %bb.112:                              ;   in Loop: Header=BB88_109 Depth=2
	s_and_not1_saveexec_b32 s15, s15
	s_cbranch_execz .LBB88_116
; %bb.113:                              ;   in Loop: Header=BB88_109 Depth=2
	v_dual_mov_b32 v9, s38 :: v_dual_mov_b32 v10, s39
	s_mov_b32 s16, -1
	s_mov_b32 s17, exec_lo
	ds_cmpstore_rtn_b64 v[9:10], v12, v[6:7], v[9:10]
	s_waitcnt lgkmcnt(0)
	v_cmpx_eq_u64_e64 s[38:39], v[9:10]
	s_cbranch_execz .LBB88_115
; %bb.114:                              ;   in Loop: Header=BB88_109 Depth=2
	v_lshl_add_u32 v9, v8, 4, v18
	s_xor_b32 s16, exec_lo, -1
	ds_add_f32 v9, v11 offset:12
.LBB88_115:                             ;   in Loop: Header=BB88_109 Depth=2
	s_or_b32 exec_lo, exec_lo, s17
	s_delay_alu instid0(SALU_CYCLE_1) | instskip(SKIP_1) | instid1(SALU_CYCLE_1)
	s_and_not1_b32 s14, s14, exec_lo
	s_and_b32 s16, s16, exec_lo
	s_or_b32 s14, s14, s16
.LBB88_116:                             ;   in Loop: Header=BB88_109 Depth=2
	s_or_b32 exec_lo, exec_lo, s15
	s_delay_alu instid0(SALU_CYCLE_1)
	s_and_b32 s14, s14, exec_lo
.LBB88_117:                             ;   in Loop: Header=BB88_109 Depth=2
	s_and_not1_saveexec_b32 s13, s13
	s_cbranch_execz .LBB88_108
; %bb.118:                              ;   in Loop: Header=BB88_109 Depth=2
	v_lshl_add_u32 v9, v8, 4, v18
	s_and_not1_b32 s14, s14, exec_lo
	ds_add_f32 v9, v11 offset:12
	s_branch .LBB88_108
.LBB88_119:
	s_or_b32 exec_lo, exec_lo, s2
.LBB88_120:
	s_waitcnt lgkmcnt(0)
	buffer_gl0_inv
	ds_load_b64 v[0:1], v20
	s_waitcnt lgkmcnt(0)
	v_cmp_gt_i64_e32 vcc_lo, s[38:39], v[0:1]
	s_and_b32 exec_lo, exec_lo, vcc_lo
	s_cbranch_execz .LBB88_122
; %bb.121:
	v_add_co_u32 v2, vcc_lo, s10, v4
	v_add_co_ci_u32_e32 v3, vcc_lo, s11, v5, vcc_lo
	s_cmp_eq_u32 s0, 0
	v_lshl_add_u32 v39, v17, 2, v18
	s_cselect_b32 s0, 1, 2
	global_load_b64 v[14:15], v[2:3], off
	ds_load_b128 v[2:5], v16
	ds_load_b128 v[6:9], v16 offset:16
	ds_load_b128 v[10:13], v16 offset:32
	;; [unrolled: 1-line block ×7, first 2 shown]
	s_cselect_b32 s1, 2, 1
	v_or_b32_e32 v40, s0, v17
	v_or_b32_e32 v41, s1, v17
	ds_load_2addr_b32 v[16:17], v39 offset1:3
	v_lshl_add_u32 v39, v40, 2, v18
	s_waitcnt lgkmcnt(8)
	v_cmp_gt_i64_e32 vcc_lo, v[0:1], v[2:3]
	v_cndmask_b32_e64 v2, 0, 1, vcc_lo
	s_waitcnt vmcnt(0)
	v_sub_co_u32 v3, vcc_lo, v14, s26
	v_subrev_co_ci_u32_e32 v14, vcc_lo, 0, v15, vcc_lo
	v_cmp_gt_i64_e32 vcc_lo, v[0:1], v[4:5]
	v_cndmask_b32_e64 v4, 0, 1, vcc_lo
	s_delay_alu instid0(VALU_DEP_4) | instskip(NEXT) | instid1(VALU_DEP_4)
	v_add_co_u32 v2, vcc_lo, v3, v2
	v_add_co_ci_u32_e32 v3, vcc_lo, 0, v14, vcc_lo
	s_waitcnt lgkmcnt(7)
	v_cmp_gt_i64_e32 vcc_lo, v[0:1], v[6:7]
	v_lshl_add_u32 v7, v41, 2, v18
	v_cndmask_b32_e64 v5, 0, 1, vcc_lo
	v_add_co_u32 v2, vcc_lo, v2, v4
	v_add_co_ci_u32_e32 v3, vcc_lo, 0, v3, vcc_lo
	v_cmp_gt_i64_e32 vcc_lo, v[0:1], v[8:9]
	v_cndmask_b32_e64 v4, 0, 1, vcc_lo
	s_delay_alu instid0(VALU_DEP_4) | instskip(NEXT) | instid1(VALU_DEP_4)
	v_add_co_u32 v2, vcc_lo, v2, v5
	v_add_co_ci_u32_e32 v3, vcc_lo, 0, v3, vcc_lo
	s_waitcnt lgkmcnt(6)
	v_cmp_gt_i64_e32 vcc_lo, v[0:1], v[10:11]
	v_cndmask_b32_e64 v5, 0, 1, vcc_lo
	v_add_co_u32 v2, vcc_lo, v2, v4
	v_add_co_ci_u32_e32 v3, vcc_lo, 0, v3, vcc_lo
	v_cmp_gt_i64_e32 vcc_lo, v[0:1], v[12:13]
	v_cndmask_b32_e64 v4, 0, 1, vcc_lo
	s_delay_alu instid0(VALU_DEP_4) | instskip(NEXT) | instid1(VALU_DEP_4)
	v_add_co_u32 v2, vcc_lo, v2, v5
	v_add_co_ci_u32_e32 v3, vcc_lo, 0, v3, vcc_lo
	s_waitcnt lgkmcnt(5)
	v_cmp_gt_i64_e32 vcc_lo, v[0:1], v[19:20]
	;; [unrolled: 10-line block ×6, first 2 shown]
	v_cndmask_b32_e64 v5, 0, 1, vcc_lo
	v_add_co_u32 v2, vcc_lo, v2, v4
	v_add_co_ci_u32_e32 v3, vcc_lo, 0, v3, vcc_lo
	v_cmp_gt_i64_e32 vcc_lo, v[0:1], v[37:38]
	v_cndmask_b32_e64 v4, 0, 1, vcc_lo
	s_delay_alu instid0(VALU_DEP_4) | instskip(NEXT) | instid1(VALU_DEP_4)
	v_add_co_u32 v2, vcc_lo, v2, v5
	v_add_co_ci_u32_e32 v3, vcc_lo, 0, v3, vcc_lo
	s_delay_alu instid0(VALU_DEP_2) | instskip(NEXT) | instid1(VALU_DEP_2)
	v_add_co_u32 v5, vcc_lo, v2, v4
	v_add_co_ci_u32_e32 v6, vcc_lo, 0, v3, vcc_lo
	ds_load_b32 v2, v39
	ds_load_b32 v3, v7
	v_add_co_u32 v9, vcc_lo, v0, s26
	v_lshlrev_b64 v[7:8], 3, v[5:6]
	v_lshlrev_b64 v[5:6], 4, v[5:6]
	v_add_co_ci_u32_e32 v10, vcc_lo, 0, v1, vcc_lo
	s_waitcnt lgkmcnt(2)
	v_dual_mov_b32 v1, v16 :: v_dual_mov_b32 v4, v17
	s_delay_alu instid0(VALU_DEP_4)
	v_add_co_u32 v7, vcc_lo, s28, v7
	v_add_co_ci_u32_e32 v8, vcc_lo, s29, v8, vcc_lo
	v_add_co_u32 v5, vcc_lo, s30, v5
	v_add_co_ci_u32_e32 v6, vcc_lo, s31, v6, vcc_lo
	global_store_b64 v[7:8], v[9:10], off
	s_waitcnt lgkmcnt(0)
	global_store_b128 v[5:6], v[1:4], off
.LBB88_122:
	s_nop 0
	s_sendmsg sendmsg(MSG_DEALLOC_VGPRS)
	s_endpgm
	.section	.rodata,"a",@progbits
	.p2align	6, 0x0
	.amdhsa_kernel _ZN9rocsparseL27bsrgemm_fill_wf_per_row_2x2ILj256ELj16ELj16ELj137EllfEEv20rocsparse_direction_T4_S2_PKS2_S4_NS_24const_host_device_scalarIT5_EEPKT3_S4_PKS6_SA_S4_SC_S7_SA_S4_SC_SA_PS2_PS6_21rocsparse_index_base_SF_SF_SF_bbb
		.amdhsa_group_segment_fixed_size 6144
		.amdhsa_private_segment_fixed_size 0
		.amdhsa_kernarg_size 172
		.amdhsa_user_sgpr_count 15
		.amdhsa_user_sgpr_dispatch_ptr 0
		.amdhsa_user_sgpr_queue_ptr 0
		.amdhsa_user_sgpr_kernarg_segment_ptr 1
		.amdhsa_user_sgpr_dispatch_id 0
		.amdhsa_user_sgpr_private_segment_size 0
		.amdhsa_wavefront_size32 1
		.amdhsa_uses_dynamic_stack 0
		.amdhsa_enable_private_segment 0
		.amdhsa_system_sgpr_workgroup_id_x 1
		.amdhsa_system_sgpr_workgroup_id_y 0
		.amdhsa_system_sgpr_workgroup_id_z 0
		.amdhsa_system_sgpr_workgroup_info 0
		.amdhsa_system_vgpr_workitem_id 0
		.amdhsa_next_free_vgpr 42
		.amdhsa_next_free_sgpr 48
		.amdhsa_reserve_vcc 1
		.amdhsa_float_round_mode_32 0
		.amdhsa_float_round_mode_16_64 0
		.amdhsa_float_denorm_mode_32 3
		.amdhsa_float_denorm_mode_16_64 3
		.amdhsa_dx10_clamp 1
		.amdhsa_ieee_mode 1
		.amdhsa_fp16_overflow 0
		.amdhsa_workgroup_processor_mode 1
		.amdhsa_memory_ordered 1
		.amdhsa_forward_progress 0
		.amdhsa_shared_vgpr_count 0
		.amdhsa_exception_fp_ieee_invalid_op 0
		.amdhsa_exception_fp_denorm_src 0
		.amdhsa_exception_fp_ieee_div_zero 0
		.amdhsa_exception_fp_ieee_overflow 0
		.amdhsa_exception_fp_ieee_underflow 0
		.amdhsa_exception_fp_ieee_inexact 0
		.amdhsa_exception_int_div_zero 0
	.end_amdhsa_kernel
	.section	.text._ZN9rocsparseL27bsrgemm_fill_wf_per_row_2x2ILj256ELj16ELj16ELj137EllfEEv20rocsparse_direction_T4_S2_PKS2_S4_NS_24const_host_device_scalarIT5_EEPKT3_S4_PKS6_SA_S4_SC_S7_SA_S4_SC_SA_PS2_PS6_21rocsparse_index_base_SF_SF_SF_bbb,"axG",@progbits,_ZN9rocsparseL27bsrgemm_fill_wf_per_row_2x2ILj256ELj16ELj16ELj137EllfEEv20rocsparse_direction_T4_S2_PKS2_S4_NS_24const_host_device_scalarIT5_EEPKT3_S4_PKS6_SA_S4_SC_S7_SA_S4_SC_SA_PS2_PS6_21rocsparse_index_base_SF_SF_SF_bbb,comdat
.Lfunc_end88:
	.size	_ZN9rocsparseL27bsrgemm_fill_wf_per_row_2x2ILj256ELj16ELj16ELj137EllfEEv20rocsparse_direction_T4_S2_PKS2_S4_NS_24const_host_device_scalarIT5_EEPKT3_S4_PKS6_SA_S4_SC_S7_SA_S4_SC_SA_PS2_PS6_21rocsparse_index_base_SF_SF_SF_bbb, .Lfunc_end88-_ZN9rocsparseL27bsrgemm_fill_wf_per_row_2x2ILj256ELj16ELj16ELj137EllfEEv20rocsparse_direction_T4_S2_PKS2_S4_NS_24const_host_device_scalarIT5_EEPKT3_S4_PKS6_SA_S4_SC_S7_SA_S4_SC_SA_PS2_PS6_21rocsparse_index_base_SF_SF_SF_bbb
                                        ; -- End function
	.section	.AMDGPU.csdata,"",@progbits
; Kernel info:
; codeLenInByte = 4428
; NumSgprs: 50
; NumVgprs: 42
; ScratchSize: 0
; MemoryBound: 0
; FloatMode: 240
; IeeeMode: 1
; LDSByteSize: 6144 bytes/workgroup (compile time only)
; SGPRBlocks: 6
; VGPRBlocks: 5
; NumSGPRsForWavesPerEU: 50
; NumVGPRsForWavesPerEU: 42
; Occupancy: 16
; WaveLimiterHint : 1
; COMPUTE_PGM_RSRC2:SCRATCH_EN: 0
; COMPUTE_PGM_RSRC2:USER_SGPR: 15
; COMPUTE_PGM_RSRC2:TRAP_HANDLER: 0
; COMPUTE_PGM_RSRC2:TGID_X_EN: 1
; COMPUTE_PGM_RSRC2:TGID_Y_EN: 0
; COMPUTE_PGM_RSRC2:TGID_Z_EN: 0
; COMPUTE_PGM_RSRC2:TIDIG_COMP_CNT: 0
	.section	.text._ZN9rocsparseL27bsrgemm_fill_wf_per_row_2x2ILj256ELj16ELj32ELj137EllfEEv20rocsparse_direction_T4_S2_PKS2_S4_NS_24const_host_device_scalarIT5_EEPKT3_S4_PKS6_SA_S4_SC_S7_SA_S4_SC_SA_PS2_PS6_21rocsparse_index_base_SF_SF_SF_bbb,"axG",@progbits,_ZN9rocsparseL27bsrgemm_fill_wf_per_row_2x2ILj256ELj16ELj32ELj137EllfEEv20rocsparse_direction_T4_S2_PKS2_S4_NS_24const_host_device_scalarIT5_EEPKT3_S4_PKS6_SA_S4_SC_S7_SA_S4_SC_SA_PS2_PS6_21rocsparse_index_base_SF_SF_SF_bbb,comdat
	.globl	_ZN9rocsparseL27bsrgemm_fill_wf_per_row_2x2ILj256ELj16ELj32ELj137EllfEEv20rocsparse_direction_T4_S2_PKS2_S4_NS_24const_host_device_scalarIT5_EEPKT3_S4_PKS6_SA_S4_SC_S7_SA_S4_SC_SA_PS2_PS6_21rocsparse_index_base_SF_SF_SF_bbb ; -- Begin function _ZN9rocsparseL27bsrgemm_fill_wf_per_row_2x2ILj256ELj16ELj32ELj137EllfEEv20rocsparse_direction_T4_S2_PKS2_S4_NS_24const_host_device_scalarIT5_EEPKT3_S4_PKS6_SA_S4_SC_S7_SA_S4_SC_SA_PS2_PS6_21rocsparse_index_base_SF_SF_SF_bbb
	.p2align	8
	.type	_ZN9rocsparseL27bsrgemm_fill_wf_per_row_2x2ILj256ELj16ELj32ELj137EllfEEv20rocsparse_direction_T4_S2_PKS2_S4_NS_24const_host_device_scalarIT5_EEPKT3_S4_PKS6_SA_S4_SC_S7_SA_S4_SC_SA_PS2_PS6_21rocsparse_index_base_SF_SF_SF_bbb,@function
_ZN9rocsparseL27bsrgemm_fill_wf_per_row_2x2ILj256ELj16ELj32ELj137EllfEEv20rocsparse_direction_T4_S2_PKS2_S4_NS_24const_host_device_scalarIT5_EEPKT3_S4_PKS6_SA_S4_SC_S7_SA_S4_SC_SA_PS2_PS6_21rocsparse_index_base_SF_SF_SF_bbb: ; @_ZN9rocsparseL27bsrgemm_fill_wf_per_row_2x2ILj256ELj16ELj32ELj137EllfEEv20rocsparse_direction_T4_S2_PKS2_S4_NS_24const_host_device_scalarIT5_EEPKT3_S4_PKS6_SA_S4_SC_S7_SA_S4_SC_SA_PS2_PS6_21rocsparse_index_base_SF_SF_SF_bbb
; %bb.0:
	s_clause 0x3
	s_load_b32 s12, s[0:1], 0xa8
	s_load_b128 s[24:27], s[0:1], 0x98
	s_load_b64 s[4:5], s[0:1], 0x28
	s_load_b64 s[2:3], s[0:1], 0x60
	s_waitcnt lgkmcnt(0)
	s_bitcmp1_b32 s12, 0
	s_cselect_b32 s13, -1, 0
	s_bitcmp1_b32 s12, 16
	s_cselect_b32 s14, -1, 0
	s_xor_b32 s6, s13, -1
	s_delay_alu instid0(SALU_CYCLE_1) | instskip(NEXT) | instid1(SALU_CYCLE_1)
	s_or_b32 s6, s6, s14
	s_and_b32 vcc_lo, exec_lo, s6
	s_cbranch_vccnz .LBB89_2
; %bb.1:
	s_load_b32 s4, s[4:5], 0x0
	s_waitcnt lgkmcnt(0)
	v_mov_b32_e32 v22, s4
	s_branch .LBB89_3
.LBB89_2:
	v_cndmask_b32_e64 v22, 0, s4, s13
.LBB89_3:
	s_clause 0x4
	s_load_b128 s[28:31], s[0:1], 0x88
	s_load_b256 s[4:11], s[0:1], 0x68
	s_load_b128 s[40:43], s[0:1], 0x50
	s_load_b128 s[44:47], s[0:1], 0x18
	s_load_b256 s[16:23], s[0:1], 0x30
	s_bitcmp1_b32 s12, 8
	s_cselect_b32 s12, -1, 0
	s_delay_alu instid0(SALU_CYCLE_1) | instskip(NEXT) | instid1(SALU_CYCLE_1)
	s_xor_b32 s33, s12, -1
	s_or_b32 s14, s33, s14
	s_delay_alu instid0(SALU_CYCLE_1)
	s_and_b32 vcc_lo, exec_lo, s14
	s_cbranch_vccnz .LBB89_5
; %bb.4:
	s_load_b32 s2, s[2:3], 0x0
	s_waitcnt lgkmcnt(0)
	v_mov_b32_e32 v20, s2
	s_branch .LBB89_6
.LBB89_5:
	v_cndmask_b32_e64 v20, 0, s2, s12
.LBB89_6:
	s_load_b128 s[36:39], s[0:1], 0x8
	v_lshrrev_b32_e32 v2, 4, v0
	v_and_b32_e32 v19, 15, v0
	s_mov_b32 s2, 0
	s_delay_alu instid0(VALU_DEP_2) | instskip(NEXT) | instid1(VALU_DEP_2)
	v_lshlrev_b32_e32 v0, 8, v2
	v_lshlrev_b32_e32 v1, 3, v19
	s_delay_alu instid0(VALU_DEP_1) | instskip(SKIP_1) | instid1(VALU_DEP_1)
	v_or3_b32 v16, v0, v1, 0x2000
	s_waitcnt lgkmcnt(0)
	v_dual_mov_b32 v3, v16 :: v_dual_mov_b32 v0, s38
	v_or_b32_e32 v17, -16, v19
	s_delay_alu instid0(VALU_DEP_1)
	v_dual_mov_b32 v1, s39 :: v_dual_mov_b32 v4, v17
.LBB89_7:                               ; =>This Inner Loop Header: Depth=1
	s_delay_alu instid0(VALU_DEP_1) | instskip(NEXT) | instid1(VALU_DEP_1)
	v_add_co_u32 v4, s3, v4, 16
	s_xor_b32 s3, s3, -1
	ds_store_b64 v3, v[0:1]
	v_add_nc_u32_e32 v3, 0x80, v3
	s_and_b32 s3, exec_lo, s3
	s_delay_alu instid0(SALU_CYCLE_1) | instskip(NEXT) | instid1(SALU_CYCLE_1)
	s_or_b32 s2, s3, s2
	s_and_not1_b32 exec_lo, exec_lo, s2
	s_cbranch_execnz .LBB89_7
; %bb.8:
	s_or_b32 exec_lo, exec_lo, s2
	v_dual_mov_b32 v0, 0 :: v_dual_lshlrev_b32 v21, 9, v2
	v_mov_b32_e32 v3, v17
	s_mov_b32 s2, 0
	s_delay_alu instid0(VALU_DEP_2)
	v_lshl_or_b32 v1, v19, 2, v21
.LBB89_9:                               ; =>This Inner Loop Header: Depth=1
	s_delay_alu instid0(VALU_DEP_2) | instskip(SKIP_4) | instid1(SALU_CYCLE_1)
	v_add_nc_u32_e32 v3, 16, v3
	ds_store_b32 v1, v0
	v_add_nc_u32_e32 v1, 64, v1
	v_cmp_lt_u32_e32 vcc_lo, 0x6f, v3
	s_or_b32 s2, vcc_lo, s2
	s_and_not1_b32 exec_lo, exec_lo, s2
	s_cbranch_execnz .LBB89_9
; %bb.10:
	s_or_b32 exec_lo, exec_lo, s2
	v_lshl_or_b32 v0, s15, 4, v2
	v_mov_b32_e32 v1, 0
	s_waitcnt lgkmcnt(0)
	s_barrier
	buffer_gl0_inv
	s_mov_b32 s2, exec_lo
	v_cmpx_gt_i64_e64 s[36:37], v[0:1]
	s_cbranch_execz .LBB89_126
; %bb.11:
	s_cmp_eq_u64 s[46:47], 0
	s_cbranch_scc1 .LBB89_13
; %bb.12:
	s_load_b64 s[2:3], s[44:45], 0x0
	v_lshlrev_b64 v[0:1], 3, v[0:1]
	s_waitcnt lgkmcnt(0)
	s_lshl_b64 s[2:3], s[2:3], 3
	s_delay_alu instid0(SALU_CYCLE_1) | instskip(SKIP_1) | instid1(VALU_DEP_1)
	s_add_u32 s2, s46, s2
	s_addc_u32 s3, s47, s3
	v_add_co_u32 v0, vcc_lo, s2, v0
	v_add_co_ci_u32_e32 v1, vcc_lo, s3, v1, vcc_lo
	global_load_b64 v[0:1], v[0:1], off
.LBB89_13:
	s_load_b32 s0, s[0:1], 0x0
	s_waitcnt vmcnt(0)
	v_lshlrev_b64 v[4:5], 3, v[0:1]
	v_lshl_or_b32 v18, v2, 8, 0x2000
	s_and_not1_b32 vcc_lo, exec_lo, s13
	s_cbranch_vccnz .LBB89_69
; %bb.14:
	s_delay_alu instid0(VALU_DEP_2) | instskip(NEXT) | instid1(VALU_DEP_3)
	v_add_co_u32 v0, vcc_lo, s16, v4
	v_add_co_ci_u32_e32 v1, vcc_lo, s17, v5, vcc_lo
	v_sub_co_u32 v8, s1, v19, s24
	s_delay_alu instid0(VALU_DEP_1)
	v_sub_co_ci_u32_e64 v9, null, 0, 0, s1
	global_load_b128 v[0:3], v[0:1], off
	s_mov_b32 s2, 0
	s_mov_b32 s1, exec_lo
	s_waitcnt vmcnt(0)
	v_sub_co_u32 v6, vcc_lo, v2, s24
	v_subrev_co_ci_u32_e32 v7, vcc_lo, 0, v3, vcc_lo
	v_add_co_u32 v8, vcc_lo, v0, v8
	v_add_co_ci_u32_e32 v9, vcc_lo, v1, v9, vcc_lo
	s_delay_alu instid0(VALU_DEP_1)
	v_cmpx_lt_i64_e64 v[8:9], v[6:7]
	s_cbranch_execz .LBB89_68
; %bb.15:
	s_waitcnt lgkmcnt(0)
	s_cmp_eq_u32 s0, 0
	s_mov_b32 s3, s25
	s_cselect_b32 s13, 1, 2
	s_cselect_b32 s14, 2, 1
	s_branch .LBB89_17
.LBB89_16:                              ;   in Loop: Header=BB89_17 Depth=1
	s_or_b32 exec_lo, exec_lo, s15
	v_add_co_u32 v8, vcc_lo, v8, 16
	v_add_co_ci_u32_e32 v9, vcc_lo, 0, v9, vcc_lo
	s_delay_alu instid0(VALU_DEP_1) | instskip(SKIP_1) | instid1(SALU_CYCLE_1)
	v_cmp_ge_i64_e32 vcc_lo, v[8:9], v[6:7]
	s_or_b32 s2, vcc_lo, s2
	s_and_not1_b32 exec_lo, exec_lo, s2
	s_cbranch_execz .LBB89_68
.LBB89_17:                              ; =>This Loop Header: Depth=1
                                        ;     Child Loop BB89_20 Depth 2
                                        ;       Child Loop BB89_22 Depth 3
                                        ;       Child Loop BB89_34 Depth 3
	;; [unrolled: 1-line block ×4, first 2 shown]
	v_lshlrev_b64 v[0:1], 3, v[8:9]
	s_mov_b32 s15, exec_lo
	s_delay_alu instid0(VALU_DEP_1) | instskip(NEXT) | instid1(VALU_DEP_2)
	v_add_co_u32 v0, vcc_lo, s18, v0
	v_add_co_ci_u32_e32 v1, vcc_lo, s19, v1, vcc_lo
	global_load_b64 v[0:1], v[0:1], off
	s_waitcnt vmcnt(0)
	v_sub_co_u32 v0, vcc_lo, v0, s24
	v_subrev_co_ci_u32_e32 v1, vcc_lo, 0, v1, vcc_lo
	s_delay_alu instid0(VALU_DEP_1) | instskip(NEXT) | instid1(VALU_DEP_1)
	v_lshlrev_b64 v[0:1], 3, v[0:1]
	v_add_co_u32 v0, vcc_lo, s22, v0
	s_delay_alu instid0(VALU_DEP_2)
	v_add_co_ci_u32_e32 v1, vcc_lo, s23, v1, vcc_lo
	global_load_b128 v[0:3], v[0:1], off
	s_waitcnt vmcnt(0)
	v_cmpx_lt_i64_e64 v[0:1], v[2:3]
	s_cbranch_execz .LBB89_16
; %bb.18:                               ;   in Loop: Header=BB89_17 Depth=1
	v_lshlrev_b64 v[10:11], 2, v[8:9]
	v_lshlrev_b64 v[14:15], 4, v[8:9]
	s_mov_b32 s16, 0
	s_delay_alu instid0(VALU_DEP_2) | instskip(NEXT) | instid1(VALU_DEP_3)
	v_or_b32_e32 v13, 0, v11
	v_or_b32_e32 v12, s14, v10
	;; [unrolled: 1-line block ×4, first 2 shown]
	v_add_co_u32 v14, vcc_lo, s20, v14
	s_delay_alu instid0(VALU_DEP_4) | instskip(SKIP_1) | instid1(VALU_DEP_4)
	v_lshlrev_b64 v[12:13], 2, v[12:13]
	v_add_co_ci_u32_e32 v15, vcc_lo, s21, v15, vcc_lo
	v_lshlrev_b64 v[10:11], 2, v[10:11]
	s_delay_alu instid0(VALU_DEP_3) | instskip(NEXT) | instid1(VALU_DEP_4)
	v_add_co_u32 v12, vcc_lo, s20, v12
	v_add_co_ci_u32_e32 v13, vcc_lo, s21, v13, vcc_lo
	s_delay_alu instid0(VALU_DEP_3) | instskip(NEXT) | instid1(VALU_DEP_4)
	v_add_co_u32 v10, vcc_lo, s20, v10
	v_add_co_ci_u32_e32 v11, vcc_lo, s21, v11, vcc_lo
	s_clause 0x3
	global_load_b32 v23, v[14:15], off offset:12
	global_load_b32 v12, v[12:13], off
	global_load_b32 v10, v[10:11], off
	;; [unrolled: 1-line block ×3, first 2 shown]
	v_sub_co_u32 v2, vcc_lo, v2, s3
	v_subrev_co_ci_u32_e32 v3, vcc_lo, 0, v3, vcc_lo
	v_sub_co_u32 v0, vcc_lo, v0, s3
	v_subrev_co_ci_u32_e32 v1, vcc_lo, 0, v1, vcc_lo
	s_waitcnt vmcnt(3)
	v_mul_f32_e32 v23, v22, v23
	s_waitcnt vmcnt(2)
	v_mul_f32_e32 v24, v22, v12
	;; [unrolled: 2-line block ×4, first 2 shown]
	s_branch .LBB89_20
.LBB89_19:                              ;   in Loop: Header=BB89_20 Depth=2
	s_or_b32 exec_lo, exec_lo, s17
	v_add_co_u32 v0, vcc_lo, v0, 1
	v_add_co_ci_u32_e32 v1, vcc_lo, 0, v1, vcc_lo
	s_delay_alu instid0(VALU_DEP_1) | instskip(SKIP_1) | instid1(SALU_CYCLE_1)
	v_cmp_ge_i64_e32 vcc_lo, v[0:1], v[2:3]
	s_or_b32 s16, vcc_lo, s16
	s_and_not1_b32 exec_lo, exec_lo, s16
	s_cbranch_execz .LBB89_16
.LBB89_20:                              ;   Parent Loop BB89_17 Depth=1
                                        ; =>  This Loop Header: Depth=2
                                        ;       Child Loop BB89_22 Depth 3
                                        ;       Child Loop BB89_34 Depth 3
	;; [unrolled: 1-line block ×4, first 2 shown]
	v_lshlrev_b64 v[10:11], 2, v[0:1]
	v_lshlrev_b64 v[12:13], 3, v[0:1]
	v_lshlrev_b64 v[27:28], 4, v[0:1]
	s_mov_b32 s17, 0
	s_delay_alu instid0(VALU_DEP_3) | instskip(NEXT) | instid1(VALU_DEP_4)
	v_or_b32_e32 v15, 0, v11
	v_or_b32_e32 v14, s13, v10
	;; [unrolled: 1-line block ×4, first 2 shown]
	v_add_co_u32 v12, vcc_lo, s40, v12
	v_add_co_ci_u32_e32 v13, vcc_lo, s41, v13, vcc_lo
	s_delay_alu instid0(VALU_DEP_3)
	v_lshlrev_b64 v[10:11], 2, v[10:11]
	v_lshlrev_b64 v[14:15], 2, v[14:15]
	global_load_b64 v[12:13], v[12:13], off
	v_add_co_u32 v10, vcc_lo, s42, v10
	v_add_co_ci_u32_e32 v11, vcc_lo, s43, v11, vcc_lo
	v_add_co_u32 v31, vcc_lo, s42, v27
	v_add_co_ci_u32_e32 v32, vcc_lo, s43, v28, vcc_lo
	global_load_b32 v29, v[10:11], off
	v_add_co_u32 v10, vcc_lo, s42, v14
	v_add_co_ci_u32_e32 v11, vcc_lo, s43, v15, vcc_lo
	s_clause 0x2
	global_load_b32 v30, v[31:32], off
	global_load_b32 v27, v[10:11], off
	global_load_b32 v28, v[31:32], off offset:12
	s_waitcnt vmcnt(4)
	v_sub_co_u32 v10, vcc_lo, v12, s3
	v_subrev_co_ci_u32_e32 v11, vcc_lo, 0, v13, vcc_lo
	s_delay_alu instid0(VALU_DEP_2) | instskip(SKIP_1) | instid1(VALU_DEP_1)
	v_lshl_add_u32 v12, v10, 3, v10
	s_waitcnt vmcnt(3)
	v_dual_mul_f32 v31, v26, v29 :: v_dual_and_b32 v12, 31, v12
	v_mov_b32_e32 v14, v13
	s_delay_alu instid0(VALU_DEP_2) | instskip(SKIP_1) | instid1(VALU_DEP_3)
	v_mov_b32_e32 v13, v12
	s_waitcnt vmcnt(2)
	v_fmac_f32_e32 v31, v25, v30
	s_branch .LBB89_22
.LBB89_21:                              ;   in Loop: Header=BB89_22 Depth=3
	s_or_b32 exec_lo, exec_lo, s25
	s_xor_b32 s25, s33, -1
	s_delay_alu instid0(SALU_CYCLE_1) | instskip(NEXT) | instid1(SALU_CYCLE_1)
	s_and_b32 s25, exec_lo, s25
	s_or_b32 s17, s25, s17
	s_delay_alu instid0(SALU_CYCLE_1)
	s_and_not1_b32 exec_lo, exec_lo, s17
	s_cbranch_execz .LBB89_32
.LBB89_22:                              ;   Parent Loop BB89_17 Depth=1
                                        ;     Parent Loop BB89_20 Depth=2
                                        ; =>    This Inner Loop Header: Depth=3
	s_delay_alu instid0(VALU_DEP_2)
	v_lshl_add_u32 v32, v13, 3, v18
	s_mov_b32 s25, exec_lo
                                        ; implicit-def: $sgpr33
	ds_load_b64 v[14:15], v32
	s_waitcnt lgkmcnt(0)
	v_cmpx_ne_u64_e64 v[14:15], v[10:11]
	s_xor_b32 s25, exec_lo, s25
	s_cbranch_execz .LBB89_30
; %bb.23:                               ;   in Loop: Header=BB89_22 Depth=3
	s_mov_b32 s34, exec_lo
                                        ; implicit-def: $sgpr33
	v_cmpx_ne_u64_e64 s[38:39], v[14:15]
	s_xor_b32 s34, exec_lo, s34
; %bb.24:                               ;   in Loop: Header=BB89_22 Depth=3
	v_add_nc_u32_e32 v13, 1, v13
	s_mov_b32 s33, -1
                                        ; implicit-def: $vgpr32
	s_delay_alu instid0(VALU_DEP_1)
	v_and_b32_e32 v13, 31, v13
; %bb.25:                               ;   in Loop: Header=BB89_22 Depth=3
	s_and_not1_saveexec_b32 s34, s34
	s_cbranch_execz .LBB89_29
; %bb.26:                               ;   in Loop: Header=BB89_22 Depth=3
	v_dual_mov_b32 v14, s38 :: v_dual_mov_b32 v15, s39
	s_mov_b32 s35, -1
	s_mov_b32 s36, exec_lo
	ds_cmpstore_rtn_b64 v[14:15], v32, v[10:11], v[14:15]
	s_waitcnt lgkmcnt(0)
	v_cmpx_eq_u64_e64 s[38:39], v[14:15]
	s_cbranch_execz .LBB89_28
; %bb.27:                               ;   in Loop: Header=BB89_22 Depth=3
	v_lshl_add_u32 v14, v13, 4, v21
	s_xor_b32 s35, exec_lo, -1
	ds_add_f32 v14, v31
.LBB89_28:                              ;   in Loop: Header=BB89_22 Depth=3
	s_or_b32 exec_lo, exec_lo, s36
	s_delay_alu instid0(SALU_CYCLE_1) | instskip(SKIP_1) | instid1(SALU_CYCLE_1)
	s_and_not1_b32 s33, s33, exec_lo
	s_and_b32 s35, s35, exec_lo
	s_or_b32 s33, s33, s35
.LBB89_29:                              ;   in Loop: Header=BB89_22 Depth=3
	s_or_b32 exec_lo, exec_lo, s34
	s_delay_alu instid0(SALU_CYCLE_1)
	s_and_b32 s33, s33, exec_lo
.LBB89_30:                              ;   in Loop: Header=BB89_22 Depth=3
	s_and_not1_saveexec_b32 s25, s25
	s_cbranch_execz .LBB89_21
; %bb.31:                               ;   in Loop: Header=BB89_22 Depth=3
	v_lshl_add_u32 v14, v13, 4, v21
	s_and_not1_b32 s33, s33, exec_lo
	ds_add_f32 v14, v31
	s_branch .LBB89_21
.LBB89_32:                              ;   in Loop: Header=BB89_20 Depth=2
	s_or_b32 exec_lo, exec_lo, s17
	s_waitcnt vmcnt(0)
	v_dual_mul_f32 v31, v26, v28 :: v_dual_mov_b32 v14, v13
	v_mov_b32_e32 v13, v12
	s_mov_b32 s17, 0
	s_delay_alu instid0(VALU_DEP_2)
	v_fmac_f32_e32 v31, v25, v27
	s_branch .LBB89_34
.LBB89_33:                              ;   in Loop: Header=BB89_34 Depth=3
	s_or_b32 exec_lo, exec_lo, s25
	s_xor_b32 s25, s33, -1
	s_delay_alu instid0(SALU_CYCLE_1) | instskip(NEXT) | instid1(SALU_CYCLE_1)
	s_and_b32 s25, exec_lo, s25
	s_or_b32 s17, s25, s17
	s_delay_alu instid0(SALU_CYCLE_1)
	s_and_not1_b32 exec_lo, exec_lo, s17
	s_cbranch_execz .LBB89_44
.LBB89_34:                              ;   Parent Loop BB89_17 Depth=1
                                        ;     Parent Loop BB89_20 Depth=2
                                        ; =>    This Inner Loop Header: Depth=3
	s_delay_alu instid0(VALU_DEP_2)
	v_lshl_add_u32 v32, v13, 3, v18
	s_mov_b32 s25, exec_lo
                                        ; implicit-def: $sgpr33
	ds_load_b64 v[14:15], v32
	s_waitcnt lgkmcnt(0)
	v_cmpx_ne_u64_e64 v[14:15], v[10:11]
	s_xor_b32 s25, exec_lo, s25
	s_cbranch_execz .LBB89_42
; %bb.35:                               ;   in Loop: Header=BB89_34 Depth=3
	s_mov_b32 s34, exec_lo
                                        ; implicit-def: $sgpr33
	v_cmpx_ne_u64_e64 s[38:39], v[14:15]
	s_xor_b32 s34, exec_lo, s34
; %bb.36:                               ;   in Loop: Header=BB89_34 Depth=3
	v_add_nc_u32_e32 v13, 1, v13
	s_mov_b32 s33, -1
                                        ; implicit-def: $vgpr32
	s_delay_alu instid0(VALU_DEP_1)
	v_and_b32_e32 v13, 31, v13
; %bb.37:                               ;   in Loop: Header=BB89_34 Depth=3
	s_and_not1_saveexec_b32 s34, s34
	s_cbranch_execz .LBB89_41
; %bb.38:                               ;   in Loop: Header=BB89_34 Depth=3
	v_dual_mov_b32 v14, s38 :: v_dual_mov_b32 v15, s39
	s_mov_b32 s35, -1
	s_mov_b32 s36, exec_lo
	ds_cmpstore_rtn_b64 v[14:15], v32, v[10:11], v[14:15]
	s_waitcnt lgkmcnt(0)
	v_cmpx_eq_u64_e64 s[38:39], v[14:15]
	s_cbranch_execz .LBB89_40
; %bb.39:                               ;   in Loop: Header=BB89_34 Depth=3
	v_lshl_add_u32 v14, v13, 4, v21
	s_xor_b32 s35, exec_lo, -1
	ds_add_f32 v14, v31 offset:4
.LBB89_40:                              ;   in Loop: Header=BB89_34 Depth=3
	s_or_b32 exec_lo, exec_lo, s36
	s_delay_alu instid0(SALU_CYCLE_1) | instskip(SKIP_1) | instid1(SALU_CYCLE_1)
	s_and_not1_b32 s33, s33, exec_lo
	s_and_b32 s35, s35, exec_lo
	s_or_b32 s33, s33, s35
.LBB89_41:                              ;   in Loop: Header=BB89_34 Depth=3
	s_or_b32 exec_lo, exec_lo, s34
	s_delay_alu instid0(SALU_CYCLE_1)
	s_and_b32 s33, s33, exec_lo
.LBB89_42:                              ;   in Loop: Header=BB89_34 Depth=3
	s_and_not1_saveexec_b32 s25, s25
	s_cbranch_execz .LBB89_33
; %bb.43:                               ;   in Loop: Header=BB89_34 Depth=3
	v_lshl_add_u32 v14, v13, 4, v21
	s_and_not1_b32 s33, s33, exec_lo
	ds_add_f32 v14, v31 offset:4
	s_branch .LBB89_33
.LBB89_44:                              ;   in Loop: Header=BB89_20 Depth=2
	s_or_b32 exec_lo, exec_lo, s17
	v_dual_mul_f32 v29, v23, v29 :: v_dual_mov_b32 v14, v13
	v_mov_b32_e32 v13, v12
	s_mov_b32 s17, 0
	s_delay_alu instid0(VALU_DEP_2)
	v_fmac_f32_e32 v29, v24, v30
	s_branch .LBB89_46
.LBB89_45:                              ;   in Loop: Header=BB89_46 Depth=3
	s_or_b32 exec_lo, exec_lo, s25
	s_xor_b32 s25, s33, -1
	s_delay_alu instid0(SALU_CYCLE_1) | instskip(NEXT) | instid1(SALU_CYCLE_1)
	s_and_b32 s25, exec_lo, s25
	s_or_b32 s17, s25, s17
	s_delay_alu instid0(SALU_CYCLE_1)
	s_and_not1_b32 exec_lo, exec_lo, s17
	s_cbranch_execz .LBB89_56
.LBB89_46:                              ;   Parent Loop BB89_17 Depth=1
                                        ;     Parent Loop BB89_20 Depth=2
                                        ; =>    This Inner Loop Header: Depth=3
	s_delay_alu instid0(VALU_DEP_2)
	v_lshl_add_u32 v30, v13, 3, v18
	s_mov_b32 s25, exec_lo
                                        ; implicit-def: $sgpr33
	ds_load_b64 v[14:15], v30
	s_waitcnt lgkmcnt(0)
	v_cmpx_ne_u64_e64 v[14:15], v[10:11]
	s_xor_b32 s25, exec_lo, s25
	s_cbranch_execz .LBB89_54
; %bb.47:                               ;   in Loop: Header=BB89_46 Depth=3
	s_mov_b32 s34, exec_lo
                                        ; implicit-def: $sgpr33
	v_cmpx_ne_u64_e64 s[38:39], v[14:15]
	s_xor_b32 s34, exec_lo, s34
; %bb.48:                               ;   in Loop: Header=BB89_46 Depth=3
	v_add_nc_u32_e32 v13, 1, v13
	s_mov_b32 s33, -1
                                        ; implicit-def: $vgpr30
	s_delay_alu instid0(VALU_DEP_1)
	v_and_b32_e32 v13, 31, v13
; %bb.49:                               ;   in Loop: Header=BB89_46 Depth=3
	s_and_not1_saveexec_b32 s34, s34
	s_cbranch_execz .LBB89_53
; %bb.50:                               ;   in Loop: Header=BB89_46 Depth=3
	v_dual_mov_b32 v14, s38 :: v_dual_mov_b32 v15, s39
	s_mov_b32 s35, -1
	s_mov_b32 s36, exec_lo
	ds_cmpstore_rtn_b64 v[14:15], v30, v[10:11], v[14:15]
	s_waitcnt lgkmcnt(0)
	v_cmpx_eq_u64_e64 s[38:39], v[14:15]
	s_cbranch_execz .LBB89_52
; %bb.51:                               ;   in Loop: Header=BB89_46 Depth=3
	v_lshl_add_u32 v14, v13, 4, v21
	s_xor_b32 s35, exec_lo, -1
	ds_add_f32 v14, v29 offset:8
.LBB89_52:                              ;   in Loop: Header=BB89_46 Depth=3
	s_or_b32 exec_lo, exec_lo, s36
	s_delay_alu instid0(SALU_CYCLE_1) | instskip(SKIP_1) | instid1(SALU_CYCLE_1)
	s_and_not1_b32 s33, s33, exec_lo
	s_and_b32 s35, s35, exec_lo
	s_or_b32 s33, s33, s35
.LBB89_53:                              ;   in Loop: Header=BB89_46 Depth=3
	s_or_b32 exec_lo, exec_lo, s34
	s_delay_alu instid0(SALU_CYCLE_1)
	s_and_b32 s33, s33, exec_lo
.LBB89_54:                              ;   in Loop: Header=BB89_46 Depth=3
	s_and_not1_saveexec_b32 s25, s25
	s_cbranch_execz .LBB89_45
; %bb.55:                               ;   in Loop: Header=BB89_46 Depth=3
	v_lshl_add_u32 v14, v13, 4, v21
	s_and_not1_b32 s33, s33, exec_lo
	ds_add_f32 v14, v29 offset:8
	s_branch .LBB89_45
.LBB89_56:                              ;   in Loop: Header=BB89_20 Depth=2
	s_or_b32 exec_lo, exec_lo, s17
	v_mul_f32_e32 v15, v23, v28
	s_mov_b32 s17, 0
	s_delay_alu instid0(VALU_DEP_1)
	v_fmac_f32_e32 v15, v24, v27
	s_branch .LBB89_58
.LBB89_57:                              ;   in Loop: Header=BB89_58 Depth=3
	s_or_b32 exec_lo, exec_lo, s25
	s_xor_b32 s25, s33, -1
	s_delay_alu instid0(SALU_CYCLE_1) | instskip(NEXT) | instid1(SALU_CYCLE_1)
	s_and_b32 s25, exec_lo, s25
	s_or_b32 s17, s25, s17
	s_delay_alu instid0(SALU_CYCLE_1)
	s_and_not1_b32 exec_lo, exec_lo, s17
	s_cbranch_execz .LBB89_19
.LBB89_58:                              ;   Parent Loop BB89_17 Depth=1
                                        ;     Parent Loop BB89_20 Depth=2
                                        ; =>    This Inner Loop Header: Depth=3
	v_lshl_add_u32 v27, v12, 3, v18
	s_mov_b32 s25, exec_lo
                                        ; implicit-def: $sgpr33
	ds_load_b64 v[13:14], v27
	s_waitcnt lgkmcnt(0)
	v_cmpx_ne_u64_e64 v[13:14], v[10:11]
	s_xor_b32 s25, exec_lo, s25
	s_cbranch_execz .LBB89_66
; %bb.59:                               ;   in Loop: Header=BB89_58 Depth=3
	s_mov_b32 s34, exec_lo
                                        ; implicit-def: $sgpr33
	v_cmpx_ne_u64_e64 s[38:39], v[13:14]
	s_xor_b32 s34, exec_lo, s34
; %bb.60:                               ;   in Loop: Header=BB89_58 Depth=3
	v_add_nc_u32_e32 v12, 1, v12
	s_mov_b32 s33, -1
                                        ; implicit-def: $vgpr27
	s_delay_alu instid0(VALU_DEP_1)
	v_and_b32_e32 v12, 31, v12
; %bb.61:                               ;   in Loop: Header=BB89_58 Depth=3
	s_and_not1_saveexec_b32 s34, s34
	s_cbranch_execz .LBB89_65
; %bb.62:                               ;   in Loop: Header=BB89_58 Depth=3
	v_dual_mov_b32 v13, s38 :: v_dual_mov_b32 v14, s39
	s_mov_b32 s35, -1
	s_mov_b32 s36, exec_lo
	ds_cmpstore_rtn_b64 v[13:14], v27, v[10:11], v[13:14]
	s_waitcnt lgkmcnt(0)
	v_cmpx_eq_u64_e64 s[38:39], v[13:14]
	s_cbranch_execz .LBB89_64
; %bb.63:                               ;   in Loop: Header=BB89_58 Depth=3
	v_lshl_add_u32 v13, v12, 4, v21
	s_xor_b32 s35, exec_lo, -1
	ds_add_f32 v13, v15 offset:12
.LBB89_64:                              ;   in Loop: Header=BB89_58 Depth=3
	s_or_b32 exec_lo, exec_lo, s36
	s_delay_alu instid0(SALU_CYCLE_1) | instskip(SKIP_1) | instid1(SALU_CYCLE_1)
	s_and_not1_b32 s33, s33, exec_lo
	s_and_b32 s35, s35, exec_lo
	s_or_b32 s33, s33, s35
.LBB89_65:                              ;   in Loop: Header=BB89_58 Depth=3
	s_or_b32 exec_lo, exec_lo, s34
	s_delay_alu instid0(SALU_CYCLE_1)
	s_and_b32 s33, s33, exec_lo
.LBB89_66:                              ;   in Loop: Header=BB89_58 Depth=3
	s_and_not1_saveexec_b32 s25, s25
	s_cbranch_execz .LBB89_57
; %bb.67:                               ;   in Loop: Header=BB89_58 Depth=3
	v_lshl_add_u32 v13, v12, 4, v21
	s_and_not1_b32 s33, s33, exec_lo
	ds_add_f32 v13, v15 offset:12
	s_branch .LBB89_57
.LBB89_68:
	s_or_b32 exec_lo, exec_lo, s1
.LBB89_69:
	s_delay_alu instid0(SALU_CYCLE_1)
	s_and_not1_b32 vcc_lo, exec_lo, s12
	s_waitcnt lgkmcnt(0)
	buffer_gl0_inv
	s_cbranch_vccnz .LBB89_122
; %bb.70:
	v_add_co_u32 v0, vcc_lo, s4, v4
	v_add_co_ci_u32_e32 v1, vcc_lo, s5, v5, vcc_lo
	v_sub_co_u32 v2, s1, v19, s27
	s_delay_alu instid0(VALU_DEP_1)
	v_sub_co_ci_u32_e64 v3, null, 0, 0, s1
	global_load_b128 v[6:9], v[0:1], off
	s_mov_b32 s1, 0
	s_mov_b32 s2, exec_lo
	s_waitcnt vmcnt(0)
	v_sub_co_u32 v0, vcc_lo, v8, s27
	v_subrev_co_ci_u32_e32 v1, vcc_lo, 0, v9, vcc_lo
	v_add_co_u32 v2, vcc_lo, v6, v2
	v_add_co_ci_u32_e32 v3, vcc_lo, v7, v3, vcc_lo
	s_delay_alu instid0(VALU_DEP_1)
	v_cmpx_lt_i64_e64 v[2:3], v[0:1]
	s_cbranch_execz .LBB89_121
; %bb.71:
	s_cmp_eq_u32 s0, 0
	s_mov_b32 s3, s27
	s_cselect_b32 s4, 1, 2
	s_cselect_b32 s5, 2, 1
	s_branch .LBB89_73
.LBB89_72:                              ;   in Loop: Header=BB89_73 Depth=1
	s_or_b32 exec_lo, exec_lo, s12
	v_add_co_u32 v2, vcc_lo, v2, 16
	v_add_co_ci_u32_e32 v3, vcc_lo, 0, v3, vcc_lo
	s_delay_alu instid0(VALU_DEP_1) | instskip(SKIP_1) | instid1(SALU_CYCLE_1)
	v_cmp_ge_i64_e32 vcc_lo, v[2:3], v[0:1]
	s_or_b32 s1, vcc_lo, s1
	s_and_not1_b32 exec_lo, exec_lo, s1
	s_cbranch_execz .LBB89_121
.LBB89_73:                              ; =>This Loop Header: Depth=1
                                        ;     Child Loop BB89_75 Depth 2
                                        ;     Child Loop BB89_87 Depth 2
	;; [unrolled: 1-line block ×4, first 2 shown]
	v_lshlrev_b64 v[6:7], 2, v[2:3]
	v_lshlrev_b64 v[8:9], 3, v[2:3]
	;; [unrolled: 1-line block ×3, first 2 shown]
	s_mov_b32 s12, 0
	s_delay_alu instid0(VALU_DEP_3) | instskip(SKIP_1) | instid1(VALU_DEP_4)
	v_or_b32_e32 v12, 0, v7
	v_or_b32_e32 v14, 0, v7
	v_add_co_u32 v7, vcc_lo, s6, v8
	v_add_co_ci_u32_e32 v8, vcc_lo, s7, v9, vcc_lo
	v_or_b32_e32 v13, s5, v6
	v_add_co_u32 v9, vcc_lo, s8, v10
	global_load_b64 v[7:8], v[7:8], off
	v_add_co_ci_u32_e32 v10, vcc_lo, s9, v11, vcc_lo
	v_or_b32_e32 v11, s4, v6
	v_lshlrev_b64 v[13:14], 2, v[13:14]
	global_load_b32 v15, v[9:10], off
	v_lshlrev_b64 v[11:12], 2, v[11:12]
	v_add_co_u32 v13, vcc_lo, s8, v13
	v_add_co_ci_u32_e32 v14, vcc_lo, s9, v14, vcc_lo
	s_delay_alu instid0(VALU_DEP_3) | instskip(NEXT) | instid1(VALU_DEP_4)
	v_add_co_u32 v11, vcc_lo, s8, v11
	v_add_co_ci_u32_e32 v12, vcc_lo, s9, v12, vcc_lo
	s_clause 0x2
	global_load_b32 v13, v[13:14], off
	global_load_b32 v14, v[11:12], off
	global_load_b32 v12, v[9:10], off offset:12
	s_waitcnt vmcnt(4)
	v_sub_co_u32 v6, vcc_lo, v7, s3
	v_subrev_co_ci_u32_e32 v7, vcc_lo, 0, v8, vcc_lo
	s_delay_alu instid0(VALU_DEP_2) | instskip(SKIP_1) | instid1(VALU_DEP_1)
	v_lshl_add_u32 v8, v6, 3, v6
	s_waitcnt vmcnt(3)
	v_dual_mul_f32 v15, v20, v15 :: v_dual_and_b32 v8, 31, v8
	v_mov_b32_e32 v10, v9
	s_delay_alu instid0(VALU_DEP_2)
	v_mov_b32_e32 v9, v8
	s_branch .LBB89_75
.LBB89_74:                              ;   in Loop: Header=BB89_75 Depth=2
	s_or_b32 exec_lo, exec_lo, s13
	s_xor_b32 s13, s14, -1
	s_delay_alu instid0(SALU_CYCLE_1) | instskip(NEXT) | instid1(SALU_CYCLE_1)
	s_and_b32 s13, exec_lo, s13
	s_or_b32 s12, s13, s12
	s_delay_alu instid0(SALU_CYCLE_1)
	s_and_not1_b32 exec_lo, exec_lo, s12
	s_cbranch_execz .LBB89_85
.LBB89_75:                              ;   Parent Loop BB89_73 Depth=1
                                        ; =>  This Inner Loop Header: Depth=2
	s_delay_alu instid0(VALU_DEP_1)
	v_lshl_add_u32 v22, v9, 3, v18
	s_mov_b32 s13, exec_lo
                                        ; implicit-def: $sgpr14
	ds_load_b64 v[10:11], v22
	s_waitcnt lgkmcnt(0)
	v_cmpx_ne_u64_e64 v[10:11], v[6:7]
	s_xor_b32 s13, exec_lo, s13
	s_cbranch_execz .LBB89_83
; %bb.76:                               ;   in Loop: Header=BB89_75 Depth=2
	s_mov_b32 s15, exec_lo
                                        ; implicit-def: $sgpr14
	v_cmpx_ne_u64_e64 s[38:39], v[10:11]
	s_xor_b32 s15, exec_lo, s15
; %bb.77:                               ;   in Loop: Header=BB89_75 Depth=2
	v_add_nc_u32_e32 v9, 1, v9
	s_mov_b32 s14, -1
                                        ; implicit-def: $vgpr22
	s_delay_alu instid0(VALU_DEP_1)
	v_and_b32_e32 v9, 31, v9
; %bb.78:                               ;   in Loop: Header=BB89_75 Depth=2
	s_and_not1_saveexec_b32 s15, s15
	s_cbranch_execz .LBB89_82
; %bb.79:                               ;   in Loop: Header=BB89_75 Depth=2
	v_dual_mov_b32 v10, s38 :: v_dual_mov_b32 v11, s39
	s_mov_b32 s16, -1
	s_mov_b32 s17, exec_lo
	ds_cmpstore_rtn_b64 v[10:11], v22, v[6:7], v[10:11]
	s_waitcnt lgkmcnt(0)
	v_cmpx_eq_u64_e64 s[38:39], v[10:11]
	s_cbranch_execz .LBB89_81
; %bb.80:                               ;   in Loop: Header=BB89_75 Depth=2
	v_lshl_add_u32 v10, v9, 4, v21
	s_xor_b32 s16, exec_lo, -1
	ds_add_f32 v10, v15
.LBB89_81:                              ;   in Loop: Header=BB89_75 Depth=2
	s_or_b32 exec_lo, exec_lo, s17
	s_delay_alu instid0(SALU_CYCLE_1) | instskip(SKIP_1) | instid1(SALU_CYCLE_1)
	s_and_not1_b32 s14, s14, exec_lo
	s_and_b32 s16, s16, exec_lo
	s_or_b32 s14, s14, s16
.LBB89_82:                              ;   in Loop: Header=BB89_75 Depth=2
	s_or_b32 exec_lo, exec_lo, s15
	s_delay_alu instid0(SALU_CYCLE_1)
	s_and_b32 s14, s14, exec_lo
.LBB89_83:                              ;   in Loop: Header=BB89_75 Depth=2
	s_and_not1_saveexec_b32 s13, s13
	s_cbranch_execz .LBB89_74
; %bb.84:                               ;   in Loop: Header=BB89_75 Depth=2
	v_lshl_add_u32 v10, v9, 4, v21
	s_and_not1_b32 s14, s14, exec_lo
	ds_add_f32 v10, v15
	s_branch .LBB89_74
.LBB89_85:                              ;   in Loop: Header=BB89_73 Depth=1
	s_or_b32 exec_lo, exec_lo, s12
	v_mov_b32_e32 v10, v9
	s_waitcnt vmcnt(1)
	v_mul_f32_e32 v14, v20, v14
	v_mov_b32_e32 v9, v8
	s_mov_b32 s12, 0
	s_branch .LBB89_87
.LBB89_86:                              ;   in Loop: Header=BB89_87 Depth=2
	s_or_b32 exec_lo, exec_lo, s13
	s_xor_b32 s13, s14, -1
	s_delay_alu instid0(SALU_CYCLE_1) | instskip(NEXT) | instid1(SALU_CYCLE_1)
	s_and_b32 s13, exec_lo, s13
	s_or_b32 s12, s13, s12
	s_delay_alu instid0(SALU_CYCLE_1)
	s_and_not1_b32 exec_lo, exec_lo, s12
	s_cbranch_execz .LBB89_97
.LBB89_87:                              ;   Parent Loop BB89_73 Depth=1
                                        ; =>  This Inner Loop Header: Depth=2
	s_delay_alu instid0(VALU_DEP_1)
	v_lshl_add_u32 v15, v9, 3, v18
	s_mov_b32 s13, exec_lo
                                        ; implicit-def: $sgpr14
	ds_load_b64 v[10:11], v15
	s_waitcnt lgkmcnt(0)
	v_cmpx_ne_u64_e64 v[10:11], v[6:7]
	s_xor_b32 s13, exec_lo, s13
	s_cbranch_execz .LBB89_95
; %bb.88:                               ;   in Loop: Header=BB89_87 Depth=2
	s_mov_b32 s15, exec_lo
                                        ; implicit-def: $sgpr14
	v_cmpx_ne_u64_e64 s[38:39], v[10:11]
	s_xor_b32 s15, exec_lo, s15
; %bb.89:                               ;   in Loop: Header=BB89_87 Depth=2
	v_add_nc_u32_e32 v9, 1, v9
	s_mov_b32 s14, -1
                                        ; implicit-def: $vgpr15
	s_delay_alu instid0(VALU_DEP_1)
	v_and_b32_e32 v9, 31, v9
; %bb.90:                               ;   in Loop: Header=BB89_87 Depth=2
	s_and_not1_saveexec_b32 s15, s15
	s_cbranch_execz .LBB89_94
; %bb.91:                               ;   in Loop: Header=BB89_87 Depth=2
	v_dual_mov_b32 v10, s38 :: v_dual_mov_b32 v11, s39
	s_mov_b32 s16, -1
	s_mov_b32 s17, exec_lo
	ds_cmpstore_rtn_b64 v[10:11], v15, v[6:7], v[10:11]
	s_waitcnt lgkmcnt(0)
	v_cmpx_eq_u64_e64 s[38:39], v[10:11]
	s_cbranch_execz .LBB89_93
; %bb.92:                               ;   in Loop: Header=BB89_87 Depth=2
	v_lshl_add_u32 v10, v9, 4, v21
	s_xor_b32 s16, exec_lo, -1
	ds_add_f32 v10, v14 offset:4
.LBB89_93:                              ;   in Loop: Header=BB89_87 Depth=2
	s_or_b32 exec_lo, exec_lo, s17
	s_delay_alu instid0(SALU_CYCLE_1) | instskip(SKIP_1) | instid1(SALU_CYCLE_1)
	s_and_not1_b32 s14, s14, exec_lo
	s_and_b32 s16, s16, exec_lo
	s_or_b32 s14, s14, s16
.LBB89_94:                              ;   in Loop: Header=BB89_87 Depth=2
	s_or_b32 exec_lo, exec_lo, s15
	s_delay_alu instid0(SALU_CYCLE_1)
	s_and_b32 s14, s14, exec_lo
.LBB89_95:                              ;   in Loop: Header=BB89_87 Depth=2
	s_and_not1_saveexec_b32 s13, s13
	s_cbranch_execz .LBB89_86
; %bb.96:                               ;   in Loop: Header=BB89_87 Depth=2
	v_lshl_add_u32 v10, v9, 4, v21
	s_and_not1_b32 s14, s14, exec_lo
	ds_add_f32 v10, v14 offset:4
	s_branch .LBB89_86
.LBB89_97:                              ;   in Loop: Header=BB89_73 Depth=1
	s_or_b32 exec_lo, exec_lo, s12
	v_dual_mul_f32 v13, v20, v13 :: v_dual_mov_b32 v10, v9
	v_mov_b32_e32 v9, v8
	s_mov_b32 s12, 0
	s_branch .LBB89_99
.LBB89_98:                              ;   in Loop: Header=BB89_99 Depth=2
	s_or_b32 exec_lo, exec_lo, s13
	s_xor_b32 s13, s14, -1
	s_delay_alu instid0(SALU_CYCLE_1) | instskip(NEXT) | instid1(SALU_CYCLE_1)
	s_and_b32 s13, exec_lo, s13
	s_or_b32 s12, s13, s12
	s_delay_alu instid0(SALU_CYCLE_1)
	s_and_not1_b32 exec_lo, exec_lo, s12
	s_cbranch_execz .LBB89_109
.LBB89_99:                              ;   Parent Loop BB89_73 Depth=1
                                        ; =>  This Inner Loop Header: Depth=2
	s_delay_alu instid0(VALU_DEP_1)
	v_lshl_add_u32 v14, v9, 3, v18
	s_mov_b32 s13, exec_lo
                                        ; implicit-def: $sgpr14
	ds_load_b64 v[10:11], v14
	s_waitcnt lgkmcnt(0)
	v_cmpx_ne_u64_e64 v[10:11], v[6:7]
	s_xor_b32 s13, exec_lo, s13
	s_cbranch_execz .LBB89_107
; %bb.100:                              ;   in Loop: Header=BB89_99 Depth=2
	s_mov_b32 s15, exec_lo
                                        ; implicit-def: $sgpr14
	v_cmpx_ne_u64_e64 s[38:39], v[10:11]
	s_xor_b32 s15, exec_lo, s15
; %bb.101:                              ;   in Loop: Header=BB89_99 Depth=2
	v_add_nc_u32_e32 v9, 1, v9
	s_mov_b32 s14, -1
                                        ; implicit-def: $vgpr14
	s_delay_alu instid0(VALU_DEP_1)
	v_and_b32_e32 v9, 31, v9
; %bb.102:                              ;   in Loop: Header=BB89_99 Depth=2
	s_and_not1_saveexec_b32 s15, s15
	s_cbranch_execz .LBB89_106
; %bb.103:                              ;   in Loop: Header=BB89_99 Depth=2
	v_dual_mov_b32 v10, s38 :: v_dual_mov_b32 v11, s39
	s_mov_b32 s16, -1
	s_mov_b32 s17, exec_lo
	ds_cmpstore_rtn_b64 v[10:11], v14, v[6:7], v[10:11]
	s_waitcnt lgkmcnt(0)
	v_cmpx_eq_u64_e64 s[38:39], v[10:11]
	s_cbranch_execz .LBB89_105
; %bb.104:                              ;   in Loop: Header=BB89_99 Depth=2
	v_lshl_add_u32 v10, v9, 4, v21
	s_xor_b32 s16, exec_lo, -1
	ds_add_f32 v10, v13 offset:8
.LBB89_105:                             ;   in Loop: Header=BB89_99 Depth=2
	s_or_b32 exec_lo, exec_lo, s17
	s_delay_alu instid0(SALU_CYCLE_1) | instskip(SKIP_1) | instid1(SALU_CYCLE_1)
	s_and_not1_b32 s14, s14, exec_lo
	s_and_b32 s16, s16, exec_lo
	s_or_b32 s14, s14, s16
.LBB89_106:                             ;   in Loop: Header=BB89_99 Depth=2
	s_or_b32 exec_lo, exec_lo, s15
	s_delay_alu instid0(SALU_CYCLE_1)
	s_and_b32 s14, s14, exec_lo
.LBB89_107:                             ;   in Loop: Header=BB89_99 Depth=2
	s_and_not1_saveexec_b32 s13, s13
	s_cbranch_execz .LBB89_98
; %bb.108:                              ;   in Loop: Header=BB89_99 Depth=2
	v_lshl_add_u32 v10, v9, 4, v21
	s_and_not1_b32 s14, s14, exec_lo
	ds_add_f32 v10, v13 offset:8
	s_branch .LBB89_98
.LBB89_109:                             ;   in Loop: Header=BB89_73 Depth=1
	s_or_b32 exec_lo, exec_lo, s12
	s_waitcnt vmcnt(0)
	v_mul_f32_e32 v11, v20, v12
	s_mov_b32 s12, 0
	s_branch .LBB89_111
.LBB89_110:                             ;   in Loop: Header=BB89_111 Depth=2
	s_or_b32 exec_lo, exec_lo, s13
	s_xor_b32 s13, s14, -1
	s_delay_alu instid0(SALU_CYCLE_1) | instskip(NEXT) | instid1(SALU_CYCLE_1)
	s_and_b32 s13, exec_lo, s13
	s_or_b32 s12, s13, s12
	s_delay_alu instid0(SALU_CYCLE_1)
	s_and_not1_b32 exec_lo, exec_lo, s12
	s_cbranch_execz .LBB89_72
.LBB89_111:                             ;   Parent Loop BB89_73 Depth=1
                                        ; =>  This Inner Loop Header: Depth=2
	v_lshl_add_u32 v12, v8, 3, v18
	s_mov_b32 s13, exec_lo
                                        ; implicit-def: $sgpr14
	ds_load_b64 v[9:10], v12
	s_waitcnt lgkmcnt(0)
	v_cmpx_ne_u64_e64 v[9:10], v[6:7]
	s_xor_b32 s13, exec_lo, s13
	s_cbranch_execz .LBB89_119
; %bb.112:                              ;   in Loop: Header=BB89_111 Depth=2
	s_mov_b32 s15, exec_lo
                                        ; implicit-def: $sgpr14
	v_cmpx_ne_u64_e64 s[38:39], v[9:10]
	s_xor_b32 s15, exec_lo, s15
; %bb.113:                              ;   in Loop: Header=BB89_111 Depth=2
	v_add_nc_u32_e32 v8, 1, v8
	s_mov_b32 s14, -1
                                        ; implicit-def: $vgpr12
	s_delay_alu instid0(VALU_DEP_1)
	v_and_b32_e32 v8, 31, v8
; %bb.114:                              ;   in Loop: Header=BB89_111 Depth=2
	s_and_not1_saveexec_b32 s15, s15
	s_cbranch_execz .LBB89_118
; %bb.115:                              ;   in Loop: Header=BB89_111 Depth=2
	v_dual_mov_b32 v9, s38 :: v_dual_mov_b32 v10, s39
	s_mov_b32 s16, -1
	s_mov_b32 s17, exec_lo
	ds_cmpstore_rtn_b64 v[9:10], v12, v[6:7], v[9:10]
	s_waitcnt lgkmcnt(0)
	v_cmpx_eq_u64_e64 s[38:39], v[9:10]
	s_cbranch_execz .LBB89_117
; %bb.116:                              ;   in Loop: Header=BB89_111 Depth=2
	v_lshl_add_u32 v9, v8, 4, v21
	s_xor_b32 s16, exec_lo, -1
	ds_add_f32 v9, v11 offset:12
.LBB89_117:                             ;   in Loop: Header=BB89_111 Depth=2
	s_or_b32 exec_lo, exec_lo, s17
	s_delay_alu instid0(SALU_CYCLE_1) | instskip(SKIP_1) | instid1(SALU_CYCLE_1)
	s_and_not1_b32 s14, s14, exec_lo
	s_and_b32 s16, s16, exec_lo
	s_or_b32 s14, s14, s16
.LBB89_118:                             ;   in Loop: Header=BB89_111 Depth=2
	s_or_b32 exec_lo, exec_lo, s15
	s_delay_alu instid0(SALU_CYCLE_1)
	s_and_b32 s14, s14, exec_lo
.LBB89_119:                             ;   in Loop: Header=BB89_111 Depth=2
	s_and_not1_saveexec_b32 s13, s13
	s_cbranch_execz .LBB89_110
; %bb.120:                              ;   in Loop: Header=BB89_111 Depth=2
	v_lshl_add_u32 v9, v8, 4, v21
	s_and_not1_b32 s14, s14, exec_lo
	ds_add_f32 v9, v11 offset:12
	s_branch .LBB89_110
.LBB89_121:
	s_or_b32 exec_lo, exec_lo, s2
.LBB89_122:
	v_add_co_u32 v0, vcc_lo, s10, v4
	v_add_co_ci_u32_e32 v1, vcc_lo, s11, v5, vcc_lo
	s_waitcnt lgkmcnt(0)
	buffer_gl0_inv
	v_lshl_add_u32 v4, v19, 4, v21
	s_cmp_eq_u32 s0, 0
	global_load_b64 v[0:1], v[0:1], off
	s_mov_b32 s0, 0
	s_cselect_b32 s1, 4, 8
	s_cselect_b32 s2, 8, 4
	s_waitcnt vmcnt(0)
	v_sub_co_u32 v2, vcc_lo, v0, s26
	v_subrev_co_ci_u32_e32 v3, vcc_lo, 0, v1, vcc_lo
	s_branch .LBB89_124
.LBB89_123:                             ;   in Loop: Header=BB89_124 Depth=1
	s_or_b32 exec_lo, exec_lo, s3
	v_add_co_u32 v17, s3, v17, 16
	s_delay_alu instid0(VALU_DEP_1) | instskip(SKIP_3) | instid1(SALU_CYCLE_1)
	s_xor_b32 s3, s3, -1
	v_add_nc_u32_e32 v4, 0x100, v4
	v_add_nc_u32_e32 v16, 0x80, v16
	s_and_b32 s3, exec_lo, s3
	s_or_b32 s0, s3, s0
	s_delay_alu instid0(SALU_CYCLE_1)
	s_and_not1_b32 exec_lo, exec_lo, s0
	s_cbranch_execz .LBB89_126
.LBB89_124:                             ; =>This Inner Loop Header: Depth=1
	ds_load_b64 v[0:1], v16
	s_mov_b32 s3, exec_lo
	s_waitcnt lgkmcnt(0)
	v_cmpx_gt_i64_e64 s[38:39], v[0:1]
	s_cbranch_execz .LBB89_123
; %bb.125:                              ;   in Loop: Header=BB89_124 Depth=1
	ds_load_b128 v[5:8], v18
	ds_load_b128 v[9:12], v18 offset:16
	ds_load_b128 v[19:22], v18 offset:32
	;; [unrolled: 1-line block ×7, first 2 shown]
	s_waitcnt lgkmcnt(7)
	v_cmp_gt_i64_e32 vcc_lo, v[0:1], v[5:6]
	v_cndmask_b32_e64 v5, 0, 1, vcc_lo
	v_cmp_gt_i64_e32 vcc_lo, v[0:1], v[7:8]
	v_cndmask_b32_e64 v6, 0, 1, vcc_lo
	s_delay_alu instid0(VALU_DEP_3)
	v_add_co_u32 v5, vcc_lo, v2, v5
	v_add_co_ci_u32_e32 v7, vcc_lo, 0, v3, vcc_lo
	s_waitcnt lgkmcnt(6)
	v_cmp_gt_i64_e32 vcc_lo, v[0:1], v[9:10]
	v_cndmask_b32_e64 v8, 0, 1, vcc_lo
	v_add_co_u32 v5, vcc_lo, v5, v6
	v_add_co_ci_u32_e32 v6, vcc_lo, 0, v7, vcc_lo
	v_cmp_gt_i64_e32 vcc_lo, v[0:1], v[11:12]
	v_cndmask_b32_e64 v7, 0, 1, vcc_lo
	s_delay_alu instid0(VALU_DEP_4) | instskip(NEXT) | instid1(VALU_DEP_4)
	v_add_co_u32 v5, vcc_lo, v5, v8
	v_add_co_ci_u32_e32 v6, vcc_lo, 0, v6, vcc_lo
	s_waitcnt lgkmcnt(5)
	v_cmp_gt_i64_e32 vcc_lo, v[0:1], v[19:20]
	v_cndmask_b32_e64 v8, 0, 1, vcc_lo
	v_add_co_u32 v5, vcc_lo, v5, v7
	v_add_co_ci_u32_e32 v6, vcc_lo, 0, v6, vcc_lo
	v_cmp_gt_i64_e32 vcc_lo, v[0:1], v[21:22]
	v_cndmask_b32_e64 v7, 0, 1, vcc_lo
	s_delay_alu instid0(VALU_DEP_4) | instskip(NEXT) | instid1(VALU_DEP_4)
	;; [unrolled: 10-line block ×5, first 2 shown]
	v_add_co_u32 v5, vcc_lo, v5, v8
	v_add_co_ci_u32_e32 v6, vcc_lo, 0, v6, vcc_lo
	s_delay_alu instid0(VALU_DEP_2) | instskip(NEXT) | instid1(VALU_DEP_2)
	v_add_co_u32 v9, vcc_lo, v5, v7
	v_add_co_ci_u32_e32 v10, vcc_lo, 0, v6, vcc_lo
	s_waitcnt lgkmcnt(1)
	v_cmp_gt_i64_e32 vcc_lo, v[0:1], v[35:36]
	ds_load_b128 v[5:8], v18 offset:128
	v_cndmask_b32_e64 v11, 0, 1, vcc_lo
	v_cmp_gt_i64_e32 vcc_lo, v[0:1], v[37:38]
	v_cndmask_b32_e64 v12, 0, 1, vcc_lo
	s_delay_alu instid0(VALU_DEP_3) | instskip(SKIP_1) | instid1(VALU_DEP_2)
	v_add_co_u32 v9, vcc_lo, v9, v11
	v_add_co_ci_u32_e32 v10, vcc_lo, 0, v10, vcc_lo
	v_add_co_u32 v13, vcc_lo, v9, v12
	s_delay_alu instid0(VALU_DEP_2)
	v_add_co_ci_u32_e32 v14, vcc_lo, 0, v10, vcc_lo
	ds_load_b128 v[9:12], v18 offset:144
	s_waitcnt lgkmcnt(2)
	v_cmp_gt_i64_e32 vcc_lo, v[0:1], v[39:40]
	v_cndmask_b32_e64 v15, 0, 1, vcc_lo
	v_cmp_gt_i64_e32 vcc_lo, v[0:1], v[41:42]
	v_cndmask_b32_e64 v19, 0, 1, vcc_lo
	s_delay_alu instid0(VALU_DEP_3) | instskip(SKIP_1) | instid1(VALU_DEP_2)
	v_add_co_u32 v13, vcc_lo, v13, v15
	v_add_co_ci_u32_e32 v14, vcc_lo, 0, v14, vcc_lo
	v_add_co_u32 v13, vcc_lo, v13, v19
	s_delay_alu instid0(VALU_DEP_2)
	v_add_co_ci_u32_e32 v14, vcc_lo, 0, v14, vcc_lo
	s_waitcnt lgkmcnt(1)
	v_cmp_gt_i64_e32 vcc_lo, v[0:1], v[5:6]
	v_cndmask_b32_e64 v15, 0, 1, vcc_lo
	v_cmp_gt_i64_e32 vcc_lo, v[0:1], v[7:8]
	ds_load_b128 v[5:8], v18 offset:160
	v_cndmask_b32_e64 v19, 0, 1, vcc_lo
	v_add_co_u32 v13, vcc_lo, v13, v15
	v_add_co_ci_u32_e32 v14, vcc_lo, 0, v14, vcc_lo
	s_waitcnt lgkmcnt(1)
	v_cmp_gt_i64_e32 vcc_lo, v[0:1], v[9:10]
	v_cndmask_b32_e64 v9, 0, 1, vcc_lo
	v_add_co_u32 v10, vcc_lo, v13, v19
	v_add_co_ci_u32_e32 v13, vcc_lo, 0, v14, vcc_lo
	v_cmp_gt_i64_e32 vcc_lo, v[0:1], v[11:12]
	ds_load_b128 v[19:22], v18 offset:192
	v_cndmask_b32_e64 v14, 0, 1, vcc_lo
	v_add_co_u32 v15, vcc_lo, v10, v9
	v_add_co_ci_u32_e32 v13, vcc_lo, 0, v13, vcc_lo
	ds_load_b128 v[9:12], v18 offset:176
	v_add_co_u32 v14, vcc_lo, v15, v14
	v_add_co_ci_u32_e32 v13, vcc_lo, 0, v13, vcc_lo
	s_waitcnt lgkmcnt(2)
	v_cmp_gt_i64_e32 vcc_lo, v[0:1], v[5:6]
	v_cndmask_b32_e64 v5, 0, 1, vcc_lo
	v_cmp_gt_i64_e32 vcc_lo, v[0:1], v[7:8]
	v_cndmask_b32_e64 v6, 0, 1, vcc_lo
	s_delay_alu instid0(VALU_DEP_3) | instskip(SKIP_1) | instid1(VALU_DEP_2)
	v_add_co_u32 v5, vcc_lo, v14, v5
	v_add_co_ci_u32_e32 v7, vcc_lo, 0, v13, vcc_lo
	v_add_co_u32 v13, vcc_lo, v5, v6
	s_delay_alu instid0(VALU_DEP_2)
	v_add_co_ci_u32_e32 v14, vcc_lo, 0, v7, vcc_lo
	ds_load_b128 v[5:8], v18 offset:208
	s_waitcnt lgkmcnt(1)
	v_cmp_gt_i64_e32 vcc_lo, v[0:1], v[9:10]
	v_cndmask_b32_e64 v9, 0, 1, vcc_lo
	v_cmp_gt_i64_e32 vcc_lo, v[0:1], v[11:12]
	v_cndmask_b32_e64 v10, 0, 1, vcc_lo
	s_delay_alu instid0(VALU_DEP_3) | instskip(SKIP_3) | instid1(VALU_DEP_4)
	v_add_co_u32 v9, vcc_lo, v13, v9
	v_add_co_ci_u32_e32 v11, vcc_lo, 0, v14, vcc_lo
	v_cmp_gt_i64_e32 vcc_lo, v[0:1], v[19:20]
	v_cndmask_b32_e64 v13, 0, 1, vcc_lo
	v_add_co_u32 v14, vcc_lo, v9, v10
	s_delay_alu instid0(VALU_DEP_4)
	v_add_co_ci_u32_e32 v15, vcc_lo, 0, v11, vcc_lo
	ds_load_b128 v[9:12], v18 offset:224
	v_add_co_u32 v13, vcc_lo, v14, v13
	v_add_co_ci_u32_e32 v14, vcc_lo, 0, v15, vcc_lo
	v_cmp_gt_i64_e32 vcc_lo, v[0:1], v[21:22]
	ds_load_b128 v[19:22], v18 offset:240
	v_cndmask_b32_e64 v15, 0, 1, vcc_lo
	s_waitcnt lgkmcnt(2)
	v_cmp_gt_i64_e32 vcc_lo, v[0:1], v[5:6]
	v_cndmask_b32_e64 v5, 0, 1, vcc_lo
	s_delay_alu instid0(VALU_DEP_3) | instskip(SKIP_3) | instid1(VALU_DEP_4)
	v_add_co_u32 v6, vcc_lo, v13, v15
	v_add_co_ci_u32_e32 v13, vcc_lo, 0, v14, vcc_lo
	v_cmp_gt_i64_e32 vcc_lo, v[0:1], v[7:8]
	v_cndmask_b32_e64 v7, 0, 1, vcc_lo
	v_add_co_u32 v5, vcc_lo, v6, v5
	s_delay_alu instid0(VALU_DEP_4)
	v_add_co_ci_u32_e32 v6, vcc_lo, 0, v13, vcc_lo
	s_waitcnt lgkmcnt(1)
	v_cmp_gt_i64_e32 vcc_lo, v[0:1], v[9:10]
	v_cndmask_b32_e64 v8, 0, 1, vcc_lo
	v_add_co_u32 v5, vcc_lo, v5, v7
	v_add_co_ci_u32_e32 v6, vcc_lo, 0, v6, vcc_lo
	v_cmp_gt_i64_e32 vcc_lo, v[0:1], v[11:12]
	ds_load_2addr_b32 v[10:11], v4 offset1:3
	v_cndmask_b32_e64 v7, 0, 1, vcc_lo
	v_add_co_u32 v5, vcc_lo, v5, v8
	v_add_co_ci_u32_e32 v6, vcc_lo, 0, v6, vcc_lo
	s_waitcnt lgkmcnt(1)
	v_cmp_gt_i64_e32 vcc_lo, v[0:1], v[19:20]
	v_cndmask_b32_e64 v8, 0, 1, vcc_lo
	v_add_co_u32 v5, vcc_lo, v5, v7
	v_add_co_ci_u32_e32 v6, vcc_lo, 0, v6, vcc_lo
	v_cmp_gt_i64_e32 vcc_lo, v[0:1], v[21:22]
	v_cndmask_b32_e64 v7, 0, 1, vcc_lo
	s_delay_alu instid0(VALU_DEP_4) | instskip(NEXT) | instid1(VALU_DEP_4)
	v_add_co_u32 v5, vcc_lo, v5, v8
	v_add_co_ci_u32_e32 v6, vcc_lo, 0, v6, vcc_lo
	s_delay_alu instid0(VALU_DEP_2) | instskip(NEXT) | instid1(VALU_DEP_2)
	v_add_co_u32 v8, vcc_lo, v5, v7
	v_add_co_ci_u32_e32 v9, vcc_lo, 0, v6, vcc_lo
	v_add_co_u32 v0, vcc_lo, v0, s26
	v_add_nc_u32_e32 v5, s1, v4
	s_delay_alu instid0(VALU_DEP_3) | instskip(SKIP_3) | instid1(VALU_DEP_4)
	v_lshlrev_b64 v[12:13], 3, v[8:9]
	v_lshlrev_b64 v[8:9], 4, v[8:9]
	v_add_nc_u32_e32 v7, s2, v4
	v_add_co_ci_u32_e32 v1, vcc_lo, 0, v1, vcc_lo
	v_add_co_u32 v12, vcc_lo, s28, v12
	v_add_co_ci_u32_e32 v13, vcc_lo, s29, v13, vcc_lo
	v_add_co_u32 v14, vcc_lo, s30, v8
	s_waitcnt lgkmcnt(0)
	v_mov_b32_e32 v8, v11
	ds_load_b32 v6, v5
	ds_load_b32 v7, v7
	v_add_co_ci_u32_e32 v15, vcc_lo, s31, v9, vcc_lo
	v_mov_b32_e32 v5, v10
	global_store_b64 v[12:13], v[0:1], off
	s_waitcnt lgkmcnt(0)
	global_store_b128 v[14:15], v[5:8], off
	s_branch .LBB89_123
.LBB89_126:
	s_nop 0
	s_sendmsg sendmsg(MSG_DEALLOC_VGPRS)
	s_endpgm
	.section	.rodata,"a",@progbits
	.p2align	6, 0x0
	.amdhsa_kernel _ZN9rocsparseL27bsrgemm_fill_wf_per_row_2x2ILj256ELj16ELj32ELj137EllfEEv20rocsparse_direction_T4_S2_PKS2_S4_NS_24const_host_device_scalarIT5_EEPKT3_S4_PKS6_SA_S4_SC_S7_SA_S4_SC_SA_PS2_PS6_21rocsparse_index_base_SF_SF_SF_bbb
		.amdhsa_group_segment_fixed_size 12288
		.amdhsa_private_segment_fixed_size 0
		.amdhsa_kernarg_size 172
		.amdhsa_user_sgpr_count 15
		.amdhsa_user_sgpr_dispatch_ptr 0
		.amdhsa_user_sgpr_queue_ptr 0
		.amdhsa_user_sgpr_kernarg_segment_ptr 1
		.amdhsa_user_sgpr_dispatch_id 0
		.amdhsa_user_sgpr_private_segment_size 0
		.amdhsa_wavefront_size32 1
		.amdhsa_uses_dynamic_stack 0
		.amdhsa_enable_private_segment 0
		.amdhsa_system_sgpr_workgroup_id_x 1
		.amdhsa_system_sgpr_workgroup_id_y 0
		.amdhsa_system_sgpr_workgroup_id_z 0
		.amdhsa_system_sgpr_workgroup_info 0
		.amdhsa_system_vgpr_workitem_id 0
		.amdhsa_next_free_vgpr 43
		.amdhsa_next_free_sgpr 48
		.amdhsa_reserve_vcc 1
		.amdhsa_float_round_mode_32 0
		.amdhsa_float_round_mode_16_64 0
		.amdhsa_float_denorm_mode_32 3
		.amdhsa_float_denorm_mode_16_64 3
		.amdhsa_dx10_clamp 1
		.amdhsa_ieee_mode 1
		.amdhsa_fp16_overflow 0
		.amdhsa_workgroup_processor_mode 1
		.amdhsa_memory_ordered 1
		.amdhsa_forward_progress 0
		.amdhsa_shared_vgpr_count 0
		.amdhsa_exception_fp_ieee_invalid_op 0
		.amdhsa_exception_fp_denorm_src 0
		.amdhsa_exception_fp_ieee_div_zero 0
		.amdhsa_exception_fp_ieee_overflow 0
		.amdhsa_exception_fp_ieee_underflow 0
		.amdhsa_exception_fp_ieee_inexact 0
		.amdhsa_exception_int_div_zero 0
	.end_amdhsa_kernel
	.section	.text._ZN9rocsparseL27bsrgemm_fill_wf_per_row_2x2ILj256ELj16ELj32ELj137EllfEEv20rocsparse_direction_T4_S2_PKS2_S4_NS_24const_host_device_scalarIT5_EEPKT3_S4_PKS6_SA_S4_SC_S7_SA_S4_SC_SA_PS2_PS6_21rocsparse_index_base_SF_SF_SF_bbb,"axG",@progbits,_ZN9rocsparseL27bsrgemm_fill_wf_per_row_2x2ILj256ELj16ELj32ELj137EllfEEv20rocsparse_direction_T4_S2_PKS2_S4_NS_24const_host_device_scalarIT5_EEPKT3_S4_PKS6_SA_S4_SC_S7_SA_S4_SC_SA_PS2_PS6_21rocsparse_index_base_SF_SF_SF_bbb,comdat
.Lfunc_end89:
	.size	_ZN9rocsparseL27bsrgemm_fill_wf_per_row_2x2ILj256ELj16ELj32ELj137EllfEEv20rocsparse_direction_T4_S2_PKS2_S4_NS_24const_host_device_scalarIT5_EEPKT3_S4_PKS6_SA_S4_SC_S7_SA_S4_SC_SA_PS2_PS6_21rocsparse_index_base_SF_SF_SF_bbb, .Lfunc_end89-_ZN9rocsparseL27bsrgemm_fill_wf_per_row_2x2ILj256ELj16ELj32ELj137EllfEEv20rocsparse_direction_T4_S2_PKS2_S4_NS_24const_host_device_scalarIT5_EEPKT3_S4_PKS6_SA_S4_SC_S7_SA_S4_SC_SA_PS2_PS6_21rocsparse_index_base_SF_SF_SF_bbb
                                        ; -- End function
	.section	.AMDGPU.csdata,"",@progbits
; Kernel info:
; codeLenInByte = 5080
; NumSgprs: 50
; NumVgprs: 43
; ScratchSize: 0
; MemoryBound: 0
; FloatMode: 240
; IeeeMode: 1
; LDSByteSize: 12288 bytes/workgroup (compile time only)
; SGPRBlocks: 6
; VGPRBlocks: 5
; NumSGPRsForWavesPerEU: 50
; NumVGPRsForWavesPerEU: 43
; Occupancy: 16
; WaveLimiterHint : 1
; COMPUTE_PGM_RSRC2:SCRATCH_EN: 0
; COMPUTE_PGM_RSRC2:USER_SGPR: 15
; COMPUTE_PGM_RSRC2:TRAP_HANDLER: 0
; COMPUTE_PGM_RSRC2:TGID_X_EN: 1
; COMPUTE_PGM_RSRC2:TGID_Y_EN: 0
; COMPUTE_PGM_RSRC2:TGID_Z_EN: 0
; COMPUTE_PGM_RSRC2:TIDIG_COMP_CNT: 0
	.section	.text._ZN9rocsparseL30bsrgemm_fill_block_per_row_2x2ILj256ELj16ELj64ELj137EllfEEv20rocsparse_direction_T4_S2_PKS2_S4_NS_24const_host_device_scalarIT5_EEPKT3_S4_PKS6_SA_S4_SC_S7_SA_S4_SC_SA_PS2_PS6_21rocsparse_index_base_SF_SF_SF_bbb,"axG",@progbits,_ZN9rocsparseL30bsrgemm_fill_block_per_row_2x2ILj256ELj16ELj64ELj137EllfEEv20rocsparse_direction_T4_S2_PKS2_S4_NS_24const_host_device_scalarIT5_EEPKT3_S4_PKS6_SA_S4_SC_S7_SA_S4_SC_SA_PS2_PS6_21rocsparse_index_base_SF_SF_SF_bbb,comdat
	.globl	_ZN9rocsparseL30bsrgemm_fill_block_per_row_2x2ILj256ELj16ELj64ELj137EllfEEv20rocsparse_direction_T4_S2_PKS2_S4_NS_24const_host_device_scalarIT5_EEPKT3_S4_PKS6_SA_S4_SC_S7_SA_S4_SC_SA_PS2_PS6_21rocsparse_index_base_SF_SF_SF_bbb ; -- Begin function _ZN9rocsparseL30bsrgemm_fill_block_per_row_2x2ILj256ELj16ELj64ELj137EllfEEv20rocsparse_direction_T4_S2_PKS2_S4_NS_24const_host_device_scalarIT5_EEPKT3_S4_PKS6_SA_S4_SC_S7_SA_S4_SC_SA_PS2_PS6_21rocsparse_index_base_SF_SF_SF_bbb
	.p2align	8
	.type	_ZN9rocsparseL30bsrgemm_fill_block_per_row_2x2ILj256ELj16ELj64ELj137EllfEEv20rocsparse_direction_T4_S2_PKS2_S4_NS_24const_host_device_scalarIT5_EEPKT3_S4_PKS6_SA_S4_SC_S7_SA_S4_SC_SA_PS2_PS6_21rocsparse_index_base_SF_SF_SF_bbb,@function
_ZN9rocsparseL30bsrgemm_fill_block_per_row_2x2ILj256ELj16ELj64ELj137EllfEEv20rocsparse_direction_T4_S2_PKS2_S4_NS_24const_host_device_scalarIT5_EEPKT3_S4_PKS6_SA_S4_SC_S7_SA_S4_SC_SA_PS2_PS6_21rocsparse_index_base_SF_SF_SF_bbb: ; @_ZN9rocsparseL30bsrgemm_fill_block_per_row_2x2ILj256ELj16ELj64ELj137EllfEEv20rocsparse_direction_T4_S2_PKS2_S4_NS_24const_host_device_scalarIT5_EEPKT3_S4_PKS6_SA_S4_SC_S7_SA_S4_SC_SA_PS2_PS6_21rocsparse_index_base_SF_SF_SF_bbb
; %bb.0:
	s_clause 0x2
	s_load_b32 s7, s[0:1], 0xa8
	s_load_b64 s[4:5], s[0:1], 0x28
	s_load_b64 s[2:3], s[0:1], 0x60
	s_mov_b32 s16, s15
	s_waitcnt lgkmcnt(0)
	s_bitcmp1_b32 s7, 0
	s_cselect_b32 s6, -1, 0
	s_bitcmp1_b32 s7, 16
	s_cselect_b32 s8, -1, 0
	s_xor_b32 s9, s6, -1
	s_delay_alu instid0(SALU_CYCLE_1) | instskip(NEXT) | instid1(SALU_CYCLE_1)
	s_or_b32 s9, s9, s8
	s_and_b32 vcc_lo, exec_lo, s9
	s_cbranch_vccnz .LBB90_2
; %bb.1:
	s_load_b32 s4, s[4:5], 0x0
	s_waitcnt lgkmcnt(0)
	v_mov_b32_e32 v15, s4
	s_branch .LBB90_3
.LBB90_2:
	v_cndmask_b32_e64 v15, 0, s4, s6
.LBB90_3:
	s_bitcmp1_b32 s7, 8
	s_cselect_b32 s25, -1, 0
	s_delay_alu instid0(SALU_CYCLE_1) | instskip(NEXT) | instid1(SALU_CYCLE_1)
	s_xor_b32 s4, s25, -1
	s_or_b32 s4, s4, s8
	s_delay_alu instid0(SALU_CYCLE_1)
	s_and_b32 vcc_lo, exec_lo, s4
	s_cbranch_vccnz .LBB90_5
; %bb.4:
	s_load_b32 s2, s[2:3], 0x0
	s_waitcnt lgkmcnt(0)
	v_mov_b32_e32 v14, s2
	s_branch .LBB90_6
.LBB90_5:
	v_cndmask_b32_e64 v14, 0, s2, s25
.LBB90_6:
	s_load_b64 s[18:19], s[0:1], 0x10
	v_cmp_gt_u32_e64 s2, 64, v0
	v_lshl_add_u32 v13, v0, 3, 0
	s_delay_alu instid0(VALU_DEP_2)
	s_and_saveexec_b32 s3, s2
	s_cbranch_execz .LBB90_8
; %bb.7:
	s_waitcnt lgkmcnt(0)
	v_dual_mov_b32 v1, s18 :: v_dual_mov_b32 v2, s19
	ds_store_b64 v13, v[1:2]
.LBB90_8:
	s_or_b32 exec_lo, exec_lo, s3
	s_clause 0x1
	s_load_b128 s[12:15], s[0:1], 0x98
	s_load_b64 s[4:5], s[0:1], 0x20
	s_mov_b32 s3, exec_lo
	v_cmpx_gt_u32_e32 0x100, v0
	s_cbranch_execz .LBB90_10
; %bb.9:
	v_lshl_add_u32 v1, v0, 2, 0
	v_mov_b32_e32 v2, 0
	ds_store_b32 v1, v2 offset:512
.LBB90_10:
	s_or_b32 exec_lo, exec_lo, s3
	s_waitcnt lgkmcnt(0)
	s_cmp_eq_u64 s[4:5], 0
	s_mov_b32 s17, 0
	s_barrier
	buffer_gl0_inv
	s_cbranch_scc1 .LBB90_12
; %bb.11:
	s_load_b64 s[8:9], s[0:1], 0x18
	s_waitcnt lgkmcnt(0)
	s_load_b64 s[8:9], s[8:9], 0x0
	s_waitcnt lgkmcnt(0)
	s_lshl_b64 s[8:9], s[8:9], 3
	s_delay_alu instid0(SALU_CYCLE_1) | instskip(SKIP_2) | instid1(SALU_CYCLE_1)
	s_add_u32 s3, s4, s8
	s_addc_u32 s7, s5, s9
	s_lshl_b64 s[4:5], s[16:17], 3
	s_add_u32 s4, s3, s4
	s_addc_u32 s5, s7, s5
	s_load_b64 s[16:17], s[4:5], 0x0
.LBB90_12:
	s_load_b32 s24, s[0:1], 0x0
	s_and_not1_b32 vcc_lo, exec_lo, s6
	s_cbranch_vccnz .LBB90_68
; %bb.13:
	s_load_b64 s[4:5], s[0:1], 0x30
	s_waitcnt lgkmcnt(0)
	s_lshl_b64 s[6:7], s[16:17], 3
	v_lshrrev_b32_e32 v1, 4, v0
	s_mov_b32 s26, 0
	s_delay_alu instid0(VALU_DEP_1) | instskip(NEXT) | instid1(VALU_DEP_1)
	v_sub_co_u32 v1, s3, v1, s12
	v_sub_co_ci_u32_e64 v2, null, 0, 0, s3
	s_mov_b32 s3, exec_lo
	s_add_u32 s4, s4, s6
	s_addc_u32 s5, s5, s7
	s_load_b128 s[4:7], s[4:5], 0x0
	s_waitcnt lgkmcnt(0)
	v_add_co_u32 v1, vcc_lo, s4, v1
	v_add_co_ci_u32_e32 v2, vcc_lo, s5, v2, vcc_lo
	s_sub_u32 s20, s6, s12
	s_subb_u32 s21, s7, 0
	s_delay_alu instid0(VALU_DEP_1) | instid1(SALU_CYCLE_1)
	v_cmpx_gt_i64_e64 s[20:21], v[1:2]
	s_cbranch_execz .LBB90_67
; %bb.14:
	s_clause 0x1
	s_load_b64 s[22:23], s[0:1], 0x58
	s_load_b256 s[4:11], s[0:1], 0x38
	v_and_b32_e32 v3, 15, v0
	s_cmp_eq_u32 s24, 0
	s_cselect_b32 s28, 2, 1
	s_delay_alu instid0(VALU_DEP_1) | instskip(NEXT) | instid1(VALU_DEP_1)
	v_sub_co_u32 v16, s27, v3, s13
	v_sub_co_ci_u32_e64 v17, null, 0, 0, s27
	s_cselect_b32 s27, 1, 2
	s_branch .LBB90_16
.LBB90_15:                              ;   in Loop: Header=BB90_16 Depth=1
	s_or_b32 exec_lo, exec_lo, s29
	v_add_co_u32 v1, vcc_lo, v1, 16
	v_add_co_ci_u32_e32 v2, vcc_lo, 0, v2, vcc_lo
	s_delay_alu instid0(VALU_DEP_1) | instskip(SKIP_1) | instid1(SALU_CYCLE_1)
	v_cmp_le_i64_e32 vcc_lo, s[20:21], v[1:2]
	s_or_b32 s26, vcc_lo, s26
	s_and_not1_b32 exec_lo, exec_lo, s26
	s_cbranch_execz .LBB90_67
.LBB90_16:                              ; =>This Loop Header: Depth=1
                                        ;     Child Loop BB90_19 Depth 2
                                        ;       Child Loop BB90_21 Depth 3
                                        ;       Child Loop BB90_33 Depth 3
	;; [unrolled: 1-line block ×4, first 2 shown]
	v_lshlrev_b64 v[3:4], 3, v[1:2]
	s_mov_b32 s29, exec_lo
	s_waitcnt lgkmcnt(0)
	s_delay_alu instid0(VALU_DEP_1) | instskip(NEXT) | instid1(VALU_DEP_2)
	v_add_co_u32 v3, vcc_lo, s4, v3
	v_add_co_ci_u32_e32 v4, vcc_lo, s5, v4, vcc_lo
	global_load_b64 v[3:4], v[3:4], off
	s_waitcnt vmcnt(0)
	v_sub_co_u32 v3, vcc_lo, v3, s12
	v_subrev_co_ci_u32_e32 v4, vcc_lo, 0, v4, vcc_lo
	s_delay_alu instid0(VALU_DEP_1) | instskip(NEXT) | instid1(VALU_DEP_1)
	v_lshlrev_b64 v[3:4], 3, v[3:4]
	v_add_co_u32 v3, vcc_lo, s8, v3
	s_delay_alu instid0(VALU_DEP_2)
	v_add_co_ci_u32_e32 v4, vcc_lo, s9, v4, vcc_lo
	global_load_b128 v[5:8], v[3:4], off
	s_waitcnt vmcnt(0)
	v_sub_co_u32 v3, vcc_lo, v7, s13
	v_subrev_co_ci_u32_e32 v4, vcc_lo, 0, v8, vcc_lo
	v_add_co_u32 v5, vcc_lo, v5, v16
	v_add_co_ci_u32_e32 v6, vcc_lo, v6, v17, vcc_lo
	s_delay_alu instid0(VALU_DEP_1)
	v_cmpx_lt_i64_e64 v[5:6], v[3:4]
	s_cbranch_execz .LBB90_15
; %bb.17:                               ;   in Loop: Header=BB90_16 Depth=1
	v_lshlrev_b64 v[7:8], 2, v[1:2]
	v_lshlrev_b64 v[11:12], 4, v[1:2]
	s_mov_b32 s30, 0
	s_delay_alu instid0(VALU_DEP_2) | instskip(NEXT) | instid1(VALU_DEP_3)
	v_or_b32_e32 v10, 0, v8
	v_or_b32_e32 v9, s28, v7
	;; [unrolled: 1-line block ×4, first 2 shown]
	v_add_co_u32 v11, vcc_lo, s6, v11
	s_delay_alu instid0(VALU_DEP_4) | instskip(SKIP_1) | instid1(VALU_DEP_4)
	v_lshlrev_b64 v[9:10], 2, v[9:10]
	v_add_co_ci_u32_e32 v12, vcc_lo, s7, v12, vcc_lo
	v_lshlrev_b64 v[7:8], 2, v[7:8]
	s_delay_alu instid0(VALU_DEP_3) | instskip(NEXT) | instid1(VALU_DEP_4)
	v_add_co_u32 v9, vcc_lo, s6, v9
	v_add_co_ci_u32_e32 v10, vcc_lo, s7, v10, vcc_lo
	s_delay_alu instid0(VALU_DEP_3) | instskip(NEXT) | instid1(VALU_DEP_4)
	v_add_co_u32 v7, vcc_lo, s6, v7
	v_add_co_ci_u32_e32 v8, vcc_lo, s7, v8, vcc_lo
	s_clause 0x3
	global_load_b32 v18, v[11:12], off offset:12
	global_load_b32 v9, v[9:10], off
	global_load_b32 v7, v[7:8], off
	;; [unrolled: 1-line block ×3, first 2 shown]
	s_waitcnt vmcnt(3)
	v_mul_f32_e32 v18, v15, v18
	s_waitcnt vmcnt(2)
	v_mul_f32_e32 v19, v15, v9
	;; [unrolled: 2-line block ×4, first 2 shown]
	s_branch .LBB90_19
.LBB90_18:                              ;   in Loop: Header=BB90_19 Depth=2
	s_or_b32 exec_lo, exec_lo, s31
	v_add_co_u32 v5, vcc_lo, v5, 16
	v_add_co_ci_u32_e32 v6, vcc_lo, 0, v6, vcc_lo
	s_delay_alu instid0(VALU_DEP_1) | instskip(SKIP_1) | instid1(SALU_CYCLE_1)
	v_cmp_ge_i64_e32 vcc_lo, v[5:6], v[3:4]
	s_or_b32 s30, vcc_lo, s30
	s_and_not1_b32 exec_lo, exec_lo, s30
	s_cbranch_execz .LBB90_15
.LBB90_19:                              ;   Parent Loop BB90_16 Depth=1
                                        ; =>  This Loop Header: Depth=2
                                        ;       Child Loop BB90_21 Depth 3
                                        ;       Child Loop BB90_33 Depth 3
	;; [unrolled: 1-line block ×4, first 2 shown]
	v_lshlrev_b64 v[7:8], 2, v[5:6]
	v_lshlrev_b64 v[9:10], 3, v[5:6]
	;; [unrolled: 1-line block ×3, first 2 shown]
	s_mov_b32 s31, 0
	s_delay_alu instid0(VALU_DEP_3) | instskip(NEXT) | instid1(VALU_DEP_4)
	v_or_b32_e32 v12, 0, v8
	v_or_b32_e32 v11, s27, v7
	;; [unrolled: 1-line block ×4, first 2 shown]
	v_add_co_u32 v9, vcc_lo, s10, v9
	v_add_co_ci_u32_e32 v10, vcc_lo, s11, v10, vcc_lo
	s_delay_alu instid0(VALU_DEP_3)
	v_lshlrev_b64 v[7:8], 2, v[7:8]
	v_lshlrev_b64 v[11:12], 2, v[11:12]
	global_load_b64 v[9:10], v[9:10], off
	v_add_co_u32 v7, vcc_lo, s22, v7
	v_add_co_ci_u32_e32 v8, vcc_lo, s23, v8, vcc_lo
	v_add_co_u32 v26, vcc_lo, s22, v22
	v_add_co_ci_u32_e32 v27, vcc_lo, s23, v23, vcc_lo
	global_load_b32 v24, v[7:8], off
	v_add_co_u32 v7, vcc_lo, s22, v11
	v_add_co_ci_u32_e32 v8, vcc_lo, s23, v12, vcc_lo
	s_clause 0x2
	global_load_b32 v25, v[26:27], off
	global_load_b32 v22, v[7:8], off
	global_load_b32 v23, v[26:27], off offset:12
	s_waitcnt vmcnt(4)
	v_sub_co_u32 v7, vcc_lo, v9, s13
	v_subrev_co_ci_u32_e32 v8, vcc_lo, 0, v10, vcc_lo
	s_delay_alu instid0(VALU_DEP_2) | instskip(SKIP_1) | instid1(VALU_DEP_1)
	v_lshl_add_u32 v9, v7, 3, v7
	s_waitcnt vmcnt(3)
	v_dual_mul_f32 v26, v20, v24 :: v_dual_and_b32 v9, 63, v9
	v_mov_b32_e32 v11, v10
	s_delay_alu instid0(VALU_DEP_2) | instskip(SKIP_1) | instid1(VALU_DEP_3)
	v_mov_b32_e32 v10, v9
	s_waitcnt vmcnt(2)
	v_fmac_f32_e32 v26, v21, v25
	s_branch .LBB90_21
.LBB90_20:                              ;   in Loop: Header=BB90_21 Depth=3
	s_or_b32 exec_lo, exec_lo, s33
	s_xor_b32 s33, s34, -1
	s_delay_alu instid0(SALU_CYCLE_1) | instskip(NEXT) | instid1(SALU_CYCLE_1)
	s_and_b32 s33, exec_lo, s33
	s_or_b32 s31, s33, s31
	s_delay_alu instid0(SALU_CYCLE_1)
	s_and_not1_b32 exec_lo, exec_lo, s31
	s_cbranch_execz .LBB90_31
.LBB90_21:                              ;   Parent Loop BB90_16 Depth=1
                                        ;     Parent Loop BB90_19 Depth=2
                                        ; =>    This Inner Loop Header: Depth=3
	s_delay_alu instid0(VALU_DEP_2)
	v_lshl_add_u32 v27, v10, 3, 0
	s_mov_b32 s33, exec_lo
                                        ; implicit-def: $sgpr34
	ds_load_b64 v[11:12], v27
	s_waitcnt lgkmcnt(0)
	v_cmpx_ne_u64_e64 v[11:12], v[7:8]
	s_xor_b32 s33, exec_lo, s33
	s_cbranch_execz .LBB90_29
; %bb.22:                               ;   in Loop: Header=BB90_21 Depth=3
	s_mov_b32 s35, exec_lo
                                        ; implicit-def: $sgpr34
	v_cmpx_ne_u64_e64 s[18:19], v[11:12]
	s_xor_b32 s35, exec_lo, s35
; %bb.23:                               ;   in Loop: Header=BB90_21 Depth=3
	v_add_nc_u32_e32 v10, 1, v10
	s_mov_b32 s34, -1
                                        ; implicit-def: $vgpr27
	s_delay_alu instid0(VALU_DEP_1)
	v_and_b32_e32 v10, 63, v10
; %bb.24:                               ;   in Loop: Header=BB90_21 Depth=3
	s_and_not1_saveexec_b32 s35, s35
	s_cbranch_execz .LBB90_28
; %bb.25:                               ;   in Loop: Header=BB90_21 Depth=3
	v_dual_mov_b32 v11, s18 :: v_dual_mov_b32 v12, s19
	s_mov_b32 s36, -1
	s_mov_b32 s37, exec_lo
	ds_cmpstore_rtn_b64 v[11:12], v27, v[7:8], v[11:12]
	s_waitcnt lgkmcnt(0)
	v_cmpx_eq_u64_e64 s[18:19], v[11:12]
	s_cbranch_execz .LBB90_27
; %bb.26:                               ;   in Loop: Header=BB90_21 Depth=3
	v_lshl_add_u32 v11, v10, 3, v27
	s_xor_b32 s36, exec_lo, -1
	ds_add_f32 v11, v26 offset:512
.LBB90_27:                              ;   in Loop: Header=BB90_21 Depth=3
	s_or_b32 exec_lo, exec_lo, s37
	s_delay_alu instid0(SALU_CYCLE_1) | instskip(SKIP_1) | instid1(SALU_CYCLE_1)
	s_and_not1_b32 s34, s34, exec_lo
	s_and_b32 s36, s36, exec_lo
	s_or_b32 s34, s34, s36
.LBB90_28:                              ;   in Loop: Header=BB90_21 Depth=3
	s_or_b32 exec_lo, exec_lo, s35
	s_delay_alu instid0(SALU_CYCLE_1)
	s_and_b32 s34, s34, exec_lo
                                        ; implicit-def: $vgpr27
.LBB90_29:                              ;   in Loop: Header=BB90_21 Depth=3
	s_and_not1_saveexec_b32 s33, s33
	s_cbranch_execz .LBB90_20
; %bb.30:                               ;   in Loop: Header=BB90_21 Depth=3
	v_lshl_add_u32 v11, v10, 3, v27
	s_and_not1_b32 s34, s34, exec_lo
	ds_add_f32 v11, v26 offset:512
	s_branch .LBB90_20
.LBB90_31:                              ;   in Loop: Header=BB90_19 Depth=2
	s_or_b32 exec_lo, exec_lo, s31
	s_waitcnt vmcnt(0)
	v_dual_mul_f32 v26, v20, v23 :: v_dual_mov_b32 v11, v10
	v_mov_b32_e32 v10, v9
	s_mov_b32 s31, 0
	s_delay_alu instid0(VALU_DEP_2)
	v_fmac_f32_e32 v26, v21, v22
	s_branch .LBB90_33
.LBB90_32:                              ;   in Loop: Header=BB90_33 Depth=3
	s_or_b32 exec_lo, exec_lo, s33
	s_xor_b32 s33, s34, -1
	s_delay_alu instid0(SALU_CYCLE_1) | instskip(NEXT) | instid1(SALU_CYCLE_1)
	s_and_b32 s33, exec_lo, s33
	s_or_b32 s31, s33, s31
	s_delay_alu instid0(SALU_CYCLE_1)
	s_and_not1_b32 exec_lo, exec_lo, s31
	s_cbranch_execz .LBB90_43
.LBB90_33:                              ;   Parent Loop BB90_16 Depth=1
                                        ;     Parent Loop BB90_19 Depth=2
                                        ; =>    This Inner Loop Header: Depth=3
	s_delay_alu instid0(VALU_DEP_2)
	v_lshl_add_u32 v27, v10, 3, 0
	s_mov_b32 s33, exec_lo
                                        ; implicit-def: $sgpr34
	ds_load_b64 v[11:12], v27
	s_waitcnt lgkmcnt(0)
	v_cmpx_ne_u64_e64 v[11:12], v[7:8]
	s_xor_b32 s33, exec_lo, s33
	s_cbranch_execz .LBB90_41
; %bb.34:                               ;   in Loop: Header=BB90_33 Depth=3
	s_mov_b32 s35, exec_lo
                                        ; implicit-def: $sgpr34
	v_cmpx_ne_u64_e64 s[18:19], v[11:12]
	s_xor_b32 s35, exec_lo, s35
; %bb.35:                               ;   in Loop: Header=BB90_33 Depth=3
	v_add_nc_u32_e32 v10, 1, v10
	s_mov_b32 s34, -1
                                        ; implicit-def: $vgpr27
	s_delay_alu instid0(VALU_DEP_1)
	v_and_b32_e32 v10, 63, v10
; %bb.36:                               ;   in Loop: Header=BB90_33 Depth=3
	s_and_not1_saveexec_b32 s35, s35
	s_cbranch_execz .LBB90_40
; %bb.37:                               ;   in Loop: Header=BB90_33 Depth=3
	v_dual_mov_b32 v11, s18 :: v_dual_mov_b32 v12, s19
	s_mov_b32 s36, -1
	s_mov_b32 s37, exec_lo
	ds_cmpstore_rtn_b64 v[11:12], v27, v[7:8], v[11:12]
	s_waitcnt lgkmcnt(0)
	v_cmpx_eq_u64_e64 s[18:19], v[11:12]
	s_cbranch_execz .LBB90_39
; %bb.38:                               ;   in Loop: Header=BB90_33 Depth=3
	v_lshl_add_u32 v11, v10, 3, v27
	s_xor_b32 s36, exec_lo, -1
	ds_add_f32 v11, v26 offset:516
.LBB90_39:                              ;   in Loop: Header=BB90_33 Depth=3
	s_or_b32 exec_lo, exec_lo, s37
	s_delay_alu instid0(SALU_CYCLE_1) | instskip(SKIP_1) | instid1(SALU_CYCLE_1)
	s_and_not1_b32 s34, s34, exec_lo
	s_and_b32 s36, s36, exec_lo
	s_or_b32 s34, s34, s36
.LBB90_40:                              ;   in Loop: Header=BB90_33 Depth=3
	s_or_b32 exec_lo, exec_lo, s35
	s_delay_alu instid0(SALU_CYCLE_1)
	s_and_b32 s34, s34, exec_lo
                                        ; implicit-def: $vgpr27
.LBB90_41:                              ;   in Loop: Header=BB90_33 Depth=3
	s_and_not1_saveexec_b32 s33, s33
	s_cbranch_execz .LBB90_32
; %bb.42:                               ;   in Loop: Header=BB90_33 Depth=3
	v_lshl_add_u32 v11, v10, 3, v27
	s_and_not1_b32 s34, s34, exec_lo
	ds_add_f32 v11, v26 offset:516
	s_branch .LBB90_32
.LBB90_43:                              ;   in Loop: Header=BB90_19 Depth=2
	s_or_b32 exec_lo, exec_lo, s31
	v_mul_f32_e32 v24, v18, v24
	s_mov_b32 s31, 0
	v_mov_b32_e32 v11, v10
	v_mov_b32_e32 v10, v9
	s_delay_alu instid0(VALU_DEP_3)
	v_fmac_f32_e32 v24, v19, v25
	s_branch .LBB90_45
.LBB90_44:                              ;   in Loop: Header=BB90_45 Depth=3
	s_or_b32 exec_lo, exec_lo, s33
	s_xor_b32 s33, s34, -1
	s_delay_alu instid0(SALU_CYCLE_1) | instskip(NEXT) | instid1(SALU_CYCLE_1)
	s_and_b32 s33, exec_lo, s33
	s_or_b32 s31, s33, s31
	s_delay_alu instid0(SALU_CYCLE_1)
	s_and_not1_b32 exec_lo, exec_lo, s31
	s_cbranch_execz .LBB90_55
.LBB90_45:                              ;   Parent Loop BB90_16 Depth=1
                                        ;     Parent Loop BB90_19 Depth=2
                                        ; =>    This Inner Loop Header: Depth=3
	s_delay_alu instid0(VALU_DEP_2)
	v_lshl_add_u32 v25, v10, 3, 0
	s_mov_b32 s33, exec_lo
                                        ; implicit-def: $sgpr34
	ds_load_b64 v[11:12], v25
	s_waitcnt lgkmcnt(0)
	v_cmpx_ne_u64_e64 v[11:12], v[7:8]
	s_xor_b32 s33, exec_lo, s33
	s_cbranch_execz .LBB90_53
; %bb.46:                               ;   in Loop: Header=BB90_45 Depth=3
	s_mov_b32 s35, exec_lo
                                        ; implicit-def: $sgpr34
	v_cmpx_ne_u64_e64 s[18:19], v[11:12]
	s_xor_b32 s35, exec_lo, s35
; %bb.47:                               ;   in Loop: Header=BB90_45 Depth=3
	v_add_nc_u32_e32 v10, 1, v10
	s_mov_b32 s34, -1
                                        ; implicit-def: $vgpr25
	s_delay_alu instid0(VALU_DEP_1)
	v_and_b32_e32 v10, 63, v10
; %bb.48:                               ;   in Loop: Header=BB90_45 Depth=3
	s_and_not1_saveexec_b32 s35, s35
	s_cbranch_execz .LBB90_52
; %bb.49:                               ;   in Loop: Header=BB90_45 Depth=3
	v_dual_mov_b32 v11, s18 :: v_dual_mov_b32 v12, s19
	s_mov_b32 s36, -1
	s_mov_b32 s37, exec_lo
	ds_cmpstore_rtn_b64 v[11:12], v25, v[7:8], v[11:12]
	s_waitcnt lgkmcnt(0)
	v_cmpx_eq_u64_e64 s[18:19], v[11:12]
	s_cbranch_execz .LBB90_51
; %bb.50:                               ;   in Loop: Header=BB90_45 Depth=3
	v_lshl_add_u32 v11, v10, 3, v25
	s_xor_b32 s36, exec_lo, -1
	ds_add_f32 v11, v24 offset:520
.LBB90_51:                              ;   in Loop: Header=BB90_45 Depth=3
	s_or_b32 exec_lo, exec_lo, s37
	s_delay_alu instid0(SALU_CYCLE_1) | instskip(SKIP_1) | instid1(SALU_CYCLE_1)
	s_and_not1_b32 s34, s34, exec_lo
	s_and_b32 s36, s36, exec_lo
	s_or_b32 s34, s34, s36
.LBB90_52:                              ;   in Loop: Header=BB90_45 Depth=3
	s_or_b32 exec_lo, exec_lo, s35
	s_delay_alu instid0(SALU_CYCLE_1)
	s_and_b32 s34, s34, exec_lo
                                        ; implicit-def: $vgpr25
.LBB90_53:                              ;   in Loop: Header=BB90_45 Depth=3
	s_and_not1_saveexec_b32 s33, s33
	s_cbranch_execz .LBB90_44
; %bb.54:                               ;   in Loop: Header=BB90_45 Depth=3
	v_lshl_add_u32 v11, v10, 3, v25
	s_and_not1_b32 s34, s34, exec_lo
	ds_add_f32 v11, v24 offset:520
	s_branch .LBB90_44
.LBB90_55:                              ;   in Loop: Header=BB90_19 Depth=2
	s_or_b32 exec_lo, exec_lo, s31
	v_mul_f32_e32 v12, v18, v23
	s_mov_b32 s31, 0
	s_delay_alu instid0(VALU_DEP_1)
	v_fmac_f32_e32 v12, v19, v22
	s_branch .LBB90_57
.LBB90_56:                              ;   in Loop: Header=BB90_57 Depth=3
	s_or_b32 exec_lo, exec_lo, s33
	s_xor_b32 s33, s34, -1
	s_delay_alu instid0(SALU_CYCLE_1) | instskip(NEXT) | instid1(SALU_CYCLE_1)
	s_and_b32 s33, exec_lo, s33
	s_or_b32 s31, s33, s31
	s_delay_alu instid0(SALU_CYCLE_1)
	s_and_not1_b32 exec_lo, exec_lo, s31
	s_cbranch_execz .LBB90_18
.LBB90_57:                              ;   Parent Loop BB90_16 Depth=1
                                        ;     Parent Loop BB90_19 Depth=2
                                        ; =>    This Inner Loop Header: Depth=3
	v_lshl_add_u32 v22, v9, 3, 0
	s_mov_b32 s33, exec_lo
                                        ; implicit-def: $sgpr34
	ds_load_b64 v[10:11], v22
	s_waitcnt lgkmcnt(0)
	v_cmpx_ne_u64_e64 v[10:11], v[7:8]
	s_xor_b32 s33, exec_lo, s33
	s_cbranch_execz .LBB90_65
; %bb.58:                               ;   in Loop: Header=BB90_57 Depth=3
	s_mov_b32 s35, exec_lo
                                        ; implicit-def: $sgpr34
	v_cmpx_ne_u64_e64 s[18:19], v[10:11]
	s_xor_b32 s35, exec_lo, s35
; %bb.59:                               ;   in Loop: Header=BB90_57 Depth=3
	v_add_nc_u32_e32 v9, 1, v9
	s_mov_b32 s34, -1
                                        ; implicit-def: $vgpr22
	s_delay_alu instid0(VALU_DEP_1)
	v_and_b32_e32 v9, 63, v9
; %bb.60:                               ;   in Loop: Header=BB90_57 Depth=3
	s_and_not1_saveexec_b32 s35, s35
	s_cbranch_execz .LBB90_64
; %bb.61:                               ;   in Loop: Header=BB90_57 Depth=3
	v_dual_mov_b32 v10, s18 :: v_dual_mov_b32 v11, s19
	s_mov_b32 s36, -1
	s_mov_b32 s37, exec_lo
	ds_cmpstore_rtn_b64 v[10:11], v22, v[7:8], v[10:11]
	s_waitcnt lgkmcnt(0)
	v_cmpx_eq_u64_e64 s[18:19], v[10:11]
	s_cbranch_execz .LBB90_63
; %bb.62:                               ;   in Loop: Header=BB90_57 Depth=3
	v_lshl_add_u32 v10, v9, 3, v22
	s_xor_b32 s36, exec_lo, -1
	ds_add_f32 v10, v12 offset:524
.LBB90_63:                              ;   in Loop: Header=BB90_57 Depth=3
	s_or_b32 exec_lo, exec_lo, s37
	s_delay_alu instid0(SALU_CYCLE_1) | instskip(SKIP_1) | instid1(SALU_CYCLE_1)
	s_and_not1_b32 s34, s34, exec_lo
	s_and_b32 s36, s36, exec_lo
	s_or_b32 s34, s34, s36
.LBB90_64:                              ;   in Loop: Header=BB90_57 Depth=3
	s_or_b32 exec_lo, exec_lo, s35
	s_delay_alu instid0(SALU_CYCLE_1)
	s_and_b32 s34, s34, exec_lo
                                        ; implicit-def: $vgpr22
.LBB90_65:                              ;   in Loop: Header=BB90_57 Depth=3
	s_and_not1_saveexec_b32 s33, s33
	s_cbranch_execz .LBB90_56
; %bb.66:                               ;   in Loop: Header=BB90_57 Depth=3
	v_lshl_add_u32 v10, v9, 3, v22
	s_and_not1_b32 s34, s34, exec_lo
	ds_add_f32 v10, v12 offset:524
	s_branch .LBB90_56
.LBB90_67:
	s_or_b32 exec_lo, exec_lo, s3
.LBB90_68:
	s_delay_alu instid0(SALU_CYCLE_1)
	s_and_not1_b32 vcc_lo, exec_lo, s25
	s_waitcnt lgkmcnt(0)
	s_barrier
	buffer_gl0_inv
	s_cbranch_vccnz .LBB90_121
; %bb.69:
	s_load_b64 s[4:5], s[0:1], 0x68
	s_lshl_b64 s[6:7], s[16:17], 3
	v_sub_co_u32 v1, s3, v0, s15
	s_delay_alu instid0(VALU_DEP_1)
	v_sub_co_ci_u32_e64 v2, null, 0, 0, s3
	s_mov_b32 s3, 0
	s_mov_b32 s10, exec_lo
	s_waitcnt lgkmcnt(0)
	s_add_u32 s4, s4, s6
	s_addc_u32 s5, s5, s7
	s_load_b128 s[4:7], s[4:5], 0x0
	s_waitcnt lgkmcnt(0)
	v_add_co_u32 v1, vcc_lo, s4, v1
	v_add_co_ci_u32_e32 v2, vcc_lo, s5, v2, vcc_lo
	s_sub_u32 s8, s6, s15
	s_subb_u32 s9, s7, 0
	s_delay_alu instid0(VALU_DEP_1) | instid1(SALU_CYCLE_1)
	v_cmpx_gt_i64_e64 s[8:9], v[1:2]
	s_cbranch_execz .LBB90_120
; %bb.70:
	s_load_b128 s[4:7], s[0:1], 0x70
	s_cmp_eq_u32 s24, 0
	s_mov_b32 s11, s15
	s_cselect_b32 s12, 1, 2
	s_cselect_b32 s13, 2, 1
	s_branch .LBB90_72
.LBB90_71:                              ;   in Loop: Header=BB90_72 Depth=1
	s_or_b32 exec_lo, exec_lo, s15
	v_add_co_u32 v1, vcc_lo, 0x100, v1
	v_add_co_ci_u32_e32 v2, vcc_lo, 0, v2, vcc_lo
	s_delay_alu instid0(VALU_DEP_1) | instskip(SKIP_1) | instid1(SALU_CYCLE_1)
	v_cmp_le_i64_e32 vcc_lo, s[8:9], v[1:2]
	s_or_b32 s3, vcc_lo, s3
	s_and_not1_b32 exec_lo, exec_lo, s3
	s_cbranch_execz .LBB90_120
.LBB90_72:                              ; =>This Loop Header: Depth=1
                                        ;     Child Loop BB90_74 Depth 2
                                        ;     Child Loop BB90_86 Depth 2
	;; [unrolled: 1-line block ×4, first 2 shown]
	v_lshlrev_b64 v[3:4], 2, v[1:2]
	v_lshlrev_b64 v[5:6], 3, v[1:2]
	;; [unrolled: 1-line block ×3, first 2 shown]
	s_mov_b32 s15, 0
	s_delay_alu instid0(VALU_DEP_3)
	v_or_b32_e32 v9, 0, v4
	v_or_b32_e32 v11, 0, v4
	s_waitcnt lgkmcnt(0)
	v_add_co_u32 v4, vcc_lo, s4, v5
	v_add_co_ci_u32_e32 v5, vcc_lo, s5, v6, vcc_lo
	v_or_b32_e32 v10, s13, v3
	v_add_co_u32 v6, vcc_lo, s6, v7
	global_load_b64 v[4:5], v[4:5], off
	v_add_co_ci_u32_e32 v7, vcc_lo, s7, v8, vcc_lo
	v_or_b32_e32 v8, s12, v3
	v_lshlrev_b64 v[10:11], 2, v[10:11]
	global_load_b32 v12, v[6:7], off
	v_lshlrev_b64 v[8:9], 2, v[8:9]
	v_add_co_u32 v10, vcc_lo, s6, v10
	v_add_co_ci_u32_e32 v11, vcc_lo, s7, v11, vcc_lo
	s_delay_alu instid0(VALU_DEP_3) | instskip(NEXT) | instid1(VALU_DEP_4)
	v_add_co_u32 v8, vcc_lo, s6, v8
	v_add_co_ci_u32_e32 v9, vcc_lo, s7, v9, vcc_lo
	s_clause 0x2
	global_load_b32 v10, v[10:11], off
	global_load_b32 v11, v[8:9], off
	global_load_b32 v9, v[6:7], off offset:12
	s_waitcnt vmcnt(4)
	v_sub_co_u32 v3, vcc_lo, v4, s11
	v_subrev_co_ci_u32_e32 v4, vcc_lo, 0, v5, vcc_lo
	s_delay_alu instid0(VALU_DEP_2) | instskip(SKIP_1) | instid1(VALU_DEP_1)
	v_lshl_add_u32 v5, v3, 3, v3
	s_waitcnt vmcnt(3)
	v_dual_mul_f32 v12, v14, v12 :: v_dual_and_b32 v5, 63, v5
	v_mov_b32_e32 v7, v6
	s_delay_alu instid0(VALU_DEP_2)
	v_mov_b32_e32 v6, v5
	s_branch .LBB90_74
.LBB90_73:                              ;   in Loop: Header=BB90_74 Depth=2
	s_or_b32 exec_lo, exec_lo, s20
	s_xor_b32 s20, s21, -1
	s_delay_alu instid0(SALU_CYCLE_1) | instskip(NEXT) | instid1(SALU_CYCLE_1)
	s_and_b32 s20, exec_lo, s20
	s_or_b32 s15, s20, s15
	s_delay_alu instid0(SALU_CYCLE_1)
	s_and_not1_b32 exec_lo, exec_lo, s15
	s_cbranch_execz .LBB90_84
.LBB90_74:                              ;   Parent Loop BB90_72 Depth=1
                                        ; =>  This Inner Loop Header: Depth=2
	s_delay_alu instid0(VALU_DEP_1)
	v_lshl_add_u32 v15, v6, 3, 0
	s_mov_b32 s20, exec_lo
                                        ; implicit-def: $sgpr21
	ds_load_b64 v[7:8], v15
	s_waitcnt lgkmcnt(0)
	v_cmpx_ne_u64_e64 v[7:8], v[3:4]
	s_xor_b32 s20, exec_lo, s20
	s_cbranch_execz .LBB90_82
; %bb.75:                               ;   in Loop: Header=BB90_74 Depth=2
	s_mov_b32 s22, exec_lo
                                        ; implicit-def: $sgpr21
	v_cmpx_ne_u64_e64 s[18:19], v[7:8]
	s_xor_b32 s22, exec_lo, s22
; %bb.76:                               ;   in Loop: Header=BB90_74 Depth=2
	v_add_nc_u32_e32 v6, 1, v6
	s_mov_b32 s21, -1
                                        ; implicit-def: $vgpr15
	s_delay_alu instid0(VALU_DEP_1)
	v_and_b32_e32 v6, 63, v6
; %bb.77:                               ;   in Loop: Header=BB90_74 Depth=2
	s_and_not1_saveexec_b32 s22, s22
	s_cbranch_execz .LBB90_81
; %bb.78:                               ;   in Loop: Header=BB90_74 Depth=2
	v_dual_mov_b32 v7, s18 :: v_dual_mov_b32 v8, s19
	s_mov_b32 s23, -1
	s_mov_b32 s25, exec_lo
	ds_cmpstore_rtn_b64 v[7:8], v15, v[3:4], v[7:8]
	s_waitcnt lgkmcnt(0)
	v_cmpx_eq_u64_e64 s[18:19], v[7:8]
	s_cbranch_execz .LBB90_80
; %bb.79:                               ;   in Loop: Header=BB90_74 Depth=2
	v_lshl_add_u32 v7, v6, 3, v15
	s_xor_b32 s23, exec_lo, -1
	ds_add_f32 v7, v12 offset:512
.LBB90_80:                              ;   in Loop: Header=BB90_74 Depth=2
	s_or_b32 exec_lo, exec_lo, s25
	s_delay_alu instid0(SALU_CYCLE_1) | instskip(SKIP_1) | instid1(SALU_CYCLE_1)
	s_and_not1_b32 s21, s21, exec_lo
	s_and_b32 s23, s23, exec_lo
	s_or_b32 s21, s21, s23
.LBB90_81:                              ;   in Loop: Header=BB90_74 Depth=2
	s_or_b32 exec_lo, exec_lo, s22
	s_delay_alu instid0(SALU_CYCLE_1)
	s_and_b32 s21, s21, exec_lo
                                        ; implicit-def: $vgpr15
.LBB90_82:                              ;   in Loop: Header=BB90_74 Depth=2
	s_and_not1_saveexec_b32 s20, s20
	s_cbranch_execz .LBB90_73
; %bb.83:                               ;   in Loop: Header=BB90_74 Depth=2
	v_lshl_add_u32 v7, v6, 3, v15
	s_and_not1_b32 s21, s21, exec_lo
	ds_add_f32 v7, v12 offset:512
	s_branch .LBB90_73
.LBB90_84:                              ;   in Loop: Header=BB90_72 Depth=1
	s_or_b32 exec_lo, exec_lo, s15
	v_mov_b32_e32 v7, v6
	s_waitcnt vmcnt(1)
	v_dual_mul_f32 v11, v14, v11 :: v_dual_mov_b32 v6, v5
	s_mov_b32 s15, 0
	s_branch .LBB90_86
.LBB90_85:                              ;   in Loop: Header=BB90_86 Depth=2
	s_or_b32 exec_lo, exec_lo, s20
	s_xor_b32 s20, s21, -1
	s_delay_alu instid0(SALU_CYCLE_1) | instskip(NEXT) | instid1(SALU_CYCLE_1)
	s_and_b32 s20, exec_lo, s20
	s_or_b32 s15, s20, s15
	s_delay_alu instid0(SALU_CYCLE_1)
	s_and_not1_b32 exec_lo, exec_lo, s15
	s_cbranch_execz .LBB90_96
.LBB90_86:                              ;   Parent Loop BB90_72 Depth=1
                                        ; =>  This Inner Loop Header: Depth=2
	s_delay_alu instid0(VALU_DEP_1)
	v_lshl_add_u32 v12, v6, 3, 0
	s_mov_b32 s20, exec_lo
                                        ; implicit-def: $sgpr21
	ds_load_b64 v[7:8], v12
	s_waitcnt lgkmcnt(0)
	v_cmpx_ne_u64_e64 v[7:8], v[3:4]
	s_xor_b32 s20, exec_lo, s20
	s_cbranch_execz .LBB90_94
; %bb.87:                               ;   in Loop: Header=BB90_86 Depth=2
	s_mov_b32 s22, exec_lo
                                        ; implicit-def: $sgpr21
	v_cmpx_ne_u64_e64 s[18:19], v[7:8]
	s_xor_b32 s22, exec_lo, s22
; %bb.88:                               ;   in Loop: Header=BB90_86 Depth=2
	v_add_nc_u32_e32 v6, 1, v6
	s_mov_b32 s21, -1
                                        ; implicit-def: $vgpr12
	s_delay_alu instid0(VALU_DEP_1)
	v_and_b32_e32 v6, 63, v6
; %bb.89:                               ;   in Loop: Header=BB90_86 Depth=2
	s_and_not1_saveexec_b32 s22, s22
	s_cbranch_execz .LBB90_93
; %bb.90:                               ;   in Loop: Header=BB90_86 Depth=2
	v_dual_mov_b32 v7, s18 :: v_dual_mov_b32 v8, s19
	s_mov_b32 s23, -1
	s_mov_b32 s25, exec_lo
	ds_cmpstore_rtn_b64 v[7:8], v12, v[3:4], v[7:8]
	s_waitcnt lgkmcnt(0)
	v_cmpx_eq_u64_e64 s[18:19], v[7:8]
	s_cbranch_execz .LBB90_92
; %bb.91:                               ;   in Loop: Header=BB90_86 Depth=2
	v_lshl_add_u32 v7, v6, 3, v12
	s_xor_b32 s23, exec_lo, -1
	ds_add_f32 v7, v11 offset:516
.LBB90_92:                              ;   in Loop: Header=BB90_86 Depth=2
	s_or_b32 exec_lo, exec_lo, s25
	s_delay_alu instid0(SALU_CYCLE_1) | instskip(SKIP_1) | instid1(SALU_CYCLE_1)
	s_and_not1_b32 s21, s21, exec_lo
	s_and_b32 s23, s23, exec_lo
	s_or_b32 s21, s21, s23
.LBB90_93:                              ;   in Loop: Header=BB90_86 Depth=2
	s_or_b32 exec_lo, exec_lo, s22
	s_delay_alu instid0(SALU_CYCLE_1)
	s_and_b32 s21, s21, exec_lo
                                        ; implicit-def: $vgpr12
.LBB90_94:                              ;   in Loop: Header=BB90_86 Depth=2
	s_and_not1_saveexec_b32 s20, s20
	s_cbranch_execz .LBB90_85
; %bb.95:                               ;   in Loop: Header=BB90_86 Depth=2
	v_lshl_add_u32 v7, v6, 3, v12
	s_and_not1_b32 s21, s21, exec_lo
	ds_add_f32 v7, v11 offset:516
	s_branch .LBB90_85
.LBB90_96:                              ;   in Loop: Header=BB90_72 Depth=1
	s_or_b32 exec_lo, exec_lo, s15
	v_mov_b32_e32 v7, v6
	v_mul_f32_e32 v10, v14, v10
	v_mov_b32_e32 v6, v5
	s_mov_b32 s15, 0
	s_branch .LBB90_98
.LBB90_97:                              ;   in Loop: Header=BB90_98 Depth=2
	s_or_b32 exec_lo, exec_lo, s20
	s_xor_b32 s20, s21, -1
	s_delay_alu instid0(SALU_CYCLE_1) | instskip(NEXT) | instid1(SALU_CYCLE_1)
	s_and_b32 s20, exec_lo, s20
	s_or_b32 s15, s20, s15
	s_delay_alu instid0(SALU_CYCLE_1)
	s_and_not1_b32 exec_lo, exec_lo, s15
	s_cbranch_execz .LBB90_108
.LBB90_98:                              ;   Parent Loop BB90_72 Depth=1
                                        ; =>  This Inner Loop Header: Depth=2
	s_delay_alu instid0(VALU_DEP_1)
	v_lshl_add_u32 v11, v6, 3, 0
	s_mov_b32 s20, exec_lo
                                        ; implicit-def: $sgpr21
	ds_load_b64 v[7:8], v11
	s_waitcnt lgkmcnt(0)
	v_cmpx_ne_u64_e64 v[7:8], v[3:4]
	s_xor_b32 s20, exec_lo, s20
	s_cbranch_execz .LBB90_106
; %bb.99:                               ;   in Loop: Header=BB90_98 Depth=2
	s_mov_b32 s22, exec_lo
                                        ; implicit-def: $sgpr21
	v_cmpx_ne_u64_e64 s[18:19], v[7:8]
	s_xor_b32 s22, exec_lo, s22
; %bb.100:                              ;   in Loop: Header=BB90_98 Depth=2
	v_add_nc_u32_e32 v6, 1, v6
	s_mov_b32 s21, -1
                                        ; implicit-def: $vgpr11
	s_delay_alu instid0(VALU_DEP_1)
	v_and_b32_e32 v6, 63, v6
; %bb.101:                              ;   in Loop: Header=BB90_98 Depth=2
	s_and_not1_saveexec_b32 s22, s22
	s_cbranch_execz .LBB90_105
; %bb.102:                              ;   in Loop: Header=BB90_98 Depth=2
	v_dual_mov_b32 v7, s18 :: v_dual_mov_b32 v8, s19
	s_mov_b32 s23, -1
	s_mov_b32 s25, exec_lo
	ds_cmpstore_rtn_b64 v[7:8], v11, v[3:4], v[7:8]
	s_waitcnt lgkmcnt(0)
	v_cmpx_eq_u64_e64 s[18:19], v[7:8]
	s_cbranch_execz .LBB90_104
; %bb.103:                              ;   in Loop: Header=BB90_98 Depth=2
	v_lshl_add_u32 v7, v6, 3, v11
	s_xor_b32 s23, exec_lo, -1
	ds_add_f32 v7, v10 offset:520
.LBB90_104:                             ;   in Loop: Header=BB90_98 Depth=2
	s_or_b32 exec_lo, exec_lo, s25
	s_delay_alu instid0(SALU_CYCLE_1) | instskip(SKIP_1) | instid1(SALU_CYCLE_1)
	s_and_not1_b32 s21, s21, exec_lo
	s_and_b32 s23, s23, exec_lo
	s_or_b32 s21, s21, s23
.LBB90_105:                             ;   in Loop: Header=BB90_98 Depth=2
	s_or_b32 exec_lo, exec_lo, s22
	s_delay_alu instid0(SALU_CYCLE_1)
	s_and_b32 s21, s21, exec_lo
                                        ; implicit-def: $vgpr11
.LBB90_106:                             ;   in Loop: Header=BB90_98 Depth=2
	s_and_not1_saveexec_b32 s20, s20
	s_cbranch_execz .LBB90_97
; %bb.107:                              ;   in Loop: Header=BB90_98 Depth=2
	v_lshl_add_u32 v7, v6, 3, v11
	s_and_not1_b32 s21, s21, exec_lo
	ds_add_f32 v7, v10 offset:520
	s_branch .LBB90_97
.LBB90_108:                             ;   in Loop: Header=BB90_72 Depth=1
	s_or_b32 exec_lo, exec_lo, s15
	s_waitcnt vmcnt(0)
	v_mul_f32_e32 v8, v14, v9
	s_mov_b32 s15, 0
	s_branch .LBB90_110
.LBB90_109:                             ;   in Loop: Header=BB90_110 Depth=2
	s_or_b32 exec_lo, exec_lo, s20
	s_xor_b32 s20, s21, -1
	s_delay_alu instid0(SALU_CYCLE_1) | instskip(NEXT) | instid1(SALU_CYCLE_1)
	s_and_b32 s20, exec_lo, s20
	s_or_b32 s15, s20, s15
	s_delay_alu instid0(SALU_CYCLE_1)
	s_and_not1_b32 exec_lo, exec_lo, s15
	s_cbranch_execz .LBB90_71
.LBB90_110:                             ;   Parent Loop BB90_72 Depth=1
                                        ; =>  This Inner Loop Header: Depth=2
	v_lshl_add_u32 v9, v5, 3, 0
	s_mov_b32 s20, exec_lo
                                        ; implicit-def: $sgpr21
	ds_load_b64 v[6:7], v9
	s_waitcnt lgkmcnt(0)
	v_cmpx_ne_u64_e64 v[6:7], v[3:4]
	s_xor_b32 s20, exec_lo, s20
	s_cbranch_execz .LBB90_118
; %bb.111:                              ;   in Loop: Header=BB90_110 Depth=2
	s_mov_b32 s22, exec_lo
                                        ; implicit-def: $sgpr21
	v_cmpx_ne_u64_e64 s[18:19], v[6:7]
	s_xor_b32 s22, exec_lo, s22
; %bb.112:                              ;   in Loop: Header=BB90_110 Depth=2
	v_add_nc_u32_e32 v5, 1, v5
	s_mov_b32 s21, -1
                                        ; implicit-def: $vgpr9
	s_delay_alu instid0(VALU_DEP_1)
	v_and_b32_e32 v5, 63, v5
; %bb.113:                              ;   in Loop: Header=BB90_110 Depth=2
	s_and_not1_saveexec_b32 s22, s22
	s_cbranch_execz .LBB90_117
; %bb.114:                              ;   in Loop: Header=BB90_110 Depth=2
	v_dual_mov_b32 v6, s18 :: v_dual_mov_b32 v7, s19
	s_mov_b32 s23, -1
	s_mov_b32 s25, exec_lo
	ds_cmpstore_rtn_b64 v[6:7], v9, v[3:4], v[6:7]
	s_waitcnt lgkmcnt(0)
	v_cmpx_eq_u64_e64 s[18:19], v[6:7]
	s_cbranch_execz .LBB90_116
; %bb.115:                              ;   in Loop: Header=BB90_110 Depth=2
	v_lshl_add_u32 v6, v5, 3, v9
	s_xor_b32 s23, exec_lo, -1
	ds_add_f32 v6, v8 offset:524
.LBB90_116:                             ;   in Loop: Header=BB90_110 Depth=2
	s_or_b32 exec_lo, exec_lo, s25
	s_delay_alu instid0(SALU_CYCLE_1) | instskip(SKIP_1) | instid1(SALU_CYCLE_1)
	s_and_not1_b32 s21, s21, exec_lo
	s_and_b32 s23, s23, exec_lo
	s_or_b32 s21, s21, s23
.LBB90_117:                             ;   in Loop: Header=BB90_110 Depth=2
	s_or_b32 exec_lo, exec_lo, s22
	s_delay_alu instid0(SALU_CYCLE_1)
	s_and_b32 s21, s21, exec_lo
                                        ; implicit-def: $vgpr9
.LBB90_118:                             ;   in Loop: Header=BB90_110 Depth=2
	s_and_not1_saveexec_b32 s20, s20
	s_cbranch_execz .LBB90_109
; %bb.119:                              ;   in Loop: Header=BB90_110 Depth=2
	v_lshl_add_u32 v6, v5, 3, v9
	s_and_not1_b32 s21, s21, exec_lo
	ds_add_f32 v6, v8 offset:524
	s_branch .LBB90_109
.LBB90_120:
	s_or_b32 exec_lo, exec_lo, s10
.LBB90_121:
	s_waitcnt lgkmcnt(0)
	s_barrier
	buffer_gl0_inv
	s_and_saveexec_b32 s3, s2
	s_cbranch_execz .LBB90_124
; %bb.122:
	ds_load_b64 v[1:2], v13
	s_waitcnt lgkmcnt(0)
	v_cmp_gt_i64_e32 vcc_lo, s[18:19], v[1:2]
	s_and_b32 exec_lo, exec_lo, vcc_lo
	s_cbranch_execz .LBB90_124
; %bb.123:
	s_load_b128 s[4:7], s[0:1], 0x80
	v_mov_b32_e32 v3, 0
	s_lshl_b64 s[2:3], s[16:17], 3
	s_load_b64 s[0:1], s[0:1], 0x90
	ds_load_2addr_b64 v[4:7], v3 offset1:1
	s_waitcnt lgkmcnt(0)
	s_add_u32 s2, s4, s2
	s_addc_u32 s3, s5, s3
	s_load_b64 s[2:3], s[2:3], 0x0
	ds_load_2addr_b64 v[8:11], v3 offset0:2 offset1:3
	ds_load_2addr_b64 v[12:15], v3 offset0:4 offset1:5
	;; [unrolled: 1-line block ×11, first 2 shown]
	v_cmp_gt_i64_e32 vcc_lo, v[1:2], v[4:5]
	v_cndmask_b32_e64 v4, 0, 1, vcc_lo
	v_cmp_gt_i64_e32 vcc_lo, v[1:2], v[6:7]
	v_cndmask_b32_e64 v5, 0, 1, vcc_lo
	s_waitcnt lgkmcnt(0)
	v_cmp_gt_i64_e32 vcc_lo, v[1:2], v[8:9]
	s_sub_u32 s2, s2, s14
	s_subb_u32 s3, s3, 0
	v_add_co_u32 v4, s2, s2, v4
	s_delay_alu instid0(VALU_DEP_1) | instskip(SKIP_1) | instid1(VALU_DEP_3)
	v_add_co_ci_u32_e64 v6, null, s3, 0, s2
	v_cndmask_b32_e64 v7, 0, 1, vcc_lo
	v_add_co_u32 v4, vcc_lo, v4, v5
	s_delay_alu instid0(VALU_DEP_3)
	v_add_co_ci_u32_e32 v5, vcc_lo, 0, v6, vcc_lo
	v_cmp_gt_i64_e32 vcc_lo, v[1:2], v[10:11]
	s_cmp_eq_u32 s24, 0
	s_cselect_b32 s2, 1, 2
	s_cselect_b32 s3, 2, 1
	v_cndmask_b32_e64 v6, 0, 1, vcc_lo
	v_add_co_u32 v4, vcc_lo, v4, v7
	v_add_co_ci_u32_e32 v5, vcc_lo, 0, v5, vcc_lo
	v_cmp_gt_i64_e32 vcc_lo, v[1:2], v[12:13]
	v_cndmask_b32_e64 v7, 0, 1, vcc_lo
	s_delay_alu instid0(VALU_DEP_4) | instskip(NEXT) | instid1(VALU_DEP_4)
	v_add_co_u32 v4, vcc_lo, v4, v6
	v_add_co_ci_u32_e32 v5, vcc_lo, 0, v5, vcc_lo
	v_cmp_gt_i64_e32 vcc_lo, v[1:2], v[14:15]
	v_cndmask_b32_e64 v6, 0, 1, vcc_lo
	s_delay_alu instid0(VALU_DEP_4) | instskip(NEXT) | instid1(VALU_DEP_4)
	v_add_co_u32 v4, vcc_lo, v4, v7
	v_add_co_ci_u32_e32 v5, vcc_lo, 0, v5, vcc_lo
	v_cmp_gt_i64_e32 vcc_lo, v[1:2], v[16:17]
	v_cndmask_b32_e64 v7, 0, 1, vcc_lo
	s_delay_alu instid0(VALU_DEP_4) | instskip(NEXT) | instid1(VALU_DEP_4)
	v_add_co_u32 v4, vcc_lo, v4, v6
	v_add_co_ci_u32_e32 v5, vcc_lo, 0, v5, vcc_lo
	v_cmp_gt_i64_e32 vcc_lo, v[1:2], v[18:19]
	v_cndmask_b32_e64 v6, 0, 1, vcc_lo
	s_delay_alu instid0(VALU_DEP_4) | instskip(NEXT) | instid1(VALU_DEP_4)
	v_add_co_u32 v4, vcc_lo, v4, v7
	v_add_co_ci_u32_e32 v5, vcc_lo, 0, v5, vcc_lo
	v_cmp_gt_i64_e32 vcc_lo, v[1:2], v[20:21]
	v_cndmask_b32_e64 v7, 0, 1, vcc_lo
	s_delay_alu instid0(VALU_DEP_4) | instskip(NEXT) | instid1(VALU_DEP_4)
	v_add_co_u32 v4, vcc_lo, v4, v6
	v_add_co_ci_u32_e32 v5, vcc_lo, 0, v5, vcc_lo
	v_cmp_gt_i64_e32 vcc_lo, v[1:2], v[22:23]
	v_cndmask_b32_e64 v6, 0, 1, vcc_lo
	s_delay_alu instid0(VALU_DEP_4) | instskip(NEXT) | instid1(VALU_DEP_4)
	v_add_co_u32 v4, vcc_lo, v4, v7
	v_add_co_ci_u32_e32 v5, vcc_lo, 0, v5, vcc_lo
	v_cmp_gt_i64_e32 vcc_lo, v[1:2], v[24:25]
	v_cndmask_b32_e64 v7, 0, 1, vcc_lo
	s_delay_alu instid0(VALU_DEP_4) | instskip(NEXT) | instid1(VALU_DEP_4)
	v_add_co_u32 v4, vcc_lo, v4, v6
	v_add_co_ci_u32_e32 v5, vcc_lo, 0, v5, vcc_lo
	v_cmp_gt_i64_e32 vcc_lo, v[1:2], v[26:27]
	v_cndmask_b32_e64 v6, 0, 1, vcc_lo
	s_delay_alu instid0(VALU_DEP_4) | instskip(NEXT) | instid1(VALU_DEP_4)
	v_add_co_u32 v4, vcc_lo, v4, v7
	v_add_co_ci_u32_e32 v5, vcc_lo, 0, v5, vcc_lo
	v_cmp_gt_i64_e32 vcc_lo, v[1:2], v[28:29]
	v_cndmask_b32_e64 v7, 0, 1, vcc_lo
	s_delay_alu instid0(VALU_DEP_4) | instskip(NEXT) | instid1(VALU_DEP_4)
	v_add_co_u32 v4, vcc_lo, v4, v6
	v_add_co_ci_u32_e32 v5, vcc_lo, 0, v5, vcc_lo
	v_cmp_gt_i64_e32 vcc_lo, v[1:2], v[30:31]
	v_cndmask_b32_e64 v6, 0, 1, vcc_lo
	s_delay_alu instid0(VALU_DEP_4) | instskip(NEXT) | instid1(VALU_DEP_4)
	v_add_co_u32 v4, vcc_lo, v4, v7
	v_add_co_ci_u32_e32 v5, vcc_lo, 0, v5, vcc_lo
	v_cmp_gt_i64_e32 vcc_lo, v[1:2], v[32:33]
	v_cndmask_b32_e64 v7, 0, 1, vcc_lo
	s_delay_alu instid0(VALU_DEP_4) | instskip(NEXT) | instid1(VALU_DEP_4)
	v_add_co_u32 v4, vcc_lo, v4, v6
	v_add_co_ci_u32_e32 v5, vcc_lo, 0, v5, vcc_lo
	v_cmp_gt_i64_e32 vcc_lo, v[1:2], v[34:35]
	v_cndmask_b32_e64 v6, 0, 1, vcc_lo
	s_delay_alu instid0(VALU_DEP_4) | instskip(NEXT) | instid1(VALU_DEP_4)
	v_add_co_u32 v4, vcc_lo, v4, v7
	v_add_co_ci_u32_e32 v5, vcc_lo, 0, v5, vcc_lo
	v_cmp_gt_i64_e32 vcc_lo, v[1:2], v[36:37]
	v_cndmask_b32_e64 v7, 0, 1, vcc_lo
	s_delay_alu instid0(VALU_DEP_4) | instskip(NEXT) | instid1(VALU_DEP_4)
	v_add_co_u32 v4, vcc_lo, v4, v6
	v_add_co_ci_u32_e32 v5, vcc_lo, 0, v5, vcc_lo
	v_cmp_gt_i64_e32 vcc_lo, v[1:2], v[38:39]
	v_cndmask_b32_e64 v6, 0, 1, vcc_lo
	s_delay_alu instid0(VALU_DEP_4) | instskip(NEXT) | instid1(VALU_DEP_4)
	v_add_co_u32 v4, vcc_lo, v4, v7
	v_add_co_ci_u32_e32 v5, vcc_lo, 0, v5, vcc_lo
	v_cmp_gt_i64_e32 vcc_lo, v[1:2], v[40:41]
	v_cndmask_b32_e64 v7, 0, 1, vcc_lo
	s_delay_alu instid0(VALU_DEP_4) | instskip(NEXT) | instid1(VALU_DEP_4)
	v_add_co_u32 v4, vcc_lo, v4, v6
	v_add_co_ci_u32_e32 v5, vcc_lo, 0, v5, vcc_lo
	v_cmp_gt_i64_e32 vcc_lo, v[1:2], v[42:43]
	v_cndmask_b32_e64 v6, 0, 1, vcc_lo
	s_delay_alu instid0(VALU_DEP_4) | instskip(NEXT) | instid1(VALU_DEP_4)
	v_add_co_u32 v4, vcc_lo, v4, v7
	v_add_co_ci_u32_e32 v5, vcc_lo, 0, v5, vcc_lo
	v_cmp_gt_i64_e32 vcc_lo, v[1:2], v[44:45]
	v_cndmask_b32_e64 v8, 0, 1, vcc_lo
	s_delay_alu instid0(VALU_DEP_4) | instskip(NEXT) | instid1(VALU_DEP_4)
	v_add_co_u32 v9, vcc_lo, v4, v6
	v_add_co_ci_u32_e32 v10, vcc_lo, 0, v5, vcc_lo
	v_cmp_gt_i64_e32 vcc_lo, v[1:2], v[46:47]
	ds_load_2addr_b64 v[4:7], v3 offset0:24 offset1:25
	v_cndmask_b32_e64 v11, 0, 1, vcc_lo
	v_add_co_u32 v8, vcc_lo, v9, v8
	v_add_co_ci_u32_e32 v9, vcc_lo, 0, v10, vcc_lo
	s_delay_alu instid0(VALU_DEP_2) | instskip(NEXT) | instid1(VALU_DEP_2)
	v_add_co_u32 v12, vcc_lo, v8, v11
	v_add_co_ci_u32_e32 v13, vcc_lo, 0, v9, vcc_lo
	ds_load_2addr_b64 v[8:11], v3 offset0:26 offset1:27
	v_cmp_gt_i64_e32 vcc_lo, v[1:2], v[48:49]
	v_cndmask_b32_e64 v14, 0, 1, vcc_lo
	v_cmp_gt_i64_e32 vcc_lo, v[1:2], v[50:51]
	v_cndmask_b32_e64 v15, 0, 1, vcc_lo
	s_delay_alu instid0(VALU_DEP_3) | instskip(SKIP_1) | instid1(VALU_DEP_2)
	v_add_co_u32 v12, vcc_lo, v12, v14
	v_add_co_ci_u32_e32 v13, vcc_lo, 0, v13, vcc_lo
	v_add_co_u32 v12, vcc_lo, v12, v15
	s_delay_alu instid0(VALU_DEP_2)
	v_add_co_ci_u32_e32 v13, vcc_lo, 0, v13, vcc_lo
	s_waitcnt lgkmcnt(1)
	v_cmp_gt_i64_e32 vcc_lo, v[1:2], v[4:5]
	v_cndmask_b32_e64 v14, 0, 1, vcc_lo
	v_cmp_gt_i64_e32 vcc_lo, v[1:2], v[6:7]
	ds_load_2addr_b64 v[4:7], v3 offset0:28 offset1:29
	v_cndmask_b32_e64 v15, 0, 1, vcc_lo
	v_add_co_u32 v12, vcc_lo, v12, v14
	v_add_co_ci_u32_e32 v13, vcc_lo, 0, v13, vcc_lo
	s_waitcnt lgkmcnt(1)
	v_cmp_gt_i64_e32 vcc_lo, v[1:2], v[8:9]
	v_cndmask_b32_e64 v8, 0, 1, vcc_lo
	v_add_co_u32 v9, vcc_lo, v12, v15
	v_add_co_ci_u32_e32 v12, vcc_lo, 0, v13, vcc_lo
	v_cmp_gt_i64_e32 vcc_lo, v[1:2], v[10:11]
	v_cndmask_b32_e64 v13, 0, 1, vcc_lo
	s_delay_alu instid0(VALU_DEP_4) | instskip(SKIP_3) | instid1(VALU_DEP_2)
	v_add_co_u32 v14, vcc_lo, v9, v8
	ds_load_2addr_b64 v[8:11], v3 offset0:30 offset1:31
	v_add_co_ci_u32_e32 v12, vcc_lo, 0, v12, vcc_lo
	v_add_co_u32 v16, vcc_lo, v14, v13
	v_add_co_ci_u32_e32 v17, vcc_lo, 0, v12, vcc_lo
	s_waitcnt lgkmcnt(1)
	v_cmp_gt_i64_e32 vcc_lo, v[1:2], v[4:5]
	ds_load_2addr_b64 v[12:15], v3 offset0:32 offset1:33
	v_cndmask_b32_e64 v4, 0, 1, vcc_lo
	v_cmp_gt_i64_e32 vcc_lo, v[1:2], v[6:7]
	v_cndmask_b32_e64 v5, 0, 1, vcc_lo
	s_delay_alu instid0(VALU_DEP_3) | instskip(SKIP_1) | instid1(VALU_DEP_2)
	v_add_co_u32 v4, vcc_lo, v16, v4
	v_add_co_ci_u32_e32 v6, vcc_lo, 0, v17, vcc_lo
	v_add_co_u32 v16, vcc_lo, v4, v5
	s_delay_alu instid0(VALU_DEP_2)
	v_add_co_ci_u32_e32 v17, vcc_lo, 0, v6, vcc_lo
	ds_load_2addr_b64 v[4:7], v3 offset0:34 offset1:35
	s_waitcnt lgkmcnt(2)
	v_cmp_gt_i64_e32 vcc_lo, v[1:2], v[8:9]
	v_cndmask_b32_e64 v8, 0, 1, vcc_lo
	v_cmp_gt_i64_e32 vcc_lo, v[1:2], v[10:11]
	v_cndmask_b32_e64 v9, 0, 1, vcc_lo
	s_delay_alu instid0(VALU_DEP_3)
	v_add_co_u32 v8, vcc_lo, v16, v8
	v_add_co_ci_u32_e32 v10, vcc_lo, 0, v17, vcc_lo
	s_waitcnt lgkmcnt(1)
	v_cmp_gt_i64_e32 vcc_lo, v[1:2], v[12:13]
	v_cndmask_b32_e64 v11, 0, 1, vcc_lo
	v_add_co_u32 v8, vcc_lo, v8, v9
	v_add_co_ci_u32_e32 v9, vcc_lo, 0, v10, vcc_lo
	v_cmp_gt_i64_e32 vcc_lo, v[1:2], v[14:15]
	v_cndmask_b32_e64 v12, 0, 1, vcc_lo
	s_delay_alu instid0(VALU_DEP_4) | instskip(NEXT) | instid1(VALU_DEP_4)
	v_add_co_u32 v13, vcc_lo, v8, v11
	v_add_co_ci_u32_e32 v14, vcc_lo, 0, v9, vcc_lo
	ds_load_2addr_b64 v[8:11], v3 offset0:36 offset1:37
	v_add_co_u32 v16, vcc_lo, v13, v12
	v_add_co_ci_u32_e32 v17, vcc_lo, 0, v14, vcc_lo
	ds_load_2addr_b64 v[12:15], v3 offset0:38 offset1:39
	s_waitcnt lgkmcnt(2)
	v_cmp_gt_i64_e32 vcc_lo, v[1:2], v[4:5]
	v_cndmask_b32_e64 v4, 0, 1, vcc_lo
	v_cmp_gt_i64_e32 vcc_lo, v[1:2], v[6:7]
	v_cndmask_b32_e64 v5, 0, 1, vcc_lo
	s_delay_alu instid0(VALU_DEP_3) | instskip(SKIP_1) | instid1(VALU_DEP_2)
	v_add_co_u32 v4, vcc_lo, v16, v4
	v_add_co_ci_u32_e32 v6, vcc_lo, 0, v17, vcc_lo
	v_add_co_u32 v16, vcc_lo, v4, v5
	s_delay_alu instid0(VALU_DEP_2)
	v_add_co_ci_u32_e32 v17, vcc_lo, 0, v6, vcc_lo
	s_waitcnt lgkmcnt(1)
	v_cmp_gt_i64_e32 vcc_lo, v[1:2], v[8:9]
	ds_load_2addr_b64 v[4:7], v3 offset0:40 offset1:41
	v_cndmask_b32_e64 v8, 0, 1, vcc_lo
	v_cmp_gt_i64_e32 vcc_lo, v[1:2], v[10:11]
	v_cndmask_b32_e64 v9, 0, 1, vcc_lo
	s_delay_alu instid0(VALU_DEP_3)
	v_add_co_u32 v8, vcc_lo, v16, v8
	v_add_co_ci_u32_e32 v10, vcc_lo, 0, v17, vcc_lo
	s_waitcnt lgkmcnt(1)
	v_cmp_gt_i64_e32 vcc_lo, v[1:2], v[12:13]
	v_cndmask_b32_e64 v11, 0, 1, vcc_lo
	v_add_co_u32 v8, vcc_lo, v8, v9
	v_add_co_ci_u32_e32 v9, vcc_lo, 0, v10, vcc_lo
	v_cmp_gt_i64_e32 vcc_lo, v[1:2], v[14:15]
	v_cndmask_b32_e64 v12, 0, 1, vcc_lo
	s_delay_alu instid0(VALU_DEP_4) | instskip(NEXT) | instid1(VALU_DEP_4)
	v_add_co_u32 v13, vcc_lo, v8, v11
	v_add_co_ci_u32_e32 v14, vcc_lo, 0, v9, vcc_lo
	ds_load_2addr_b64 v[8:11], v3 offset0:42 offset1:43
	v_add_co_u32 v16, vcc_lo, v13, v12
	v_add_co_ci_u32_e32 v17, vcc_lo, 0, v14, vcc_lo
	s_waitcnt lgkmcnt(1)
	v_cmp_gt_i64_e32 vcc_lo, v[1:2], v[4:5]
	ds_load_2addr_b64 v[12:15], v3 offset0:44 offset1:45
	v_cndmask_b32_e64 v4, 0, 1, vcc_lo
	v_cmp_gt_i64_e32 vcc_lo, v[1:2], v[6:7]
	v_cndmask_b32_e64 v5, 0, 1, vcc_lo
	s_delay_alu instid0(VALU_DEP_3) | instskip(SKIP_1) | instid1(VALU_DEP_2)
	v_add_co_u32 v4, vcc_lo, v16, v4
	v_add_co_ci_u32_e32 v6, vcc_lo, 0, v17, vcc_lo
	v_add_co_u32 v16, vcc_lo, v4, v5
	s_delay_alu instid0(VALU_DEP_2)
	v_add_co_ci_u32_e32 v17, vcc_lo, 0, v6, vcc_lo
	ds_load_2addr_b64 v[4:7], v3 offset0:46 offset1:47
	s_waitcnt lgkmcnt(2)
	v_cmp_gt_i64_e32 vcc_lo, v[1:2], v[8:9]
	v_cndmask_b32_e64 v8, 0, 1, vcc_lo
	v_cmp_gt_i64_e32 vcc_lo, v[1:2], v[10:11]
	v_cndmask_b32_e64 v9, 0, 1, vcc_lo
	s_delay_alu instid0(VALU_DEP_3)
	v_add_co_u32 v8, vcc_lo, v16, v8
	v_add_co_ci_u32_e32 v10, vcc_lo, 0, v17, vcc_lo
	s_waitcnt lgkmcnt(1)
	v_cmp_gt_i64_e32 vcc_lo, v[1:2], v[12:13]
	v_cndmask_b32_e64 v11, 0, 1, vcc_lo
	v_add_co_u32 v8, vcc_lo, v8, v9
	v_add_co_ci_u32_e32 v9, vcc_lo, 0, v10, vcc_lo
	v_cmp_gt_i64_e32 vcc_lo, v[1:2], v[14:15]
	v_cndmask_b32_e64 v12, 0, 1, vcc_lo
	s_delay_alu instid0(VALU_DEP_4) | instskip(NEXT) | instid1(VALU_DEP_4)
	v_add_co_u32 v13, vcc_lo, v8, v11
	v_add_co_ci_u32_e32 v14, vcc_lo, 0, v9, vcc_lo
	ds_load_2addr_b64 v[8:11], v3 offset0:48 offset1:49
	v_add_co_u32 v16, vcc_lo, v13, v12
	v_add_co_ci_u32_e32 v17, vcc_lo, 0, v14, vcc_lo
	ds_load_2addr_b64 v[12:15], v3 offset0:50 offset1:51
	s_waitcnt lgkmcnt(2)
	v_cmp_gt_i64_e32 vcc_lo, v[1:2], v[4:5]
	v_cndmask_b32_e64 v4, 0, 1, vcc_lo
	v_cmp_gt_i64_e32 vcc_lo, v[1:2], v[6:7]
	v_cndmask_b32_e64 v5, 0, 1, vcc_lo
	s_delay_alu instid0(VALU_DEP_3) | instskip(SKIP_1) | instid1(VALU_DEP_2)
	v_add_co_u32 v4, vcc_lo, v16, v4
	v_add_co_ci_u32_e32 v6, vcc_lo, 0, v17, vcc_lo
	v_add_co_u32 v16, vcc_lo, v4, v5
	s_delay_alu instid0(VALU_DEP_2)
	v_add_co_ci_u32_e32 v17, vcc_lo, 0, v6, vcc_lo
	s_waitcnt lgkmcnt(1)
	v_cmp_gt_i64_e32 vcc_lo, v[1:2], v[8:9]
	ds_load_2addr_b64 v[4:7], v3 offset0:52 offset1:53
	v_cndmask_b32_e64 v8, 0, 1, vcc_lo
	v_cmp_gt_i64_e32 vcc_lo, v[1:2], v[10:11]
	v_cndmask_b32_e64 v9, 0, 1, vcc_lo
	s_delay_alu instid0(VALU_DEP_3)
	v_add_co_u32 v8, vcc_lo, v16, v8
	v_add_co_ci_u32_e32 v10, vcc_lo, 0, v17, vcc_lo
	s_waitcnt lgkmcnt(1)
	v_cmp_gt_i64_e32 vcc_lo, v[1:2], v[12:13]
	v_cndmask_b32_e64 v11, 0, 1, vcc_lo
	v_add_co_u32 v8, vcc_lo, v8, v9
	v_add_co_ci_u32_e32 v9, vcc_lo, 0, v10, vcc_lo
	v_cmp_gt_i64_e32 vcc_lo, v[1:2], v[14:15]
	v_cndmask_b32_e64 v12, 0, 1, vcc_lo
	s_delay_alu instid0(VALU_DEP_4) | instskip(NEXT) | instid1(VALU_DEP_4)
	v_add_co_u32 v13, vcc_lo, v8, v11
	v_add_co_ci_u32_e32 v14, vcc_lo, 0, v9, vcc_lo
	ds_load_2addr_b64 v[8:11], v3 offset0:54 offset1:55
	v_add_co_u32 v16, vcc_lo, v13, v12
	v_add_co_ci_u32_e32 v17, vcc_lo, 0, v14, vcc_lo
	s_waitcnt lgkmcnt(1)
	v_cmp_gt_i64_e32 vcc_lo, v[1:2], v[4:5]
	ds_load_2addr_b64 v[12:15], v3 offset0:56 offset1:57
	v_cndmask_b32_e64 v4, 0, 1, vcc_lo
	v_cmp_gt_i64_e32 vcc_lo, v[1:2], v[6:7]
	v_cndmask_b32_e64 v5, 0, 1, vcc_lo
	s_delay_alu instid0(VALU_DEP_3) | instskip(SKIP_1) | instid1(VALU_DEP_2)
	v_add_co_u32 v4, vcc_lo, v16, v4
	v_add_co_ci_u32_e32 v6, vcc_lo, 0, v17, vcc_lo
	v_add_co_u32 v16, vcc_lo, v4, v5
	s_delay_alu instid0(VALU_DEP_2)
	v_add_co_ci_u32_e32 v17, vcc_lo, 0, v6, vcc_lo
	ds_load_2addr_b64 v[4:7], v3 offset0:58 offset1:59
	s_waitcnt lgkmcnt(2)
	v_cmp_gt_i64_e32 vcc_lo, v[1:2], v[8:9]
	v_cndmask_b32_e64 v8, 0, 1, vcc_lo
	v_cmp_gt_i64_e32 vcc_lo, v[1:2], v[10:11]
	v_cndmask_b32_e64 v9, 0, 1, vcc_lo
	s_delay_alu instid0(VALU_DEP_3)
	v_add_co_u32 v8, vcc_lo, v16, v8
	v_add_co_ci_u32_e32 v10, vcc_lo, 0, v17, vcc_lo
	s_waitcnt lgkmcnt(1)
	v_cmp_gt_i64_e32 vcc_lo, v[1:2], v[12:13]
	v_cndmask_b32_e64 v12, 0, 1, vcc_lo
	v_add_co_u32 v13, vcc_lo, v8, v9
	v_add_co_ci_u32_e32 v16, vcc_lo, 0, v10, vcc_lo
	ds_load_2addr_b64 v[8:11], v3 offset0:60 offset1:61
	v_add_co_u32 v17, vcc_lo, v13, v12
	v_add_co_ci_u32_e32 v16, vcc_lo, 0, v16, vcc_lo
	v_cmp_gt_i64_e32 vcc_lo, v[1:2], v[14:15]
	ds_load_2addr_b64 v[12:15], v3 offset0:62 offset1:63
	v_cndmask_b32_e64 v18, 0, 1, vcc_lo
	s_waitcnt lgkmcnt(2)
	v_cmp_gt_i64_e32 vcc_lo, v[1:2], v[4:5]
	v_cndmask_b32_e64 v4, 0, 1, vcc_lo
	s_delay_alu instid0(VALU_DEP_3) | instskip(SKIP_3) | instid1(VALU_DEP_4)
	v_add_co_u32 v3, vcc_lo, v17, v18
	v_add_co_ci_u32_e32 v5, vcc_lo, 0, v16, vcc_lo
	v_cmp_gt_i64_e32 vcc_lo, v[1:2], v[6:7]
	v_cndmask_b32_e64 v6, 0, 1, vcc_lo
	v_add_co_u32 v3, vcc_lo, v3, v4
	s_delay_alu instid0(VALU_DEP_4)
	v_add_co_ci_u32_e32 v4, vcc_lo, 0, v5, vcc_lo
	s_waitcnt lgkmcnt(1)
	v_cmp_gt_i64_e32 vcc_lo, v[1:2], v[8:9]
	v_cndmask_b32_e64 v5, 0, 1, vcc_lo
	v_add_co_u32 v3, vcc_lo, v3, v6
	v_add_co_ci_u32_e32 v4, vcc_lo, 0, v4, vcc_lo
	v_cmp_gt_i64_e32 vcc_lo, v[1:2], v[10:11]
	v_cndmask_b32_e64 v6, 0, 1, vcc_lo
	s_delay_alu instid0(VALU_DEP_4) | instskip(NEXT) | instid1(VALU_DEP_4)
	v_add_co_u32 v3, vcc_lo, v3, v5
	v_add_co_ci_u32_e32 v4, vcc_lo, 0, v4, vcc_lo
	s_waitcnt lgkmcnt(0)
	v_cmp_gt_i64_e32 vcc_lo, v[1:2], v[12:13]
	v_cndmask_b32_e64 v5, 0, 1, vcc_lo
	v_add_co_u32 v3, vcc_lo, v3, v6
	v_add_co_ci_u32_e32 v4, vcc_lo, 0, v4, vcc_lo
	v_lshlrev_b32_e32 v6, 2, v0
	s_delay_alu instid0(VALU_DEP_3) | instskip(NEXT) | instid1(VALU_DEP_3)
	v_add_co_u32 v3, vcc_lo, v3, v5
	v_add_co_ci_u32_e32 v4, vcc_lo, 0, v4, vcc_lo
	v_cmp_gt_i64_e32 vcc_lo, v[1:2], v[14:15]
	v_lshlrev_b32_e32 v0, 4, v0
	v_or_b32_e32 v5, s2, v6
	v_or_b32_e32 v6, s3, v6
	v_cndmask_b32_e64 v7, 0, 1, vcc_lo
	s_delay_alu instid0(VALU_DEP_4) | instskip(NEXT) | instid1(VALU_DEP_4)
	v_add_nc_u32_e32 v9, 0, v0
	v_lshl_add_u32 v10, v5, 2, 0
	s_delay_alu instid0(VALU_DEP_4)
	v_lshl_add_u32 v5, v6, 2, 0
	v_add3_u32 v0, 0, 0x200, v0
	v_add_co_u32 v7, vcc_lo, v3, v7
	v_add_co_ci_u32_e32 v8, vcc_lo, 0, v4, vcc_lo
	ds_load_b32 v3, v9 offset:512
	ds_load_b32 v5, v5 offset:512
	;; [unrolled: 1-line block ×4, first 2 shown]
	v_add_co_u32 v0, vcc_lo, v1, s14
	v_lshlrev_b64 v[9:10], 3, v[7:8]
	v_lshlrev_b64 v[7:8], 4, v[7:8]
	v_add_co_ci_u32_e32 v1, vcc_lo, 0, v2, vcc_lo
	s_delay_alu instid0(VALU_DEP_3) | instskip(NEXT) | instid1(VALU_DEP_4)
	v_add_co_u32 v9, vcc_lo, s6, v9
	v_add_co_ci_u32_e32 v10, vcc_lo, s7, v10, vcc_lo
	s_delay_alu instid0(VALU_DEP_4)
	v_add_co_u32 v7, vcc_lo, s0, v7
	v_add_co_ci_u32_e32 v8, vcc_lo, s1, v8, vcc_lo
	global_store_b64 v[9:10], v[0:1], off
	s_waitcnt lgkmcnt(0)
	global_store_b128 v[7:8], v[3:6], off
.LBB90_124:
	s_nop 0
	s_sendmsg sendmsg(MSG_DEALLOC_VGPRS)
	s_endpgm
	.section	.rodata,"a",@progbits
	.p2align	6, 0x0
	.amdhsa_kernel _ZN9rocsparseL30bsrgemm_fill_block_per_row_2x2ILj256ELj16ELj64ELj137EllfEEv20rocsparse_direction_T4_S2_PKS2_S4_NS_24const_host_device_scalarIT5_EEPKT3_S4_PKS6_SA_S4_SC_S7_SA_S4_SC_SA_PS2_PS6_21rocsparse_index_base_SF_SF_SF_bbb
		.amdhsa_group_segment_fixed_size 0
		.amdhsa_private_segment_fixed_size 0
		.amdhsa_kernarg_size 172
		.amdhsa_user_sgpr_count 15
		.amdhsa_user_sgpr_dispatch_ptr 0
		.amdhsa_user_sgpr_queue_ptr 0
		.amdhsa_user_sgpr_kernarg_segment_ptr 1
		.amdhsa_user_sgpr_dispatch_id 0
		.amdhsa_user_sgpr_private_segment_size 0
		.amdhsa_wavefront_size32 1
		.amdhsa_uses_dynamic_stack 0
		.amdhsa_enable_private_segment 0
		.amdhsa_system_sgpr_workgroup_id_x 1
		.amdhsa_system_sgpr_workgroup_id_y 0
		.amdhsa_system_sgpr_workgroup_id_z 0
		.amdhsa_system_sgpr_workgroup_info 0
		.amdhsa_system_vgpr_workitem_id 0
		.amdhsa_next_free_vgpr 52
		.amdhsa_next_free_sgpr 38
		.amdhsa_reserve_vcc 1
		.amdhsa_float_round_mode_32 0
		.amdhsa_float_round_mode_16_64 0
		.amdhsa_float_denorm_mode_32 3
		.amdhsa_float_denorm_mode_16_64 3
		.amdhsa_dx10_clamp 1
		.amdhsa_ieee_mode 1
		.amdhsa_fp16_overflow 0
		.amdhsa_workgroup_processor_mode 1
		.amdhsa_memory_ordered 1
		.amdhsa_forward_progress 0
		.amdhsa_shared_vgpr_count 0
		.amdhsa_exception_fp_ieee_invalid_op 0
		.amdhsa_exception_fp_denorm_src 0
		.amdhsa_exception_fp_ieee_div_zero 0
		.amdhsa_exception_fp_ieee_overflow 0
		.amdhsa_exception_fp_ieee_underflow 0
		.amdhsa_exception_fp_ieee_inexact 0
		.amdhsa_exception_int_div_zero 0
	.end_amdhsa_kernel
	.section	.text._ZN9rocsparseL30bsrgemm_fill_block_per_row_2x2ILj256ELj16ELj64ELj137EllfEEv20rocsparse_direction_T4_S2_PKS2_S4_NS_24const_host_device_scalarIT5_EEPKT3_S4_PKS6_SA_S4_SC_S7_SA_S4_SC_SA_PS2_PS6_21rocsparse_index_base_SF_SF_SF_bbb,"axG",@progbits,_ZN9rocsparseL30bsrgemm_fill_block_per_row_2x2ILj256ELj16ELj64ELj137EllfEEv20rocsparse_direction_T4_S2_PKS2_S4_NS_24const_host_device_scalarIT5_EEPKT3_S4_PKS6_SA_S4_SC_S7_SA_S4_SC_SA_PS2_PS6_21rocsparse_index_base_SF_SF_SF_bbb,comdat
.Lfunc_end90:
	.size	_ZN9rocsparseL30bsrgemm_fill_block_per_row_2x2ILj256ELj16ELj64ELj137EllfEEv20rocsparse_direction_T4_S2_PKS2_S4_NS_24const_host_device_scalarIT5_EEPKT3_S4_PKS6_SA_S4_SC_S7_SA_S4_SC_SA_PS2_PS6_21rocsparse_index_base_SF_SF_SF_bbb, .Lfunc_end90-_ZN9rocsparseL30bsrgemm_fill_block_per_row_2x2ILj256ELj16ELj64ELj137EllfEEv20rocsparse_direction_T4_S2_PKS2_S4_NS_24const_host_device_scalarIT5_EEPKT3_S4_PKS6_SA_S4_SC_S7_SA_S4_SC_SA_PS2_PS6_21rocsparse_index_base_SF_SF_SF_bbb
                                        ; -- End function
	.section	.AMDGPU.csdata,"",@progbits
; Kernel info:
; codeLenInByte = 6012
; NumSgprs: 40
; NumVgprs: 52
; ScratchSize: 0
; MemoryBound: 0
; FloatMode: 240
; IeeeMode: 1
; LDSByteSize: 0 bytes/workgroup (compile time only)
; SGPRBlocks: 4
; VGPRBlocks: 6
; NumSGPRsForWavesPerEU: 40
; NumVGPRsForWavesPerEU: 52
; Occupancy: 16
; WaveLimiterHint : 1
; COMPUTE_PGM_RSRC2:SCRATCH_EN: 0
; COMPUTE_PGM_RSRC2:USER_SGPR: 15
; COMPUTE_PGM_RSRC2:TRAP_HANDLER: 0
; COMPUTE_PGM_RSRC2:TGID_X_EN: 1
; COMPUTE_PGM_RSRC2:TGID_Y_EN: 0
; COMPUTE_PGM_RSRC2:TGID_Z_EN: 0
; COMPUTE_PGM_RSRC2:TIDIG_COMP_CNT: 0
	.section	.text._ZN9rocsparseL30bsrgemm_fill_block_per_row_2x2ILj256ELj16ELj128ELj137EllfEEv20rocsparse_direction_T4_S2_PKS2_S4_NS_24const_host_device_scalarIT5_EEPKT3_S4_PKS6_SA_S4_SC_S7_SA_S4_SC_SA_PS2_PS6_21rocsparse_index_base_SF_SF_SF_bbb,"axG",@progbits,_ZN9rocsparseL30bsrgemm_fill_block_per_row_2x2ILj256ELj16ELj128ELj137EllfEEv20rocsparse_direction_T4_S2_PKS2_S4_NS_24const_host_device_scalarIT5_EEPKT3_S4_PKS6_SA_S4_SC_S7_SA_S4_SC_SA_PS2_PS6_21rocsparse_index_base_SF_SF_SF_bbb,comdat
	.globl	_ZN9rocsparseL30bsrgemm_fill_block_per_row_2x2ILj256ELj16ELj128ELj137EllfEEv20rocsparse_direction_T4_S2_PKS2_S4_NS_24const_host_device_scalarIT5_EEPKT3_S4_PKS6_SA_S4_SC_S7_SA_S4_SC_SA_PS2_PS6_21rocsparse_index_base_SF_SF_SF_bbb ; -- Begin function _ZN9rocsparseL30bsrgemm_fill_block_per_row_2x2ILj256ELj16ELj128ELj137EllfEEv20rocsparse_direction_T4_S2_PKS2_S4_NS_24const_host_device_scalarIT5_EEPKT3_S4_PKS6_SA_S4_SC_S7_SA_S4_SC_SA_PS2_PS6_21rocsparse_index_base_SF_SF_SF_bbb
	.p2align	8
	.type	_ZN9rocsparseL30bsrgemm_fill_block_per_row_2x2ILj256ELj16ELj128ELj137EllfEEv20rocsparse_direction_T4_S2_PKS2_S4_NS_24const_host_device_scalarIT5_EEPKT3_S4_PKS6_SA_S4_SC_S7_SA_S4_SC_SA_PS2_PS6_21rocsparse_index_base_SF_SF_SF_bbb,@function
_ZN9rocsparseL30bsrgemm_fill_block_per_row_2x2ILj256ELj16ELj128ELj137EllfEEv20rocsparse_direction_T4_S2_PKS2_S4_NS_24const_host_device_scalarIT5_EEPKT3_S4_PKS6_SA_S4_SC_S7_SA_S4_SC_SA_PS2_PS6_21rocsparse_index_base_SF_SF_SF_bbb: ; @_ZN9rocsparseL30bsrgemm_fill_block_per_row_2x2ILj256ELj16ELj128ELj137EllfEEv20rocsparse_direction_T4_S2_PKS2_S4_NS_24const_host_device_scalarIT5_EEPKT3_S4_PKS6_SA_S4_SC_S7_SA_S4_SC_SA_PS2_PS6_21rocsparse_index_base_SF_SF_SF_bbb
; %bb.0:
	s_clause 0x2
	s_load_b32 s6, s[0:1], 0xa8
	s_load_b64 s[4:5], s[0:1], 0x28
	s_load_b64 s[2:3], s[0:1], 0x60
	s_mov_b32 s34, s15
	s_waitcnt lgkmcnt(0)
	s_bitcmp1_b32 s6, 0
	s_cselect_b32 s42, -1, 0
	s_bitcmp1_b32 s6, 16
	s_cselect_b32 s7, -1, 0
	s_xor_b32 s8, s42, -1
	s_delay_alu instid0(SALU_CYCLE_1) | instskip(NEXT) | instid1(SALU_CYCLE_1)
	s_or_b32 s8, s8, s7
	s_and_b32 vcc_lo, exec_lo, s8
	s_cbranch_vccnz .LBB91_2
; %bb.1:
	s_load_b32 s4, s[4:5], 0x0
	s_waitcnt lgkmcnt(0)
	v_mov_b32_e32 v15, s4
	s_branch .LBB91_3
.LBB91_2:
	v_cndmask_b32_e64 v15, 0, s4, s42
.LBB91_3:
	s_bitcmp1_b32 s6, 8
	s_cselect_b32 s33, -1, 0
	s_delay_alu instid0(SALU_CYCLE_1) | instskip(NEXT) | instid1(SALU_CYCLE_1)
	s_xor_b32 s4, s33, -1
	s_or_b32 s4, s4, s7
	s_delay_alu instid0(SALU_CYCLE_1)
	s_and_b32 vcc_lo, exec_lo, s4
	s_cbranch_vccnz .LBB91_5
; %bb.4:
	s_load_b32 s2, s[2:3], 0x0
	s_waitcnt lgkmcnt(0)
	v_mov_b32_e32 v14, s2
	s_branch .LBB91_6
.LBB91_5:
	v_cndmask_b32_e64 v14, 0, s2, s33
.LBB91_6:
	s_clause 0x1
	s_load_b128 s[20:23], s[0:1], 0x98
	s_load_b64 s[40:41], s[0:1], 0x10
	v_cmp_gt_u32_e64 s2, 0x80, v0
	v_lshl_add_u32 v13, v0, 3, 0
	s_delay_alu instid0(VALU_DEP_2)
	s_and_saveexec_b32 s3, s2
	s_cbranch_execz .LBB91_8
; %bb.7:
	s_waitcnt lgkmcnt(0)
	v_dual_mov_b32 v1, s40 :: v_dual_mov_b32 v2, s41
	ds_store_b64 v13, v[1:2]
.LBB91_8:
	s_or_b32 exec_lo, exec_lo, s3
	s_clause 0x4
	s_load_b128 s[24:27], s[0:1], 0x88
	s_load_b256 s[4:11], s[0:1], 0x68
	s_load_b128 s[28:31], s[0:1], 0x50
	s_load_b128 s[36:39], s[0:1], 0x18
	s_load_b256 s[12:19], s[0:1], 0x30
	s_mov_b32 s3, exec_lo
	v_cmpx_gt_u32_e32 0x200, v0
	s_cbranch_execz .LBB91_11
; %bb.9:
	v_dual_mov_b32 v3, 0 :: v_dual_lshlrev_b32 v2, 2, v0
	v_or_b32_e32 v1, 0xffffff00, v0
	s_mov_b32 s35, 0
	s_delay_alu instid0(VALU_DEP_2)
	v_add3_u32 v2, v2, 0, 0x400
.LBB91_10:                              ; =>This Inner Loop Header: Depth=1
	s_delay_alu instid0(VALU_DEP_2) | instskip(NEXT) | instid1(VALU_DEP_1)
	v_add_co_u32 v1, s43, 0x100, v1
	s_xor_b32 s43, s43, -1
	ds_store_b32 v2, v3
	v_add_nc_u32_e32 v2, 0x400, v2
	s_and_b32 s43, exec_lo, s43
	s_delay_alu instid0(SALU_CYCLE_1) | instskip(NEXT) | instid1(SALU_CYCLE_1)
	s_or_b32 s35, s43, s35
	s_and_not1_b32 exec_lo, exec_lo, s35
	s_cbranch_execnz .LBB91_10
.LBB91_11:
	s_or_b32 exec_lo, exec_lo, s3
	s_waitcnt lgkmcnt(0)
	s_cmp_lg_u64 s[38:39], 0
	s_mov_b32 s35, 0
	s_barrier
	buffer_gl0_inv
	s_cbranch_scc0 .LBB91_13
; %bb.12:
	s_load_b64 s[36:37], s[36:37], 0x0
	s_waitcnt lgkmcnt(0)
	s_lshl_b64 s[36:37], s[36:37], 3
	s_delay_alu instid0(SALU_CYCLE_1) | instskip(SKIP_2) | instid1(SALU_CYCLE_1)
	s_add_u32 s3, s38, s36
	s_addc_u32 s36, s39, s37
	s_lshl_b64 s[34:35], s[34:35], 3
	s_add_u32 s34, s3, s34
	s_addc_u32 s35, s36, s35
	s_load_b64 s[34:35], s[34:35], 0x0
.LBB91_13:
	s_load_b32 s3, s[0:1], 0x0
	s_and_not1_b32 vcc_lo, exec_lo, s42
	s_cbranch_vccnz .LBB91_69
; %bb.14:
	s_waitcnt lgkmcnt(0)
	s_lshl_b64 s[0:1], s[34:35], 3
	v_lshrrev_b32_e32 v1, 4, v0
	s_add_u32 s0, s12, s0
	s_addc_u32 s1, s13, s1
	s_mov_b32 s13, 0
	s_load_b128 s[36:39], s[0:1], 0x0
	v_sub_co_u32 v1, s0, v1, s20
	s_delay_alu instid0(VALU_DEP_1) | instskip(SKIP_2) | instid1(VALU_DEP_2)
	v_sub_co_ci_u32_e64 v2, null, 0, 0, s0
	s_mov_b32 s12, exec_lo
	s_waitcnt lgkmcnt(0)
	v_add_co_u32 v1, vcc_lo, s36, v1
	s_delay_alu instid0(VALU_DEP_2)
	v_add_co_ci_u32_e32 v2, vcc_lo, s37, v2, vcc_lo
	s_sub_u32 s0, s38, s20
	s_subb_u32 s1, s39, 0
	s_delay_alu instid0(VALU_DEP_1) | instid1(SALU_CYCLE_1)
	v_cmpx_gt_i64_e64 s[0:1], v[1:2]
	s_cbranch_execz .LBB91_68
; %bb.15:
	v_and_b32_e32 v3, 15, v0
	s_cmp_eq_u32 s3, 0
	s_cselect_b32 s37, 2, 1
	s_delay_alu instid0(VALU_DEP_1) | instskip(NEXT) | instid1(VALU_DEP_1)
	v_sub_co_u32 v16, s36, v3, s21
	v_sub_co_ci_u32_e64 v17, null, 0, 0, s36
	s_cselect_b32 s36, 1, 2
	s_branch .LBB91_17
.LBB91_16:                              ;   in Loop: Header=BB91_17 Depth=1
	s_or_b32 exec_lo, exec_lo, s38
	v_add_co_u32 v1, vcc_lo, v1, 16
	v_add_co_ci_u32_e32 v2, vcc_lo, 0, v2, vcc_lo
	s_delay_alu instid0(VALU_DEP_1) | instskip(SKIP_1) | instid1(SALU_CYCLE_1)
	v_cmp_le_i64_e32 vcc_lo, s[0:1], v[1:2]
	s_or_b32 s13, vcc_lo, s13
	s_and_not1_b32 exec_lo, exec_lo, s13
	s_cbranch_execz .LBB91_68
.LBB91_17:                              ; =>This Loop Header: Depth=1
                                        ;     Child Loop BB91_20 Depth 2
                                        ;       Child Loop BB91_22 Depth 3
                                        ;       Child Loop BB91_34 Depth 3
	;; [unrolled: 1-line block ×4, first 2 shown]
	v_lshlrev_b64 v[3:4], 3, v[1:2]
	s_mov_b32 s38, exec_lo
	s_delay_alu instid0(VALU_DEP_1) | instskip(NEXT) | instid1(VALU_DEP_2)
	v_add_co_u32 v3, vcc_lo, s14, v3
	v_add_co_ci_u32_e32 v4, vcc_lo, s15, v4, vcc_lo
	global_load_b64 v[3:4], v[3:4], off
	s_waitcnt vmcnt(0)
	v_sub_co_u32 v3, vcc_lo, v3, s20
	v_subrev_co_ci_u32_e32 v4, vcc_lo, 0, v4, vcc_lo
	s_delay_alu instid0(VALU_DEP_1) | instskip(NEXT) | instid1(VALU_DEP_1)
	v_lshlrev_b64 v[3:4], 3, v[3:4]
	v_add_co_u32 v3, vcc_lo, s18, v3
	s_delay_alu instid0(VALU_DEP_2)
	v_add_co_ci_u32_e32 v4, vcc_lo, s19, v4, vcc_lo
	global_load_b128 v[5:8], v[3:4], off
	s_waitcnt vmcnt(0)
	v_sub_co_u32 v3, vcc_lo, v7, s21
	v_subrev_co_ci_u32_e32 v4, vcc_lo, 0, v8, vcc_lo
	v_add_co_u32 v5, vcc_lo, v5, v16
	v_add_co_ci_u32_e32 v6, vcc_lo, v6, v17, vcc_lo
	s_delay_alu instid0(VALU_DEP_1)
	v_cmpx_lt_i64_e64 v[5:6], v[3:4]
	s_cbranch_execz .LBB91_16
; %bb.18:                               ;   in Loop: Header=BB91_17 Depth=1
	v_lshlrev_b64 v[7:8], 2, v[1:2]
	v_lshlrev_b64 v[11:12], 4, v[1:2]
	s_mov_b32 s39, 0
	s_delay_alu instid0(VALU_DEP_2) | instskip(NEXT) | instid1(VALU_DEP_3)
	v_or_b32_e32 v10, 0, v8
	v_or_b32_e32 v9, s37, v7
	;; [unrolled: 1-line block ×4, first 2 shown]
	v_add_co_u32 v11, vcc_lo, s16, v11
	s_delay_alu instid0(VALU_DEP_4) | instskip(SKIP_1) | instid1(VALU_DEP_4)
	v_lshlrev_b64 v[9:10], 2, v[9:10]
	v_add_co_ci_u32_e32 v12, vcc_lo, s17, v12, vcc_lo
	v_lshlrev_b64 v[7:8], 2, v[7:8]
	s_delay_alu instid0(VALU_DEP_3) | instskip(NEXT) | instid1(VALU_DEP_4)
	v_add_co_u32 v9, vcc_lo, s16, v9
	v_add_co_ci_u32_e32 v10, vcc_lo, s17, v10, vcc_lo
	s_delay_alu instid0(VALU_DEP_3) | instskip(NEXT) | instid1(VALU_DEP_4)
	v_add_co_u32 v7, vcc_lo, s16, v7
	v_add_co_ci_u32_e32 v8, vcc_lo, s17, v8, vcc_lo
	s_clause 0x3
	global_load_b32 v18, v[11:12], off offset:12
	global_load_b32 v9, v[9:10], off
	global_load_b32 v7, v[7:8], off
	;; [unrolled: 1-line block ×3, first 2 shown]
	s_waitcnt vmcnt(3)
	v_mul_f32_e32 v18, v15, v18
	s_waitcnt vmcnt(2)
	v_mul_f32_e32 v19, v15, v9
	;; [unrolled: 2-line block ×4, first 2 shown]
	s_branch .LBB91_20
.LBB91_19:                              ;   in Loop: Header=BB91_20 Depth=2
	s_or_b32 exec_lo, exec_lo, s42
	v_add_co_u32 v5, vcc_lo, v5, 16
	v_add_co_ci_u32_e32 v6, vcc_lo, 0, v6, vcc_lo
	s_delay_alu instid0(VALU_DEP_1) | instskip(SKIP_1) | instid1(SALU_CYCLE_1)
	v_cmp_ge_i64_e32 vcc_lo, v[5:6], v[3:4]
	s_or_b32 s39, vcc_lo, s39
	s_and_not1_b32 exec_lo, exec_lo, s39
	s_cbranch_execz .LBB91_16
.LBB91_20:                              ;   Parent Loop BB91_17 Depth=1
                                        ; =>  This Loop Header: Depth=2
                                        ;       Child Loop BB91_22 Depth 3
                                        ;       Child Loop BB91_34 Depth 3
	;; [unrolled: 1-line block ×4, first 2 shown]
	v_lshlrev_b64 v[7:8], 2, v[5:6]
	v_lshlrev_b64 v[9:10], 3, v[5:6]
	;; [unrolled: 1-line block ×3, first 2 shown]
	s_mov_b32 s42, 0
	s_delay_alu instid0(VALU_DEP_3) | instskip(NEXT) | instid1(VALU_DEP_4)
	v_or_b32_e32 v12, 0, v8
	v_or_b32_e32 v11, s36, v7
	;; [unrolled: 1-line block ×4, first 2 shown]
	v_add_co_u32 v9, vcc_lo, s28, v9
	v_add_co_ci_u32_e32 v10, vcc_lo, s29, v10, vcc_lo
	s_delay_alu instid0(VALU_DEP_3)
	v_lshlrev_b64 v[7:8], 2, v[7:8]
	v_lshlrev_b64 v[11:12], 2, v[11:12]
	global_load_b64 v[9:10], v[9:10], off
	v_add_co_u32 v7, vcc_lo, s30, v7
	v_add_co_ci_u32_e32 v8, vcc_lo, s31, v8, vcc_lo
	v_add_co_u32 v26, vcc_lo, s30, v22
	v_add_co_ci_u32_e32 v27, vcc_lo, s31, v23, vcc_lo
	global_load_b32 v24, v[7:8], off
	v_add_co_u32 v7, vcc_lo, s30, v11
	v_add_co_ci_u32_e32 v8, vcc_lo, s31, v12, vcc_lo
	s_clause 0x2
	global_load_b32 v25, v[26:27], off
	global_load_b32 v22, v[7:8], off
	global_load_b32 v23, v[26:27], off offset:12
	s_waitcnt vmcnt(4)
	v_sub_co_u32 v7, vcc_lo, v9, s21
	v_subrev_co_ci_u32_e32 v8, vcc_lo, 0, v10, vcc_lo
	s_delay_alu instid0(VALU_DEP_2) | instskip(SKIP_1) | instid1(VALU_DEP_1)
	v_lshl_add_u32 v9, v7, 3, v7
	s_waitcnt vmcnt(3)
	v_dual_mul_f32 v26, v20, v24 :: v_dual_and_b32 v9, 0x7f, v9
	v_mov_b32_e32 v11, v10
	s_delay_alu instid0(VALU_DEP_2) | instskip(SKIP_1) | instid1(VALU_DEP_3)
	v_mov_b32_e32 v10, v9
	s_waitcnt vmcnt(2)
	v_fmac_f32_e32 v26, v21, v25
	s_branch .LBB91_22
.LBB91_21:                              ;   in Loop: Header=BB91_22 Depth=3
	s_or_b32 exec_lo, exec_lo, s43
	s_xor_b32 s43, s44, -1
	s_delay_alu instid0(SALU_CYCLE_1) | instskip(NEXT) | instid1(SALU_CYCLE_1)
	s_and_b32 s43, exec_lo, s43
	s_or_b32 s42, s43, s42
	s_delay_alu instid0(SALU_CYCLE_1)
	s_and_not1_b32 exec_lo, exec_lo, s42
	s_cbranch_execz .LBB91_32
.LBB91_22:                              ;   Parent Loop BB91_17 Depth=1
                                        ;     Parent Loop BB91_20 Depth=2
                                        ; =>    This Inner Loop Header: Depth=3
	s_delay_alu instid0(VALU_DEP_2)
	v_lshl_add_u32 v27, v10, 3, 0
	s_mov_b32 s43, exec_lo
                                        ; implicit-def: $sgpr44
	ds_load_b64 v[11:12], v27
	s_waitcnt lgkmcnt(0)
	v_cmpx_ne_u64_e64 v[11:12], v[7:8]
	s_xor_b32 s43, exec_lo, s43
	s_cbranch_execz .LBB91_30
; %bb.23:                               ;   in Loop: Header=BB91_22 Depth=3
	s_mov_b32 s45, exec_lo
                                        ; implicit-def: $sgpr44
	v_cmpx_ne_u64_e64 s[40:41], v[11:12]
	s_xor_b32 s45, exec_lo, s45
; %bb.24:                               ;   in Loop: Header=BB91_22 Depth=3
	v_add_nc_u32_e32 v10, 1, v10
	s_mov_b32 s44, -1
                                        ; implicit-def: $vgpr27
	s_delay_alu instid0(VALU_DEP_1)
	v_and_b32_e32 v10, 0x7f, v10
; %bb.25:                               ;   in Loop: Header=BB91_22 Depth=3
	s_and_not1_saveexec_b32 s45, s45
	s_cbranch_execz .LBB91_29
; %bb.26:                               ;   in Loop: Header=BB91_22 Depth=3
	v_dual_mov_b32 v11, s40 :: v_dual_mov_b32 v12, s41
	s_mov_b32 s46, -1
	s_mov_b32 s47, exec_lo
	ds_cmpstore_rtn_b64 v[11:12], v27, v[7:8], v[11:12]
	s_waitcnt lgkmcnt(0)
	v_cmpx_eq_u64_e64 s[40:41], v[11:12]
	s_cbranch_execz .LBB91_28
; %bb.27:                               ;   in Loop: Header=BB91_22 Depth=3
	v_lshl_add_u32 v11, v10, 3, v27
	s_xor_b32 s46, exec_lo, -1
	ds_add_f32 v11, v26 offset:1024
.LBB91_28:                              ;   in Loop: Header=BB91_22 Depth=3
	s_or_b32 exec_lo, exec_lo, s47
	s_delay_alu instid0(SALU_CYCLE_1) | instskip(SKIP_1) | instid1(SALU_CYCLE_1)
	s_and_not1_b32 s44, s44, exec_lo
	s_and_b32 s46, s46, exec_lo
	s_or_b32 s44, s44, s46
.LBB91_29:                              ;   in Loop: Header=BB91_22 Depth=3
	s_or_b32 exec_lo, exec_lo, s45
	s_delay_alu instid0(SALU_CYCLE_1)
	s_and_b32 s44, s44, exec_lo
                                        ; implicit-def: $vgpr27
.LBB91_30:                              ;   in Loop: Header=BB91_22 Depth=3
	s_and_not1_saveexec_b32 s43, s43
	s_cbranch_execz .LBB91_21
; %bb.31:                               ;   in Loop: Header=BB91_22 Depth=3
	v_lshl_add_u32 v11, v10, 3, v27
	s_and_not1_b32 s44, s44, exec_lo
	ds_add_f32 v11, v26 offset:1024
	s_branch .LBB91_21
.LBB91_32:                              ;   in Loop: Header=BB91_20 Depth=2
	s_or_b32 exec_lo, exec_lo, s42
	s_waitcnt vmcnt(0)
	v_dual_mul_f32 v26, v20, v23 :: v_dual_mov_b32 v11, v10
	v_mov_b32_e32 v10, v9
	s_mov_b32 s42, 0
	s_delay_alu instid0(VALU_DEP_2)
	v_fmac_f32_e32 v26, v21, v22
	s_branch .LBB91_34
.LBB91_33:                              ;   in Loop: Header=BB91_34 Depth=3
	s_or_b32 exec_lo, exec_lo, s43
	s_xor_b32 s43, s44, -1
	s_delay_alu instid0(SALU_CYCLE_1) | instskip(NEXT) | instid1(SALU_CYCLE_1)
	s_and_b32 s43, exec_lo, s43
	s_or_b32 s42, s43, s42
	s_delay_alu instid0(SALU_CYCLE_1)
	s_and_not1_b32 exec_lo, exec_lo, s42
	s_cbranch_execz .LBB91_44
.LBB91_34:                              ;   Parent Loop BB91_17 Depth=1
                                        ;     Parent Loop BB91_20 Depth=2
                                        ; =>    This Inner Loop Header: Depth=3
	s_delay_alu instid0(VALU_DEP_2)
	v_lshl_add_u32 v27, v10, 3, 0
	s_mov_b32 s43, exec_lo
                                        ; implicit-def: $sgpr44
	ds_load_b64 v[11:12], v27
	s_waitcnt lgkmcnt(0)
	v_cmpx_ne_u64_e64 v[11:12], v[7:8]
	s_xor_b32 s43, exec_lo, s43
	s_cbranch_execz .LBB91_42
; %bb.35:                               ;   in Loop: Header=BB91_34 Depth=3
	s_mov_b32 s45, exec_lo
                                        ; implicit-def: $sgpr44
	v_cmpx_ne_u64_e64 s[40:41], v[11:12]
	s_xor_b32 s45, exec_lo, s45
; %bb.36:                               ;   in Loop: Header=BB91_34 Depth=3
	v_add_nc_u32_e32 v10, 1, v10
	s_mov_b32 s44, -1
                                        ; implicit-def: $vgpr27
	s_delay_alu instid0(VALU_DEP_1)
	v_and_b32_e32 v10, 0x7f, v10
; %bb.37:                               ;   in Loop: Header=BB91_34 Depth=3
	s_and_not1_saveexec_b32 s45, s45
	s_cbranch_execz .LBB91_41
; %bb.38:                               ;   in Loop: Header=BB91_34 Depth=3
	v_dual_mov_b32 v11, s40 :: v_dual_mov_b32 v12, s41
	s_mov_b32 s46, -1
	s_mov_b32 s47, exec_lo
	ds_cmpstore_rtn_b64 v[11:12], v27, v[7:8], v[11:12]
	s_waitcnt lgkmcnt(0)
	v_cmpx_eq_u64_e64 s[40:41], v[11:12]
	s_cbranch_execz .LBB91_40
; %bb.39:                               ;   in Loop: Header=BB91_34 Depth=3
	v_lshl_add_u32 v11, v10, 3, v27
	s_xor_b32 s46, exec_lo, -1
	ds_add_f32 v11, v26 offset:1028
.LBB91_40:                              ;   in Loop: Header=BB91_34 Depth=3
	s_or_b32 exec_lo, exec_lo, s47
	s_delay_alu instid0(SALU_CYCLE_1) | instskip(SKIP_1) | instid1(SALU_CYCLE_1)
	s_and_not1_b32 s44, s44, exec_lo
	s_and_b32 s46, s46, exec_lo
	s_or_b32 s44, s44, s46
.LBB91_41:                              ;   in Loop: Header=BB91_34 Depth=3
	s_or_b32 exec_lo, exec_lo, s45
	s_delay_alu instid0(SALU_CYCLE_1)
	s_and_b32 s44, s44, exec_lo
                                        ; implicit-def: $vgpr27
.LBB91_42:                              ;   in Loop: Header=BB91_34 Depth=3
	s_and_not1_saveexec_b32 s43, s43
	s_cbranch_execz .LBB91_33
; %bb.43:                               ;   in Loop: Header=BB91_34 Depth=3
	v_lshl_add_u32 v11, v10, 3, v27
	s_and_not1_b32 s44, s44, exec_lo
	ds_add_f32 v11, v26 offset:1028
	s_branch .LBB91_33
.LBB91_44:                              ;   in Loop: Header=BB91_20 Depth=2
	s_or_b32 exec_lo, exec_lo, s42
	v_mul_f32_e32 v24, v18, v24
	s_mov_b32 s42, 0
	v_mov_b32_e32 v11, v10
	v_mov_b32_e32 v10, v9
	s_delay_alu instid0(VALU_DEP_3)
	v_fmac_f32_e32 v24, v19, v25
	s_branch .LBB91_46
.LBB91_45:                              ;   in Loop: Header=BB91_46 Depth=3
	s_or_b32 exec_lo, exec_lo, s43
	s_xor_b32 s43, s44, -1
	s_delay_alu instid0(SALU_CYCLE_1) | instskip(NEXT) | instid1(SALU_CYCLE_1)
	s_and_b32 s43, exec_lo, s43
	s_or_b32 s42, s43, s42
	s_delay_alu instid0(SALU_CYCLE_1)
	s_and_not1_b32 exec_lo, exec_lo, s42
	s_cbranch_execz .LBB91_56
.LBB91_46:                              ;   Parent Loop BB91_17 Depth=1
                                        ;     Parent Loop BB91_20 Depth=2
                                        ; =>    This Inner Loop Header: Depth=3
	s_delay_alu instid0(VALU_DEP_2)
	v_lshl_add_u32 v25, v10, 3, 0
	s_mov_b32 s43, exec_lo
                                        ; implicit-def: $sgpr44
	ds_load_b64 v[11:12], v25
	s_waitcnt lgkmcnt(0)
	v_cmpx_ne_u64_e64 v[11:12], v[7:8]
	s_xor_b32 s43, exec_lo, s43
	s_cbranch_execz .LBB91_54
; %bb.47:                               ;   in Loop: Header=BB91_46 Depth=3
	s_mov_b32 s45, exec_lo
                                        ; implicit-def: $sgpr44
	v_cmpx_ne_u64_e64 s[40:41], v[11:12]
	s_xor_b32 s45, exec_lo, s45
; %bb.48:                               ;   in Loop: Header=BB91_46 Depth=3
	v_add_nc_u32_e32 v10, 1, v10
	s_mov_b32 s44, -1
                                        ; implicit-def: $vgpr25
	s_delay_alu instid0(VALU_DEP_1)
	v_and_b32_e32 v10, 0x7f, v10
; %bb.49:                               ;   in Loop: Header=BB91_46 Depth=3
	s_and_not1_saveexec_b32 s45, s45
	s_cbranch_execz .LBB91_53
; %bb.50:                               ;   in Loop: Header=BB91_46 Depth=3
	v_dual_mov_b32 v11, s40 :: v_dual_mov_b32 v12, s41
	s_mov_b32 s46, -1
	s_mov_b32 s47, exec_lo
	ds_cmpstore_rtn_b64 v[11:12], v25, v[7:8], v[11:12]
	s_waitcnt lgkmcnt(0)
	v_cmpx_eq_u64_e64 s[40:41], v[11:12]
	s_cbranch_execz .LBB91_52
; %bb.51:                               ;   in Loop: Header=BB91_46 Depth=3
	v_lshl_add_u32 v11, v10, 3, v25
	s_xor_b32 s46, exec_lo, -1
	ds_add_f32 v11, v24 offset:1032
.LBB91_52:                              ;   in Loop: Header=BB91_46 Depth=3
	s_or_b32 exec_lo, exec_lo, s47
	s_delay_alu instid0(SALU_CYCLE_1) | instskip(SKIP_1) | instid1(SALU_CYCLE_1)
	s_and_not1_b32 s44, s44, exec_lo
	s_and_b32 s46, s46, exec_lo
	s_or_b32 s44, s44, s46
.LBB91_53:                              ;   in Loop: Header=BB91_46 Depth=3
	s_or_b32 exec_lo, exec_lo, s45
	s_delay_alu instid0(SALU_CYCLE_1)
	s_and_b32 s44, s44, exec_lo
                                        ; implicit-def: $vgpr25
.LBB91_54:                              ;   in Loop: Header=BB91_46 Depth=3
	s_and_not1_saveexec_b32 s43, s43
	s_cbranch_execz .LBB91_45
; %bb.55:                               ;   in Loop: Header=BB91_46 Depth=3
	v_lshl_add_u32 v11, v10, 3, v25
	s_and_not1_b32 s44, s44, exec_lo
	ds_add_f32 v11, v24 offset:1032
	s_branch .LBB91_45
.LBB91_56:                              ;   in Loop: Header=BB91_20 Depth=2
	s_or_b32 exec_lo, exec_lo, s42
	v_mul_f32_e32 v12, v18, v23
	s_mov_b32 s42, 0
	s_delay_alu instid0(VALU_DEP_1)
	v_fmac_f32_e32 v12, v19, v22
	s_branch .LBB91_58
.LBB91_57:                              ;   in Loop: Header=BB91_58 Depth=3
	s_or_b32 exec_lo, exec_lo, s43
	s_xor_b32 s43, s44, -1
	s_delay_alu instid0(SALU_CYCLE_1) | instskip(NEXT) | instid1(SALU_CYCLE_1)
	s_and_b32 s43, exec_lo, s43
	s_or_b32 s42, s43, s42
	s_delay_alu instid0(SALU_CYCLE_1)
	s_and_not1_b32 exec_lo, exec_lo, s42
	s_cbranch_execz .LBB91_19
.LBB91_58:                              ;   Parent Loop BB91_17 Depth=1
                                        ;     Parent Loop BB91_20 Depth=2
                                        ; =>    This Inner Loop Header: Depth=3
	v_lshl_add_u32 v22, v9, 3, 0
	s_mov_b32 s43, exec_lo
                                        ; implicit-def: $sgpr44
	ds_load_b64 v[10:11], v22
	s_waitcnt lgkmcnt(0)
	v_cmpx_ne_u64_e64 v[10:11], v[7:8]
	s_xor_b32 s43, exec_lo, s43
	s_cbranch_execz .LBB91_66
; %bb.59:                               ;   in Loop: Header=BB91_58 Depth=3
	s_mov_b32 s45, exec_lo
                                        ; implicit-def: $sgpr44
	v_cmpx_ne_u64_e64 s[40:41], v[10:11]
	s_xor_b32 s45, exec_lo, s45
; %bb.60:                               ;   in Loop: Header=BB91_58 Depth=3
	v_add_nc_u32_e32 v9, 1, v9
	s_mov_b32 s44, -1
                                        ; implicit-def: $vgpr22
	s_delay_alu instid0(VALU_DEP_1)
	v_and_b32_e32 v9, 0x7f, v9
; %bb.61:                               ;   in Loop: Header=BB91_58 Depth=3
	s_and_not1_saveexec_b32 s45, s45
	s_cbranch_execz .LBB91_65
; %bb.62:                               ;   in Loop: Header=BB91_58 Depth=3
	v_dual_mov_b32 v10, s40 :: v_dual_mov_b32 v11, s41
	s_mov_b32 s46, -1
	s_mov_b32 s47, exec_lo
	ds_cmpstore_rtn_b64 v[10:11], v22, v[7:8], v[10:11]
	s_waitcnt lgkmcnt(0)
	v_cmpx_eq_u64_e64 s[40:41], v[10:11]
	s_cbranch_execz .LBB91_64
; %bb.63:                               ;   in Loop: Header=BB91_58 Depth=3
	v_lshl_add_u32 v10, v9, 3, v22
	s_xor_b32 s46, exec_lo, -1
	ds_add_f32 v10, v12 offset:1036
.LBB91_64:                              ;   in Loop: Header=BB91_58 Depth=3
	s_or_b32 exec_lo, exec_lo, s47
	s_delay_alu instid0(SALU_CYCLE_1) | instskip(SKIP_1) | instid1(SALU_CYCLE_1)
	s_and_not1_b32 s44, s44, exec_lo
	s_and_b32 s46, s46, exec_lo
	s_or_b32 s44, s44, s46
.LBB91_65:                              ;   in Loop: Header=BB91_58 Depth=3
	s_or_b32 exec_lo, exec_lo, s45
	s_delay_alu instid0(SALU_CYCLE_1)
	s_and_b32 s44, s44, exec_lo
                                        ; implicit-def: $vgpr22
.LBB91_66:                              ;   in Loop: Header=BB91_58 Depth=3
	s_and_not1_saveexec_b32 s43, s43
	s_cbranch_execz .LBB91_57
; %bb.67:                               ;   in Loop: Header=BB91_58 Depth=3
	v_lshl_add_u32 v10, v9, 3, v22
	s_and_not1_b32 s44, s44, exec_lo
	ds_add_f32 v10, v12 offset:1036
	s_branch .LBB91_57
.LBB91_68:
	s_or_b32 exec_lo, exec_lo, s12
.LBB91_69:
	s_delay_alu instid0(SALU_CYCLE_1)
	s_and_not1_b32 vcc_lo, exec_lo, s33
	s_waitcnt lgkmcnt(0)
	s_barrier
	buffer_gl0_inv
	s_cbranch_vccnz .LBB91_122
; %bb.70:
	s_lshl_b64 s[0:1], s[34:35], 3
	s_delay_alu instid0(SALU_CYCLE_1) | instskip(SKIP_4) | instid1(VALU_DEP_1)
	s_add_u32 s0, s4, s0
	s_addc_u32 s1, s5, s1
	s_mov_b32 s4, 0
	s_load_b128 s[12:15], s[0:1], 0x0
	v_sub_co_u32 v1, s0, v0, s23
	v_sub_co_ci_u32_e64 v2, null, 0, 0, s0
	s_mov_b32 s5, exec_lo
	s_waitcnt lgkmcnt(0)
	s_delay_alu instid0(VALU_DEP_2) | instskip(NEXT) | instid1(VALU_DEP_2)
	v_add_co_u32 v1, vcc_lo, s12, v1
	v_add_co_ci_u32_e32 v2, vcc_lo, s13, v2, vcc_lo
	s_sub_u32 s0, s14, s23
	s_subb_u32 s1, s15, 0
	s_delay_alu instid0(VALU_DEP_1) | instid1(SALU_CYCLE_1)
	v_cmpx_gt_i64_e64 s[0:1], v[1:2]
	s_cbranch_execz .LBB91_121
; %bb.71:
	s_cmp_eq_u32 s3, 0
	s_mov_b32 s12, s23
	s_cselect_b32 s13, 1, 2
	s_cselect_b32 s14, 2, 1
	s_branch .LBB91_73
.LBB91_72:                              ;   in Loop: Header=BB91_73 Depth=1
	s_or_b32 exec_lo, exec_lo, s15
	v_add_co_u32 v1, vcc_lo, 0x100, v1
	v_add_co_ci_u32_e32 v2, vcc_lo, 0, v2, vcc_lo
	s_delay_alu instid0(VALU_DEP_1) | instskip(SKIP_1) | instid1(SALU_CYCLE_1)
	v_cmp_le_i64_e32 vcc_lo, s[0:1], v[1:2]
	s_or_b32 s4, vcc_lo, s4
	s_and_not1_b32 exec_lo, exec_lo, s4
	s_cbranch_execz .LBB91_121
.LBB91_73:                              ; =>This Loop Header: Depth=1
                                        ;     Child Loop BB91_75 Depth 2
                                        ;     Child Loop BB91_87 Depth 2
	;; [unrolled: 1-line block ×4, first 2 shown]
	v_lshlrev_b64 v[3:4], 2, v[1:2]
	v_lshlrev_b64 v[5:6], 3, v[1:2]
	;; [unrolled: 1-line block ×3, first 2 shown]
	s_mov_b32 s15, 0
	s_delay_alu instid0(VALU_DEP_3) | instskip(SKIP_1) | instid1(VALU_DEP_4)
	v_or_b32_e32 v9, 0, v4
	v_or_b32_e32 v11, 0, v4
	v_add_co_u32 v4, vcc_lo, s6, v5
	v_add_co_ci_u32_e32 v5, vcc_lo, s7, v6, vcc_lo
	v_or_b32_e32 v10, s14, v3
	v_add_co_u32 v6, vcc_lo, s8, v7
	global_load_b64 v[4:5], v[4:5], off
	v_add_co_ci_u32_e32 v7, vcc_lo, s9, v8, vcc_lo
	v_or_b32_e32 v8, s13, v3
	v_lshlrev_b64 v[10:11], 2, v[10:11]
	global_load_b32 v12, v[6:7], off
	v_lshlrev_b64 v[8:9], 2, v[8:9]
	v_add_co_u32 v10, vcc_lo, s8, v10
	v_add_co_ci_u32_e32 v11, vcc_lo, s9, v11, vcc_lo
	s_delay_alu instid0(VALU_DEP_3) | instskip(NEXT) | instid1(VALU_DEP_4)
	v_add_co_u32 v8, vcc_lo, s8, v8
	v_add_co_ci_u32_e32 v9, vcc_lo, s9, v9, vcc_lo
	s_clause 0x2
	global_load_b32 v10, v[10:11], off
	global_load_b32 v11, v[8:9], off
	global_load_b32 v9, v[6:7], off offset:12
	s_waitcnt vmcnt(4)
	v_sub_co_u32 v3, vcc_lo, v4, s12
	v_subrev_co_ci_u32_e32 v4, vcc_lo, 0, v5, vcc_lo
	s_delay_alu instid0(VALU_DEP_2) | instskip(SKIP_1) | instid1(VALU_DEP_1)
	v_lshl_add_u32 v5, v3, 3, v3
	s_waitcnt vmcnt(3)
	v_dual_mul_f32 v12, v14, v12 :: v_dual_and_b32 v5, 0x7f, v5
	v_mov_b32_e32 v7, v6
	s_delay_alu instid0(VALU_DEP_2)
	v_mov_b32_e32 v6, v5
	s_branch .LBB91_75
.LBB91_74:                              ;   in Loop: Header=BB91_75 Depth=2
	s_or_b32 exec_lo, exec_lo, s16
	s_xor_b32 s16, s17, -1
	s_delay_alu instid0(SALU_CYCLE_1) | instskip(NEXT) | instid1(SALU_CYCLE_1)
	s_and_b32 s16, exec_lo, s16
	s_or_b32 s15, s16, s15
	s_delay_alu instid0(SALU_CYCLE_1)
	s_and_not1_b32 exec_lo, exec_lo, s15
	s_cbranch_execz .LBB91_85
.LBB91_75:                              ;   Parent Loop BB91_73 Depth=1
                                        ; =>  This Inner Loop Header: Depth=2
	s_delay_alu instid0(VALU_DEP_1)
	v_lshl_add_u32 v15, v6, 3, 0
	s_mov_b32 s16, exec_lo
                                        ; implicit-def: $sgpr17
	ds_load_b64 v[7:8], v15
	s_waitcnt lgkmcnt(0)
	v_cmpx_ne_u64_e64 v[7:8], v[3:4]
	s_xor_b32 s16, exec_lo, s16
	s_cbranch_execz .LBB91_83
; %bb.76:                               ;   in Loop: Header=BB91_75 Depth=2
	s_mov_b32 s18, exec_lo
                                        ; implicit-def: $sgpr17
	v_cmpx_ne_u64_e64 s[40:41], v[7:8]
	s_xor_b32 s18, exec_lo, s18
; %bb.77:                               ;   in Loop: Header=BB91_75 Depth=2
	v_add_nc_u32_e32 v6, 1, v6
	s_mov_b32 s17, -1
                                        ; implicit-def: $vgpr15
	s_delay_alu instid0(VALU_DEP_1)
	v_and_b32_e32 v6, 0x7f, v6
; %bb.78:                               ;   in Loop: Header=BB91_75 Depth=2
	s_and_not1_saveexec_b32 s18, s18
	s_cbranch_execz .LBB91_82
; %bb.79:                               ;   in Loop: Header=BB91_75 Depth=2
	v_dual_mov_b32 v7, s40 :: v_dual_mov_b32 v8, s41
	s_mov_b32 s19, -1
	s_mov_b32 s20, exec_lo
	ds_cmpstore_rtn_b64 v[7:8], v15, v[3:4], v[7:8]
	s_waitcnt lgkmcnt(0)
	v_cmpx_eq_u64_e64 s[40:41], v[7:8]
	s_cbranch_execz .LBB91_81
; %bb.80:                               ;   in Loop: Header=BB91_75 Depth=2
	v_lshl_add_u32 v7, v6, 3, v15
	s_xor_b32 s19, exec_lo, -1
	ds_add_f32 v7, v12 offset:1024
.LBB91_81:                              ;   in Loop: Header=BB91_75 Depth=2
	s_or_b32 exec_lo, exec_lo, s20
	s_delay_alu instid0(SALU_CYCLE_1) | instskip(SKIP_1) | instid1(SALU_CYCLE_1)
	s_and_not1_b32 s17, s17, exec_lo
	s_and_b32 s19, s19, exec_lo
	s_or_b32 s17, s17, s19
.LBB91_82:                              ;   in Loop: Header=BB91_75 Depth=2
	s_or_b32 exec_lo, exec_lo, s18
	s_delay_alu instid0(SALU_CYCLE_1)
	s_and_b32 s17, s17, exec_lo
                                        ; implicit-def: $vgpr15
.LBB91_83:                              ;   in Loop: Header=BB91_75 Depth=2
	s_and_not1_saveexec_b32 s16, s16
	s_cbranch_execz .LBB91_74
; %bb.84:                               ;   in Loop: Header=BB91_75 Depth=2
	v_lshl_add_u32 v7, v6, 3, v15
	s_and_not1_b32 s17, s17, exec_lo
	ds_add_f32 v7, v12 offset:1024
	s_branch .LBB91_74
.LBB91_85:                              ;   in Loop: Header=BB91_73 Depth=1
	s_or_b32 exec_lo, exec_lo, s15
	v_mov_b32_e32 v7, v6
	s_waitcnt vmcnt(1)
	v_dual_mul_f32 v11, v14, v11 :: v_dual_mov_b32 v6, v5
	s_mov_b32 s15, 0
	s_branch .LBB91_87
.LBB91_86:                              ;   in Loop: Header=BB91_87 Depth=2
	s_or_b32 exec_lo, exec_lo, s16
	s_xor_b32 s16, s17, -1
	s_delay_alu instid0(SALU_CYCLE_1) | instskip(NEXT) | instid1(SALU_CYCLE_1)
	s_and_b32 s16, exec_lo, s16
	s_or_b32 s15, s16, s15
	s_delay_alu instid0(SALU_CYCLE_1)
	s_and_not1_b32 exec_lo, exec_lo, s15
	s_cbranch_execz .LBB91_97
.LBB91_87:                              ;   Parent Loop BB91_73 Depth=1
                                        ; =>  This Inner Loop Header: Depth=2
	s_delay_alu instid0(VALU_DEP_1)
	v_lshl_add_u32 v12, v6, 3, 0
	s_mov_b32 s16, exec_lo
                                        ; implicit-def: $sgpr17
	ds_load_b64 v[7:8], v12
	s_waitcnt lgkmcnt(0)
	v_cmpx_ne_u64_e64 v[7:8], v[3:4]
	s_xor_b32 s16, exec_lo, s16
	s_cbranch_execz .LBB91_95
; %bb.88:                               ;   in Loop: Header=BB91_87 Depth=2
	s_mov_b32 s18, exec_lo
                                        ; implicit-def: $sgpr17
	v_cmpx_ne_u64_e64 s[40:41], v[7:8]
	s_xor_b32 s18, exec_lo, s18
; %bb.89:                               ;   in Loop: Header=BB91_87 Depth=2
	v_add_nc_u32_e32 v6, 1, v6
	s_mov_b32 s17, -1
                                        ; implicit-def: $vgpr12
	s_delay_alu instid0(VALU_DEP_1)
	v_and_b32_e32 v6, 0x7f, v6
; %bb.90:                               ;   in Loop: Header=BB91_87 Depth=2
	s_and_not1_saveexec_b32 s18, s18
	s_cbranch_execz .LBB91_94
; %bb.91:                               ;   in Loop: Header=BB91_87 Depth=2
	v_dual_mov_b32 v7, s40 :: v_dual_mov_b32 v8, s41
	s_mov_b32 s19, -1
	s_mov_b32 s20, exec_lo
	ds_cmpstore_rtn_b64 v[7:8], v12, v[3:4], v[7:8]
	s_waitcnt lgkmcnt(0)
	v_cmpx_eq_u64_e64 s[40:41], v[7:8]
	s_cbranch_execz .LBB91_93
; %bb.92:                               ;   in Loop: Header=BB91_87 Depth=2
	v_lshl_add_u32 v7, v6, 3, v12
	s_xor_b32 s19, exec_lo, -1
	ds_add_f32 v7, v11 offset:1028
.LBB91_93:                              ;   in Loop: Header=BB91_87 Depth=2
	s_or_b32 exec_lo, exec_lo, s20
	s_delay_alu instid0(SALU_CYCLE_1) | instskip(SKIP_1) | instid1(SALU_CYCLE_1)
	s_and_not1_b32 s17, s17, exec_lo
	s_and_b32 s19, s19, exec_lo
	s_or_b32 s17, s17, s19
.LBB91_94:                              ;   in Loop: Header=BB91_87 Depth=2
	s_or_b32 exec_lo, exec_lo, s18
	s_delay_alu instid0(SALU_CYCLE_1)
	s_and_b32 s17, s17, exec_lo
                                        ; implicit-def: $vgpr12
.LBB91_95:                              ;   in Loop: Header=BB91_87 Depth=2
	s_and_not1_saveexec_b32 s16, s16
	s_cbranch_execz .LBB91_86
; %bb.96:                               ;   in Loop: Header=BB91_87 Depth=2
	v_lshl_add_u32 v7, v6, 3, v12
	s_and_not1_b32 s17, s17, exec_lo
	ds_add_f32 v7, v11 offset:1028
	s_branch .LBB91_86
.LBB91_97:                              ;   in Loop: Header=BB91_73 Depth=1
	s_or_b32 exec_lo, exec_lo, s15
	v_mov_b32_e32 v7, v6
	v_mul_f32_e32 v10, v14, v10
	v_mov_b32_e32 v6, v5
	s_mov_b32 s15, 0
	s_branch .LBB91_99
.LBB91_98:                              ;   in Loop: Header=BB91_99 Depth=2
	s_or_b32 exec_lo, exec_lo, s16
	s_xor_b32 s16, s17, -1
	s_delay_alu instid0(SALU_CYCLE_1) | instskip(NEXT) | instid1(SALU_CYCLE_1)
	s_and_b32 s16, exec_lo, s16
	s_or_b32 s15, s16, s15
	s_delay_alu instid0(SALU_CYCLE_1)
	s_and_not1_b32 exec_lo, exec_lo, s15
	s_cbranch_execz .LBB91_109
.LBB91_99:                              ;   Parent Loop BB91_73 Depth=1
                                        ; =>  This Inner Loop Header: Depth=2
	s_delay_alu instid0(VALU_DEP_1)
	v_lshl_add_u32 v11, v6, 3, 0
	s_mov_b32 s16, exec_lo
                                        ; implicit-def: $sgpr17
	ds_load_b64 v[7:8], v11
	s_waitcnt lgkmcnt(0)
	v_cmpx_ne_u64_e64 v[7:8], v[3:4]
	s_xor_b32 s16, exec_lo, s16
	s_cbranch_execz .LBB91_107
; %bb.100:                              ;   in Loop: Header=BB91_99 Depth=2
	s_mov_b32 s18, exec_lo
                                        ; implicit-def: $sgpr17
	v_cmpx_ne_u64_e64 s[40:41], v[7:8]
	s_xor_b32 s18, exec_lo, s18
; %bb.101:                              ;   in Loop: Header=BB91_99 Depth=2
	v_add_nc_u32_e32 v6, 1, v6
	s_mov_b32 s17, -1
                                        ; implicit-def: $vgpr11
	s_delay_alu instid0(VALU_DEP_1)
	v_and_b32_e32 v6, 0x7f, v6
; %bb.102:                              ;   in Loop: Header=BB91_99 Depth=2
	s_and_not1_saveexec_b32 s18, s18
	s_cbranch_execz .LBB91_106
; %bb.103:                              ;   in Loop: Header=BB91_99 Depth=2
	v_dual_mov_b32 v7, s40 :: v_dual_mov_b32 v8, s41
	s_mov_b32 s19, -1
	s_mov_b32 s20, exec_lo
	ds_cmpstore_rtn_b64 v[7:8], v11, v[3:4], v[7:8]
	s_waitcnt lgkmcnt(0)
	v_cmpx_eq_u64_e64 s[40:41], v[7:8]
	s_cbranch_execz .LBB91_105
; %bb.104:                              ;   in Loop: Header=BB91_99 Depth=2
	v_lshl_add_u32 v7, v6, 3, v11
	s_xor_b32 s19, exec_lo, -1
	ds_add_f32 v7, v10 offset:1032
.LBB91_105:                             ;   in Loop: Header=BB91_99 Depth=2
	s_or_b32 exec_lo, exec_lo, s20
	s_delay_alu instid0(SALU_CYCLE_1) | instskip(SKIP_1) | instid1(SALU_CYCLE_1)
	s_and_not1_b32 s17, s17, exec_lo
	s_and_b32 s19, s19, exec_lo
	s_or_b32 s17, s17, s19
.LBB91_106:                             ;   in Loop: Header=BB91_99 Depth=2
	s_or_b32 exec_lo, exec_lo, s18
	s_delay_alu instid0(SALU_CYCLE_1)
	s_and_b32 s17, s17, exec_lo
                                        ; implicit-def: $vgpr11
.LBB91_107:                             ;   in Loop: Header=BB91_99 Depth=2
	s_and_not1_saveexec_b32 s16, s16
	s_cbranch_execz .LBB91_98
; %bb.108:                              ;   in Loop: Header=BB91_99 Depth=2
	v_lshl_add_u32 v7, v6, 3, v11
	s_and_not1_b32 s17, s17, exec_lo
	ds_add_f32 v7, v10 offset:1032
	s_branch .LBB91_98
.LBB91_109:                             ;   in Loop: Header=BB91_73 Depth=1
	s_or_b32 exec_lo, exec_lo, s15
	s_waitcnt vmcnt(0)
	v_mul_f32_e32 v8, v14, v9
	s_mov_b32 s15, 0
	s_branch .LBB91_111
.LBB91_110:                             ;   in Loop: Header=BB91_111 Depth=2
	s_or_b32 exec_lo, exec_lo, s16
	s_xor_b32 s16, s17, -1
	s_delay_alu instid0(SALU_CYCLE_1) | instskip(NEXT) | instid1(SALU_CYCLE_1)
	s_and_b32 s16, exec_lo, s16
	s_or_b32 s15, s16, s15
	s_delay_alu instid0(SALU_CYCLE_1)
	s_and_not1_b32 exec_lo, exec_lo, s15
	s_cbranch_execz .LBB91_72
.LBB91_111:                             ;   Parent Loop BB91_73 Depth=1
                                        ; =>  This Inner Loop Header: Depth=2
	v_lshl_add_u32 v9, v5, 3, 0
	s_mov_b32 s16, exec_lo
                                        ; implicit-def: $sgpr17
	ds_load_b64 v[6:7], v9
	s_waitcnt lgkmcnt(0)
	v_cmpx_ne_u64_e64 v[6:7], v[3:4]
	s_xor_b32 s16, exec_lo, s16
	s_cbranch_execz .LBB91_119
; %bb.112:                              ;   in Loop: Header=BB91_111 Depth=2
	s_mov_b32 s18, exec_lo
                                        ; implicit-def: $sgpr17
	v_cmpx_ne_u64_e64 s[40:41], v[6:7]
	s_xor_b32 s18, exec_lo, s18
; %bb.113:                              ;   in Loop: Header=BB91_111 Depth=2
	v_add_nc_u32_e32 v5, 1, v5
	s_mov_b32 s17, -1
                                        ; implicit-def: $vgpr9
	s_delay_alu instid0(VALU_DEP_1)
	v_and_b32_e32 v5, 0x7f, v5
; %bb.114:                              ;   in Loop: Header=BB91_111 Depth=2
	s_and_not1_saveexec_b32 s18, s18
	s_cbranch_execz .LBB91_118
; %bb.115:                              ;   in Loop: Header=BB91_111 Depth=2
	v_dual_mov_b32 v6, s40 :: v_dual_mov_b32 v7, s41
	s_mov_b32 s19, -1
	s_mov_b32 s20, exec_lo
	ds_cmpstore_rtn_b64 v[6:7], v9, v[3:4], v[6:7]
	s_waitcnt lgkmcnt(0)
	v_cmpx_eq_u64_e64 s[40:41], v[6:7]
	s_cbranch_execz .LBB91_117
; %bb.116:                              ;   in Loop: Header=BB91_111 Depth=2
	v_lshl_add_u32 v6, v5, 3, v9
	s_xor_b32 s19, exec_lo, -1
	ds_add_f32 v6, v8 offset:1036
.LBB91_117:                             ;   in Loop: Header=BB91_111 Depth=2
	s_or_b32 exec_lo, exec_lo, s20
	s_delay_alu instid0(SALU_CYCLE_1) | instskip(SKIP_1) | instid1(SALU_CYCLE_1)
	s_and_not1_b32 s17, s17, exec_lo
	s_and_b32 s19, s19, exec_lo
	s_or_b32 s17, s17, s19
.LBB91_118:                             ;   in Loop: Header=BB91_111 Depth=2
	s_or_b32 exec_lo, exec_lo, s18
	s_delay_alu instid0(SALU_CYCLE_1)
	s_and_b32 s17, s17, exec_lo
                                        ; implicit-def: $vgpr9
.LBB91_119:                             ;   in Loop: Header=BB91_111 Depth=2
	s_and_not1_saveexec_b32 s16, s16
	s_cbranch_execz .LBB91_110
; %bb.120:                              ;   in Loop: Header=BB91_111 Depth=2
	v_lshl_add_u32 v6, v5, 3, v9
	s_and_not1_b32 s17, s17, exec_lo
	ds_add_f32 v6, v8 offset:1036
	s_branch .LBB91_110
.LBB91_121:
	s_or_b32 exec_lo, exec_lo, s5
.LBB91_122:
	s_waitcnt lgkmcnt(0)
	s_barrier
	buffer_gl0_inv
	s_and_saveexec_b32 s0, s2
	s_cbranch_execz .LBB91_127
; %bb.123:
	ds_load_b64 v[1:2], v13
	s_mov_b32 s1, 0
	s_waitcnt lgkmcnt(0)
	v_cmp_gt_i64_e32 vcc_lo, s[40:41], v[1:2]
	s_and_b32 exec_lo, exec_lo, vcc_lo
	s_cbranch_execz .LBB91_127
; %bb.124:
	s_lshl_b64 s[4:5], s[34:35], 3
	s_delay_alu instid0(SALU_CYCLE_1)
	s_add_u32 s4, s10, s4
	s_addc_u32 s5, s11, s5
	s_load_b64 s[4:5], s[4:5], 0x0
	s_waitcnt lgkmcnt(0)
	s_sub_u32 s4, s4, s22
	s_subb_u32 s5, s5, 0
	s_delay_alu instid0(SALU_CYCLE_1)
	v_dual_mov_b32 v3, s4 :: v_dual_mov_b32 v4, s5
.LBB91_125:                             ; =>This Inner Loop Header: Depth=1
	s_add_i32 s0, s1, 0
	s_addk_i32 s1, 0x80
	v_mov_b32_e32 v33, s0
	s_cmpk_lg_i32 s1, 0x400
	ds_load_2addr_b64 v[5:8], v33 offset1:1
	ds_load_2addr_b64 v[9:12], v33 offset0:2 offset1:3
	ds_load_2addr_b64 v[13:16], v33 offset0:4 offset1:5
	;; [unrolled: 1-line block ×7, first 2 shown]
	s_waitcnt lgkmcnt(7)
	v_cmp_gt_i64_e32 vcc_lo, v[1:2], v[5:6]
	v_cndmask_b32_e64 v5, 0, 1, vcc_lo
	v_cmp_gt_i64_e32 vcc_lo, v[1:2], v[7:8]
	v_cndmask_b32_e64 v6, 0, 1, vcc_lo
	s_waitcnt lgkmcnt(6)
	v_cmp_gt_i64_e32 vcc_lo, v[1:2], v[9:10]
	v_cndmask_b32_e64 v7, 0, 1, vcc_lo
	v_cmp_gt_i64_e32 vcc_lo, v[1:2], v[11:12]
	v_cndmask_b32_e64 v8, 0, 1, vcc_lo
	;; [unrolled: 5-line block ×4, first 2 shown]
	s_waitcnt lgkmcnt(3)
	v_cmp_gt_i64_e32 vcc_lo, v[1:2], v[21:22]
	v_cndmask_b32_e64 v13, 0, 1, vcc_lo
	v_add_co_u32 v3, vcc_lo, v3, v5
	v_add_co_ci_u32_e32 v4, vcc_lo, 0, v4, vcc_lo
	v_cmp_gt_i64_e32 vcc_lo, v[1:2], v[23:24]
	s_delay_alu instid0(VALU_DEP_3) | instskip(NEXT) | instid1(VALU_DEP_1)
	v_add_co_u32 v3, s0, v3, v6
	v_add_co_ci_u32_e64 v4, s0, 0, v4, s0
	v_cndmask_b32_e64 v5, 0, 1, vcc_lo
	s_delay_alu instid0(VALU_DEP_3) | instskip(NEXT) | instid1(VALU_DEP_3)
	v_add_co_u32 v3, vcc_lo, v3, v7
	v_add_co_ci_u32_e32 v4, vcc_lo, 0, v4, vcc_lo
	s_waitcnt lgkmcnt(2)
	v_cmp_gt_i64_e32 vcc_lo, v[1:2], v[25:26]
	s_delay_alu instid0(VALU_DEP_3) | instskip(NEXT) | instid1(VALU_DEP_1)
	v_add_co_u32 v3, s0, v3, v8
	v_add_co_ci_u32_e64 v4, s0, 0, v4, s0
	v_cndmask_b32_e64 v6, 0, 1, vcc_lo
	s_delay_alu instid0(VALU_DEP_3) | instskip(NEXT) | instid1(VALU_DEP_3)
	v_add_co_u32 v3, vcc_lo, v3, v9
	v_add_co_ci_u32_e32 v4, vcc_lo, 0, v4, vcc_lo
	v_cmp_gt_i64_e32 vcc_lo, v[1:2], v[27:28]
	s_delay_alu instid0(VALU_DEP_3) | instskip(NEXT) | instid1(VALU_DEP_1)
	v_add_co_u32 v3, s0, v3, v10
	v_add_co_ci_u32_e64 v4, s0, 0, v4, s0
	v_cndmask_b32_e64 v7, 0, 1, vcc_lo
	s_delay_alu instid0(VALU_DEP_3) | instskip(NEXT) | instid1(VALU_DEP_3)
	v_add_co_u32 v3, vcc_lo, v3, v11
	v_add_co_ci_u32_e32 v4, vcc_lo, 0, v4, vcc_lo
	s_waitcnt lgkmcnt(1)
	v_cmp_gt_i64_e32 vcc_lo, v[1:2], v[29:30]
	s_delay_alu instid0(VALU_DEP_3) | instskip(NEXT) | instid1(VALU_DEP_1)
	v_add_co_u32 v3, s0, v3, v12
	v_add_co_ci_u32_e64 v4, s0, 0, v4, s0
	v_cndmask_b32_e64 v8, 0, 1, vcc_lo
	s_delay_alu instid0(VALU_DEP_3) | instskip(NEXT) | instid1(VALU_DEP_3)
	;; [unrolled: 17-line block ×3, first 2 shown]
	v_add_co_u32 v3, vcc_lo, v3, v8
	v_add_co_ci_u32_e32 v4, vcc_lo, 0, v4, vcc_lo
	v_cmp_gt_i64_e32 vcc_lo, v[1:2], v[35:36]
	s_delay_alu instid0(VALU_DEP_3) | instskip(NEXT) | instid1(VALU_DEP_1)
	v_add_co_u32 v3, s0, v3, v5
	v_add_co_ci_u32_e64 v4, s0, 0, v4, s0
	v_cndmask_b32_e64 v5, 0, 1, vcc_lo
	s_delay_alu instid0(VALU_DEP_3) | instskip(NEXT) | instid1(VALU_DEP_3)
	v_add_co_u32 v3, vcc_lo, v3, v6
	v_add_co_ci_u32_e32 v4, vcc_lo, 0, v4, vcc_lo
	s_delay_alu instid0(VALU_DEP_2) | instskip(NEXT) | instid1(VALU_DEP_2)
	v_add_co_u32 v3, vcc_lo, v3, v5
	v_add_co_ci_u32_e32 v4, vcc_lo, 0, v4, vcc_lo
	s_cbranch_scc1 .LBB91_125
; %bb.126:
	v_lshlrev_b32_e32 v5, 2, v0
	s_cmp_eq_u32 s3, 0
	v_lshlrev_b32_e32 v0, 4, v0
	s_cselect_b32 s0, 2, 1
	s_cselect_b32 s1, 1, 2
	v_or_b32_e32 v6, s0, v5
	v_or_b32_e32 v5, s1, v5
	v_add_nc_u32_e32 v7, 0, v0
	v_add3_u32 v0, 0, 0x400, v0
	v_lshlrev_b64 v[9:10], 3, v[3:4]
	v_lshl_add_u32 v6, v6, 2, 0
	v_lshl_add_u32 v8, v5, 2, 0
	ds_load_b32 v5, v7 offset:1024
	ds_load_b32 v7, v6 offset:1024
	;; [unrolled: 1-line block ×4, first 2 shown]
	v_add_co_u32 v0, vcc_lo, v1, s22
	v_add_co_ci_u32_e32 v1, vcc_lo, 0, v2, vcc_lo
	v_lshlrev_b64 v[2:3], 4, v[3:4]
	v_add_co_u32 v9, vcc_lo, s24, v9
	v_add_co_ci_u32_e32 v10, vcc_lo, s25, v10, vcc_lo
	s_delay_alu instid0(VALU_DEP_3) | instskip(NEXT) | instid1(VALU_DEP_4)
	v_add_co_u32 v2, vcc_lo, s26, v2
	v_add_co_ci_u32_e32 v3, vcc_lo, s27, v3, vcc_lo
	global_store_b64 v[9:10], v[0:1], off
	s_waitcnt lgkmcnt(0)
	global_store_b128 v[2:3], v[5:8], off
.LBB91_127:
	s_nop 0
	s_sendmsg sendmsg(MSG_DEALLOC_VGPRS)
	s_endpgm
	.section	.rodata,"a",@progbits
	.p2align	6, 0x0
	.amdhsa_kernel _ZN9rocsparseL30bsrgemm_fill_block_per_row_2x2ILj256ELj16ELj128ELj137EllfEEv20rocsparse_direction_T4_S2_PKS2_S4_NS_24const_host_device_scalarIT5_EEPKT3_S4_PKS6_SA_S4_SC_S7_SA_S4_SC_SA_PS2_PS6_21rocsparse_index_base_SF_SF_SF_bbb
		.amdhsa_group_segment_fixed_size 0
		.amdhsa_private_segment_fixed_size 0
		.amdhsa_kernarg_size 172
		.amdhsa_user_sgpr_count 15
		.amdhsa_user_sgpr_dispatch_ptr 0
		.amdhsa_user_sgpr_queue_ptr 0
		.amdhsa_user_sgpr_kernarg_segment_ptr 1
		.amdhsa_user_sgpr_dispatch_id 0
		.amdhsa_user_sgpr_private_segment_size 0
		.amdhsa_wavefront_size32 1
		.amdhsa_uses_dynamic_stack 0
		.amdhsa_enable_private_segment 0
		.amdhsa_system_sgpr_workgroup_id_x 1
		.amdhsa_system_sgpr_workgroup_id_y 0
		.amdhsa_system_sgpr_workgroup_id_z 0
		.amdhsa_system_sgpr_workgroup_info 0
		.amdhsa_system_vgpr_workitem_id 0
		.amdhsa_next_free_vgpr 37
		.amdhsa_next_free_sgpr 48
		.amdhsa_reserve_vcc 1
		.amdhsa_float_round_mode_32 0
		.amdhsa_float_round_mode_16_64 0
		.amdhsa_float_denorm_mode_32 3
		.amdhsa_float_denorm_mode_16_64 3
		.amdhsa_dx10_clamp 1
		.amdhsa_ieee_mode 1
		.amdhsa_fp16_overflow 0
		.amdhsa_workgroup_processor_mode 1
		.amdhsa_memory_ordered 1
		.amdhsa_forward_progress 0
		.amdhsa_shared_vgpr_count 0
		.amdhsa_exception_fp_ieee_invalid_op 0
		.amdhsa_exception_fp_denorm_src 0
		.amdhsa_exception_fp_ieee_div_zero 0
		.amdhsa_exception_fp_ieee_overflow 0
		.amdhsa_exception_fp_ieee_underflow 0
		.amdhsa_exception_fp_ieee_inexact 0
		.amdhsa_exception_int_div_zero 0
	.end_amdhsa_kernel
	.section	.text._ZN9rocsparseL30bsrgemm_fill_block_per_row_2x2ILj256ELj16ELj128ELj137EllfEEv20rocsparse_direction_T4_S2_PKS2_S4_NS_24const_host_device_scalarIT5_EEPKT3_S4_PKS6_SA_S4_SC_S7_SA_S4_SC_SA_PS2_PS6_21rocsparse_index_base_SF_SF_SF_bbb,"axG",@progbits,_ZN9rocsparseL30bsrgemm_fill_block_per_row_2x2ILj256ELj16ELj128ELj137EllfEEv20rocsparse_direction_T4_S2_PKS2_S4_NS_24const_host_device_scalarIT5_EEPKT3_S4_PKS6_SA_S4_SC_S7_SA_S4_SC_SA_PS2_PS6_21rocsparse_index_base_SF_SF_SF_bbb,comdat
.Lfunc_end91:
	.size	_ZN9rocsparseL30bsrgemm_fill_block_per_row_2x2ILj256ELj16ELj128ELj137EllfEEv20rocsparse_direction_T4_S2_PKS2_S4_NS_24const_host_device_scalarIT5_EEPKT3_S4_PKS6_SA_S4_SC_S7_SA_S4_SC_SA_PS2_PS6_21rocsparse_index_base_SF_SF_SF_bbb, .Lfunc_end91-_ZN9rocsparseL30bsrgemm_fill_block_per_row_2x2ILj256ELj16ELj128ELj137EllfEEv20rocsparse_direction_T4_S2_PKS2_S4_NS_24const_host_device_scalarIT5_EEPKT3_S4_PKS6_SA_S4_SC_S7_SA_S4_SC_SA_PS2_PS6_21rocsparse_index_base_SF_SF_SF_bbb
                                        ; -- End function
	.section	.AMDGPU.csdata,"",@progbits
; Kernel info:
; codeLenInByte = 4616
; NumSgprs: 50
; NumVgprs: 37
; ScratchSize: 0
; MemoryBound: 0
; FloatMode: 240
; IeeeMode: 1
; LDSByteSize: 0 bytes/workgroup (compile time only)
; SGPRBlocks: 6
; VGPRBlocks: 4
; NumSGPRsForWavesPerEU: 50
; NumVGPRsForWavesPerEU: 37
; Occupancy: 16
; WaveLimiterHint : 1
; COMPUTE_PGM_RSRC2:SCRATCH_EN: 0
; COMPUTE_PGM_RSRC2:USER_SGPR: 15
; COMPUTE_PGM_RSRC2:TRAP_HANDLER: 0
; COMPUTE_PGM_RSRC2:TGID_X_EN: 1
; COMPUTE_PGM_RSRC2:TGID_Y_EN: 0
; COMPUTE_PGM_RSRC2:TGID_Z_EN: 0
; COMPUTE_PGM_RSRC2:TIDIG_COMP_CNT: 0
	.section	.text._ZN9rocsparseL30bsrgemm_fill_block_per_row_2x2ILj256ELj16ELj256ELj137EllfEEv20rocsparse_direction_T4_S2_PKS2_S4_NS_24const_host_device_scalarIT5_EEPKT3_S4_PKS6_SA_S4_SC_S7_SA_S4_SC_SA_PS2_PS6_21rocsparse_index_base_SF_SF_SF_bbb,"axG",@progbits,_ZN9rocsparseL30bsrgemm_fill_block_per_row_2x2ILj256ELj16ELj256ELj137EllfEEv20rocsparse_direction_T4_S2_PKS2_S4_NS_24const_host_device_scalarIT5_EEPKT3_S4_PKS6_SA_S4_SC_S7_SA_S4_SC_SA_PS2_PS6_21rocsparse_index_base_SF_SF_SF_bbb,comdat
	.globl	_ZN9rocsparseL30bsrgemm_fill_block_per_row_2x2ILj256ELj16ELj256ELj137EllfEEv20rocsparse_direction_T4_S2_PKS2_S4_NS_24const_host_device_scalarIT5_EEPKT3_S4_PKS6_SA_S4_SC_S7_SA_S4_SC_SA_PS2_PS6_21rocsparse_index_base_SF_SF_SF_bbb ; -- Begin function _ZN9rocsparseL30bsrgemm_fill_block_per_row_2x2ILj256ELj16ELj256ELj137EllfEEv20rocsparse_direction_T4_S2_PKS2_S4_NS_24const_host_device_scalarIT5_EEPKT3_S4_PKS6_SA_S4_SC_S7_SA_S4_SC_SA_PS2_PS6_21rocsparse_index_base_SF_SF_SF_bbb
	.p2align	8
	.type	_ZN9rocsparseL30bsrgemm_fill_block_per_row_2x2ILj256ELj16ELj256ELj137EllfEEv20rocsparse_direction_T4_S2_PKS2_S4_NS_24const_host_device_scalarIT5_EEPKT3_S4_PKS6_SA_S4_SC_S7_SA_S4_SC_SA_PS2_PS6_21rocsparse_index_base_SF_SF_SF_bbb,@function
_ZN9rocsparseL30bsrgemm_fill_block_per_row_2x2ILj256ELj16ELj256ELj137EllfEEv20rocsparse_direction_T4_S2_PKS2_S4_NS_24const_host_device_scalarIT5_EEPKT3_S4_PKS6_SA_S4_SC_S7_SA_S4_SC_SA_PS2_PS6_21rocsparse_index_base_SF_SF_SF_bbb: ; @_ZN9rocsparseL30bsrgemm_fill_block_per_row_2x2ILj256ELj16ELj256ELj137EllfEEv20rocsparse_direction_T4_S2_PKS2_S4_NS_24const_host_device_scalarIT5_EEPKT3_S4_PKS6_SA_S4_SC_S7_SA_S4_SC_SA_PS2_PS6_21rocsparse_index_base_SF_SF_SF_bbb
; %bb.0:
	s_clause 0x2
	s_load_b32 s6, s[0:1], 0xa8
	s_load_b64 s[4:5], s[0:1], 0x28
	s_load_b64 s[2:3], s[0:1], 0x60
	s_mov_b32 s34, s15
	s_waitcnt lgkmcnt(0)
	s_bitcmp1_b32 s6, 0
	s_cselect_b32 s42, -1, 0
	s_bitcmp1_b32 s6, 16
	s_cselect_b32 s7, -1, 0
	s_xor_b32 s8, s42, -1
	s_delay_alu instid0(SALU_CYCLE_1) | instskip(NEXT) | instid1(SALU_CYCLE_1)
	s_or_b32 s8, s8, s7
	s_and_b32 vcc_lo, exec_lo, s8
	s_cbranch_vccnz .LBB92_2
; %bb.1:
	s_load_b32 s4, s[4:5], 0x0
	s_waitcnt lgkmcnt(0)
	v_mov_b32_e32 v16, s4
	s_branch .LBB92_3
.LBB92_2:
	v_cndmask_b32_e64 v16, 0, s4, s42
.LBB92_3:
	s_load_b128 s[20:23], s[0:1], 0x98
	s_bitcmp1_b32 s6, 8
	s_cselect_b32 s33, -1, 0
	s_delay_alu instid0(SALU_CYCLE_1) | instskip(NEXT) | instid1(SALU_CYCLE_1)
	s_xor_b32 s4, s33, -1
	s_or_b32 s4, s4, s7
	s_delay_alu instid0(SALU_CYCLE_1)
	s_and_b32 vcc_lo, exec_lo, s4
	s_cbranch_vccnz .LBB92_5
; %bb.4:
	s_load_b32 s2, s[2:3], 0x0
	s_waitcnt lgkmcnt(0)
	v_mov_b32_e32 v14, s2
	s_branch .LBB92_6
.LBB92_5:
	v_cndmask_b32_e64 v14, 0, s2, s33
.LBB92_6:
	s_clause 0x5
	s_load_b128 s[24:27], s[0:1], 0x88
	s_load_b256 s[4:11], s[0:1], 0x68
	s_load_b128 s[36:39], s[0:1], 0x50
	s_load_b128 s[28:31], s[0:1], 0x10
	s_load_b64 s[40:41], s[0:1], 0x20
	s_load_b256 s[12:19], s[0:1], 0x30
	v_cmp_gt_u32_e64 s2, 0x100, v0
	v_lshl_add_u32 v15, v0, 3, 0
	s_delay_alu instid0(VALU_DEP_2)
	s_and_saveexec_b32 s3, s2
	s_cbranch_execz .LBB92_8
; %bb.7:
	s_waitcnt lgkmcnt(0)
	v_dual_mov_b32 v1, s28 :: v_dual_mov_b32 v2, s29
	ds_store_b64 v15, v[1:2]
.LBB92_8:
	s_or_b32 exec_lo, exec_lo, s3
	v_lshlrev_b32_e32 v13, 2, v0
	v_or_b32_e32 v1, 0xffffff00, v0
	v_mov_b32_e32 v3, 0
	s_mov_b32 s3, 0
	s_delay_alu instid0(VALU_DEP_3)
	v_add3_u32 v2, v13, 0, 0x800
.LBB92_9:                               ; =>This Inner Loop Header: Depth=1
	s_delay_alu instid0(VALU_DEP_3) | instskip(SKIP_4) | instid1(SALU_CYCLE_1)
	v_add_nc_u32_e32 v1, 0x100, v1
	ds_store_b32 v2, v3
	v_add_nc_u32_e32 v2, 0x400, v2
	v_cmp_lt_u32_e32 vcc_lo, 0x2ff, v1
	s_or_b32 s3, vcc_lo, s3
	s_and_not1_b32 exec_lo, exec_lo, s3
	s_cbranch_execnz .LBB92_9
; %bb.10:
	s_or_b32 exec_lo, exec_lo, s3
	s_waitcnt lgkmcnt(0)
	s_cmp_lg_u64 s[40:41], 0
	s_mov_b32 s35, 0
	s_barrier
	buffer_gl0_inv
	s_cbranch_scc0 .LBB92_12
; %bb.11:
	s_load_b64 s[30:31], s[30:31], 0x0
	s_waitcnt lgkmcnt(0)
	s_lshl_b64 s[30:31], s[30:31], 3
	s_delay_alu instid0(SALU_CYCLE_1) | instskip(SKIP_2) | instid1(SALU_CYCLE_1)
	s_add_u32 s3, s40, s30
	s_addc_u32 s40, s41, s31
	s_lshl_b64 s[30:31], s[34:35], 3
	s_add_u32 s30, s3, s30
	s_addc_u32 s31, s40, s31
	s_load_b64 s[34:35], s[30:31], 0x0
.LBB92_12:
	s_load_b32 s3, s[0:1], 0x0
	s_and_not1_b32 vcc_lo, exec_lo, s42
	s_cbranch_vccnz .LBB92_68
; %bb.13:
	s_waitcnt lgkmcnt(0)
	s_lshl_b64 s[0:1], s[34:35], 3
	v_lshrrev_b32_e32 v1, 4, v0
	s_add_u32 s0, s12, s0
	s_addc_u32 s1, s13, s1
	s_mov_b32 s13, 0
	s_load_b128 s[40:43], s[0:1], 0x0
	v_sub_co_u32 v1, s0, v1, s20
	s_delay_alu instid0(VALU_DEP_1) | instskip(SKIP_2) | instid1(VALU_DEP_2)
	v_sub_co_ci_u32_e64 v2, null, 0, 0, s0
	s_mov_b32 s12, exec_lo
	s_waitcnt lgkmcnt(0)
	v_add_co_u32 v1, vcc_lo, s40, v1
	s_delay_alu instid0(VALU_DEP_2)
	v_add_co_ci_u32_e32 v2, vcc_lo, s41, v2, vcc_lo
	s_sub_u32 s0, s42, s20
	s_subb_u32 s1, s43, 0
	s_delay_alu instid0(VALU_DEP_1) | instid1(SALU_CYCLE_1)
	v_cmpx_gt_i64_e64 s[0:1], v[1:2]
	s_cbranch_execz .LBB92_67
; %bb.14:
	v_and_b32_e32 v3, 15, v0
	s_cmp_eq_u32 s3, 0
	s_cselect_b32 s31, 2, 1
	s_delay_alu instid0(VALU_DEP_1) | instskip(NEXT) | instid1(VALU_DEP_1)
	v_sub_co_u32 v17, s30, v3, s21
	v_sub_co_ci_u32_e64 v18, null, 0, 0, s30
	s_cselect_b32 s30, 1, 2
	s_branch .LBB92_16
.LBB92_15:                              ;   in Loop: Header=BB92_16 Depth=1
	s_or_b32 exec_lo, exec_lo, s40
	v_add_co_u32 v1, vcc_lo, v1, 16
	v_add_co_ci_u32_e32 v2, vcc_lo, 0, v2, vcc_lo
	s_delay_alu instid0(VALU_DEP_1) | instskip(SKIP_1) | instid1(SALU_CYCLE_1)
	v_cmp_le_i64_e32 vcc_lo, s[0:1], v[1:2]
	s_or_b32 s13, vcc_lo, s13
	s_and_not1_b32 exec_lo, exec_lo, s13
	s_cbranch_execz .LBB92_67
.LBB92_16:                              ; =>This Loop Header: Depth=1
                                        ;     Child Loop BB92_19 Depth 2
                                        ;       Child Loop BB92_21 Depth 3
                                        ;       Child Loop BB92_33 Depth 3
	;; [unrolled: 1-line block ×4, first 2 shown]
	v_lshlrev_b64 v[3:4], 3, v[1:2]
	s_mov_b32 s40, exec_lo
	s_delay_alu instid0(VALU_DEP_1) | instskip(NEXT) | instid1(VALU_DEP_2)
	v_add_co_u32 v3, vcc_lo, s14, v3
	v_add_co_ci_u32_e32 v4, vcc_lo, s15, v4, vcc_lo
	global_load_b64 v[3:4], v[3:4], off
	s_waitcnt vmcnt(0)
	v_sub_co_u32 v3, vcc_lo, v3, s20
	v_subrev_co_ci_u32_e32 v4, vcc_lo, 0, v4, vcc_lo
	s_delay_alu instid0(VALU_DEP_1) | instskip(NEXT) | instid1(VALU_DEP_1)
	v_lshlrev_b64 v[3:4], 3, v[3:4]
	v_add_co_u32 v3, vcc_lo, s18, v3
	s_delay_alu instid0(VALU_DEP_2)
	v_add_co_ci_u32_e32 v4, vcc_lo, s19, v4, vcc_lo
	global_load_b128 v[5:8], v[3:4], off
	s_waitcnt vmcnt(0)
	v_sub_co_u32 v3, vcc_lo, v7, s21
	v_subrev_co_ci_u32_e32 v4, vcc_lo, 0, v8, vcc_lo
	v_add_co_u32 v5, vcc_lo, v5, v17
	v_add_co_ci_u32_e32 v6, vcc_lo, v6, v18, vcc_lo
	s_delay_alu instid0(VALU_DEP_1)
	v_cmpx_lt_i64_e64 v[5:6], v[3:4]
	s_cbranch_execz .LBB92_15
; %bb.17:                               ;   in Loop: Header=BB92_16 Depth=1
	v_lshlrev_b64 v[7:8], 2, v[1:2]
	v_lshlrev_b64 v[11:12], 4, v[1:2]
	s_mov_b32 s41, 0
	s_delay_alu instid0(VALU_DEP_2) | instskip(NEXT) | instid1(VALU_DEP_3)
	v_or_b32_e32 v10, 0, v8
	v_or_b32_e32 v9, s31, v7
	v_or_b32_e32 v8, 0, v8
	v_or_b32_e32 v7, s30, v7
	v_add_co_u32 v11, vcc_lo, s16, v11
	s_delay_alu instid0(VALU_DEP_4) | instskip(SKIP_1) | instid1(VALU_DEP_4)
	v_lshlrev_b64 v[9:10], 2, v[9:10]
	v_add_co_ci_u32_e32 v12, vcc_lo, s17, v12, vcc_lo
	v_lshlrev_b64 v[7:8], 2, v[7:8]
	s_delay_alu instid0(VALU_DEP_3) | instskip(NEXT) | instid1(VALU_DEP_4)
	v_add_co_u32 v9, vcc_lo, s16, v9
	v_add_co_ci_u32_e32 v10, vcc_lo, s17, v10, vcc_lo
	s_delay_alu instid0(VALU_DEP_3) | instskip(NEXT) | instid1(VALU_DEP_4)
	v_add_co_u32 v7, vcc_lo, s16, v7
	v_add_co_ci_u32_e32 v8, vcc_lo, s17, v8, vcc_lo
	s_clause 0x3
	global_load_b32 v19, v[11:12], off offset:12
	global_load_b32 v9, v[9:10], off
	global_load_b32 v7, v[7:8], off
	;; [unrolled: 1-line block ×3, first 2 shown]
	s_waitcnt vmcnt(3)
	v_mul_f32_e32 v19, v16, v19
	s_waitcnt vmcnt(2)
	v_mul_f32_e32 v20, v16, v9
	;; [unrolled: 2-line block ×4, first 2 shown]
	s_branch .LBB92_19
.LBB92_18:                              ;   in Loop: Header=BB92_19 Depth=2
	s_or_b32 exec_lo, exec_lo, s42
	v_add_co_u32 v5, vcc_lo, v5, 16
	v_add_co_ci_u32_e32 v6, vcc_lo, 0, v6, vcc_lo
	s_delay_alu instid0(VALU_DEP_1) | instskip(SKIP_1) | instid1(SALU_CYCLE_1)
	v_cmp_ge_i64_e32 vcc_lo, v[5:6], v[3:4]
	s_or_b32 s41, vcc_lo, s41
	s_and_not1_b32 exec_lo, exec_lo, s41
	s_cbranch_execz .LBB92_15
.LBB92_19:                              ;   Parent Loop BB92_16 Depth=1
                                        ; =>  This Loop Header: Depth=2
                                        ;       Child Loop BB92_21 Depth 3
                                        ;       Child Loop BB92_33 Depth 3
                                        ;       Child Loop BB92_45 Depth 3
                                        ;       Child Loop BB92_57 Depth 3
	v_lshlrev_b64 v[9:10], 3, v[5:6]
	v_lshlrev_b64 v[7:8], 2, v[5:6]
	;; [unrolled: 1-line block ×3, first 2 shown]
	s_mov_b32 s42, 0
	s_delay_alu instid0(VALU_DEP_3) | instskip(NEXT) | instid1(VALU_DEP_3)
	v_add_co_u32 v9, vcc_lo, s36, v9
	v_or_b32_e32 v12, 0, v8
	s_delay_alu instid0(VALU_DEP_4) | instskip(SKIP_3) | instid1(VALU_DEP_4)
	v_or_b32_e32 v11, s31, v7
	v_add_co_ci_u32_e32 v10, vcc_lo, s37, v10, vcc_lo
	v_or_b32_e32 v8, 0, v8
	v_or_b32_e32 v7, s30, v7
	v_lshlrev_b64 v[11:12], 2, v[11:12]
	global_load_b64 v[9:10], v[9:10], off
	v_lshlrev_b64 v[7:8], 2, v[7:8]
	v_add_co_u32 v11, vcc_lo, s38, v11
	v_add_co_ci_u32_e32 v12, vcc_lo, s39, v12, vcc_lo
	v_add_co_u32 v27, vcc_lo, s38, v23
	v_add_co_ci_u32_e32 v28, vcc_lo, s39, v24, vcc_lo
	s_clause 0x1
	global_load_b32 v26, v[11:12], off
	global_load_b32 v25, v[27:28], off
	v_add_co_u32 v7, vcc_lo, s38, v7
	v_add_co_ci_u32_e32 v8, vcc_lo, s39, v8, vcc_lo
	s_clause 0x1
	global_load_b32 v23, v[7:8], off
	global_load_b32 v24, v[27:28], off offset:12
	s_waitcnt vmcnt(4)
	v_sub_co_u32 v7, vcc_lo, v9, s21
	v_subrev_co_ci_u32_e32 v8, vcc_lo, 0, v10, vcc_lo
	s_delay_alu instid0(VALU_DEP_2) | instskip(NEXT) | instid1(VALU_DEP_1)
	v_mul_lo_u32 v9, 0x89, v7
	v_and_b32_e32 v9, 0xff, v9
	s_waitcnt vmcnt(3)
	v_mul_f32_e32 v27, v21, v26
	v_mov_b32_e32 v11, v10
	s_waitcnt vmcnt(2)
	s_delay_alu instid0(VALU_DEP_2)
	v_dual_mov_b32 v10, v9 :: v_dual_fmac_f32 v27, v22, v25
	s_branch .LBB92_21
.LBB92_20:                              ;   in Loop: Header=BB92_21 Depth=3
	s_or_b32 exec_lo, exec_lo, s43
	s_xor_b32 s43, s44, -1
	s_delay_alu instid0(SALU_CYCLE_1) | instskip(NEXT) | instid1(SALU_CYCLE_1)
	s_and_b32 s43, exec_lo, s43
	s_or_b32 s42, s43, s42
	s_delay_alu instid0(SALU_CYCLE_1)
	s_and_not1_b32 exec_lo, exec_lo, s42
	s_cbranch_execz .LBB92_31
.LBB92_21:                              ;   Parent Loop BB92_16 Depth=1
                                        ;     Parent Loop BB92_19 Depth=2
                                        ; =>    This Inner Loop Header: Depth=3
	s_delay_alu instid0(VALU_DEP_1)
	v_lshl_add_u32 v28, v10, 3, 0
	s_mov_b32 s43, exec_lo
                                        ; implicit-def: $sgpr44
	ds_load_b64 v[11:12], v28
	s_waitcnt lgkmcnt(0)
	v_cmpx_ne_u64_e64 v[11:12], v[7:8]
	s_xor_b32 s43, exec_lo, s43
	s_cbranch_execz .LBB92_29
; %bb.22:                               ;   in Loop: Header=BB92_21 Depth=3
	s_mov_b32 s45, exec_lo
                                        ; implicit-def: $sgpr44
	v_cmpx_ne_u64_e64 s[28:29], v[11:12]
	s_xor_b32 s45, exec_lo, s45
; %bb.23:                               ;   in Loop: Header=BB92_21 Depth=3
	v_add_nc_u32_e32 v10, 1, v10
	s_mov_b32 s44, -1
                                        ; implicit-def: $vgpr28
	s_delay_alu instid0(VALU_DEP_1)
	v_and_b32_e32 v10, 0xff, v10
; %bb.24:                               ;   in Loop: Header=BB92_21 Depth=3
	s_and_not1_saveexec_b32 s45, s45
	s_cbranch_execz .LBB92_28
; %bb.25:                               ;   in Loop: Header=BB92_21 Depth=3
	v_dual_mov_b32 v11, s28 :: v_dual_mov_b32 v12, s29
	s_mov_b32 s46, -1
	s_mov_b32 s47, exec_lo
	ds_cmpstore_rtn_b64 v[11:12], v28, v[7:8], v[11:12]
	s_waitcnt lgkmcnt(0)
	v_cmpx_eq_u64_e64 s[28:29], v[11:12]
	s_cbranch_execz .LBB92_27
; %bb.26:                               ;   in Loop: Header=BB92_21 Depth=3
	v_lshl_add_u32 v11, v10, 3, v28
	s_xor_b32 s46, exec_lo, -1
	ds_add_f32 v11, v27 offset:2048
.LBB92_27:                              ;   in Loop: Header=BB92_21 Depth=3
	s_or_b32 exec_lo, exec_lo, s47
	s_delay_alu instid0(SALU_CYCLE_1) | instskip(SKIP_1) | instid1(SALU_CYCLE_1)
	s_and_not1_b32 s44, s44, exec_lo
	s_and_b32 s46, s46, exec_lo
	s_or_b32 s44, s44, s46
.LBB92_28:                              ;   in Loop: Header=BB92_21 Depth=3
	s_or_b32 exec_lo, exec_lo, s45
	s_delay_alu instid0(SALU_CYCLE_1)
	s_and_b32 s44, s44, exec_lo
                                        ; implicit-def: $vgpr28
.LBB92_29:                              ;   in Loop: Header=BB92_21 Depth=3
	s_and_not1_saveexec_b32 s43, s43
	s_cbranch_execz .LBB92_20
; %bb.30:                               ;   in Loop: Header=BB92_21 Depth=3
	v_lshl_add_u32 v11, v10, 3, v28
	s_and_not1_b32 s44, s44, exec_lo
	ds_add_f32 v11, v27 offset:2048
	s_branch .LBB92_20
.LBB92_31:                              ;   in Loop: Header=BB92_19 Depth=2
	s_or_b32 exec_lo, exec_lo, s42
	s_waitcnt vmcnt(0)
	v_mul_f32_e32 v27, v21, v24
	v_mov_b32_e32 v11, v10
	s_mov_b32 s42, 0
	s_delay_alu instid0(VALU_DEP_2)
	v_dual_mov_b32 v10, v9 :: v_dual_fmac_f32 v27, v22, v23
	s_branch .LBB92_33
.LBB92_32:                              ;   in Loop: Header=BB92_33 Depth=3
	s_or_b32 exec_lo, exec_lo, s43
	s_xor_b32 s43, s44, -1
	s_delay_alu instid0(SALU_CYCLE_1) | instskip(NEXT) | instid1(SALU_CYCLE_1)
	s_and_b32 s43, exec_lo, s43
	s_or_b32 s42, s43, s42
	s_delay_alu instid0(SALU_CYCLE_1)
	s_and_not1_b32 exec_lo, exec_lo, s42
	s_cbranch_execz .LBB92_43
.LBB92_33:                              ;   Parent Loop BB92_16 Depth=1
                                        ;     Parent Loop BB92_19 Depth=2
                                        ; =>    This Inner Loop Header: Depth=3
	s_delay_alu instid0(VALU_DEP_1)
	v_lshl_add_u32 v28, v10, 3, 0
	s_mov_b32 s43, exec_lo
                                        ; implicit-def: $sgpr44
	ds_load_b64 v[11:12], v28
	s_waitcnt lgkmcnt(0)
	v_cmpx_ne_u64_e64 v[11:12], v[7:8]
	s_xor_b32 s43, exec_lo, s43
	s_cbranch_execz .LBB92_41
; %bb.34:                               ;   in Loop: Header=BB92_33 Depth=3
	s_mov_b32 s45, exec_lo
                                        ; implicit-def: $sgpr44
	v_cmpx_ne_u64_e64 s[28:29], v[11:12]
	s_xor_b32 s45, exec_lo, s45
; %bb.35:                               ;   in Loop: Header=BB92_33 Depth=3
	v_add_nc_u32_e32 v10, 1, v10
	s_mov_b32 s44, -1
                                        ; implicit-def: $vgpr28
	s_delay_alu instid0(VALU_DEP_1)
	v_and_b32_e32 v10, 0xff, v10
; %bb.36:                               ;   in Loop: Header=BB92_33 Depth=3
	s_and_not1_saveexec_b32 s45, s45
	s_cbranch_execz .LBB92_40
; %bb.37:                               ;   in Loop: Header=BB92_33 Depth=3
	v_dual_mov_b32 v11, s28 :: v_dual_mov_b32 v12, s29
	s_mov_b32 s46, -1
	s_mov_b32 s47, exec_lo
	ds_cmpstore_rtn_b64 v[11:12], v28, v[7:8], v[11:12]
	s_waitcnt lgkmcnt(0)
	v_cmpx_eq_u64_e64 s[28:29], v[11:12]
	s_cbranch_execz .LBB92_39
; %bb.38:                               ;   in Loop: Header=BB92_33 Depth=3
	v_lshl_add_u32 v11, v10, 3, v28
	s_xor_b32 s46, exec_lo, -1
	ds_add_f32 v11, v27 offset:2052
.LBB92_39:                              ;   in Loop: Header=BB92_33 Depth=3
	s_or_b32 exec_lo, exec_lo, s47
	s_delay_alu instid0(SALU_CYCLE_1) | instskip(SKIP_1) | instid1(SALU_CYCLE_1)
	s_and_not1_b32 s44, s44, exec_lo
	s_and_b32 s46, s46, exec_lo
	s_or_b32 s44, s44, s46
.LBB92_40:                              ;   in Loop: Header=BB92_33 Depth=3
	s_or_b32 exec_lo, exec_lo, s45
	s_delay_alu instid0(SALU_CYCLE_1)
	s_and_b32 s44, s44, exec_lo
                                        ; implicit-def: $vgpr28
.LBB92_41:                              ;   in Loop: Header=BB92_33 Depth=3
	s_and_not1_saveexec_b32 s43, s43
	s_cbranch_execz .LBB92_32
; %bb.42:                               ;   in Loop: Header=BB92_33 Depth=3
	v_lshl_add_u32 v11, v10, 3, v28
	s_and_not1_b32 s44, s44, exec_lo
	ds_add_f32 v11, v27 offset:2052
	s_branch .LBB92_32
.LBB92_43:                              ;   in Loop: Header=BB92_19 Depth=2
	s_or_b32 exec_lo, exec_lo, s42
	v_dual_mul_f32 v26, v19, v26 :: v_dual_mov_b32 v11, v10
	v_mov_b32_e32 v10, v9
	s_mov_b32 s42, 0
	s_delay_alu instid0(VALU_DEP_2)
	v_fmac_f32_e32 v26, v20, v25
	s_branch .LBB92_45
.LBB92_44:                              ;   in Loop: Header=BB92_45 Depth=3
	s_or_b32 exec_lo, exec_lo, s43
	s_xor_b32 s43, s44, -1
	s_delay_alu instid0(SALU_CYCLE_1) | instskip(NEXT) | instid1(SALU_CYCLE_1)
	s_and_b32 s43, exec_lo, s43
	s_or_b32 s42, s43, s42
	s_delay_alu instid0(SALU_CYCLE_1)
	s_and_not1_b32 exec_lo, exec_lo, s42
	s_cbranch_execz .LBB92_55
.LBB92_45:                              ;   Parent Loop BB92_16 Depth=1
                                        ;     Parent Loop BB92_19 Depth=2
                                        ; =>    This Inner Loop Header: Depth=3
	s_delay_alu instid0(VALU_DEP_2)
	v_lshl_add_u32 v25, v10, 3, 0
	s_mov_b32 s43, exec_lo
                                        ; implicit-def: $sgpr44
	ds_load_b64 v[11:12], v25
	s_waitcnt lgkmcnt(0)
	v_cmpx_ne_u64_e64 v[11:12], v[7:8]
	s_xor_b32 s43, exec_lo, s43
	s_cbranch_execz .LBB92_53
; %bb.46:                               ;   in Loop: Header=BB92_45 Depth=3
	s_mov_b32 s45, exec_lo
                                        ; implicit-def: $sgpr44
	v_cmpx_ne_u64_e64 s[28:29], v[11:12]
	s_xor_b32 s45, exec_lo, s45
; %bb.47:                               ;   in Loop: Header=BB92_45 Depth=3
	v_add_nc_u32_e32 v10, 1, v10
	s_mov_b32 s44, -1
                                        ; implicit-def: $vgpr25
	s_delay_alu instid0(VALU_DEP_1)
	v_and_b32_e32 v10, 0xff, v10
; %bb.48:                               ;   in Loop: Header=BB92_45 Depth=3
	s_and_not1_saveexec_b32 s45, s45
	s_cbranch_execz .LBB92_52
; %bb.49:                               ;   in Loop: Header=BB92_45 Depth=3
	v_dual_mov_b32 v11, s28 :: v_dual_mov_b32 v12, s29
	s_mov_b32 s46, -1
	s_mov_b32 s47, exec_lo
	ds_cmpstore_rtn_b64 v[11:12], v25, v[7:8], v[11:12]
	s_waitcnt lgkmcnt(0)
	v_cmpx_eq_u64_e64 s[28:29], v[11:12]
	s_cbranch_execz .LBB92_51
; %bb.50:                               ;   in Loop: Header=BB92_45 Depth=3
	v_lshl_add_u32 v11, v10, 3, v25
	s_xor_b32 s46, exec_lo, -1
	ds_add_f32 v11, v26 offset:2056
.LBB92_51:                              ;   in Loop: Header=BB92_45 Depth=3
	s_or_b32 exec_lo, exec_lo, s47
	s_delay_alu instid0(SALU_CYCLE_1) | instskip(SKIP_1) | instid1(SALU_CYCLE_1)
	s_and_not1_b32 s44, s44, exec_lo
	s_and_b32 s46, s46, exec_lo
	s_or_b32 s44, s44, s46
.LBB92_52:                              ;   in Loop: Header=BB92_45 Depth=3
	s_or_b32 exec_lo, exec_lo, s45
	s_delay_alu instid0(SALU_CYCLE_1)
	s_and_b32 s44, s44, exec_lo
                                        ; implicit-def: $vgpr25
.LBB92_53:                              ;   in Loop: Header=BB92_45 Depth=3
	s_and_not1_saveexec_b32 s43, s43
	s_cbranch_execz .LBB92_44
; %bb.54:                               ;   in Loop: Header=BB92_45 Depth=3
	v_lshl_add_u32 v11, v10, 3, v25
	s_and_not1_b32 s44, s44, exec_lo
	ds_add_f32 v11, v26 offset:2056
	s_branch .LBB92_44
.LBB92_55:                              ;   in Loop: Header=BB92_19 Depth=2
	s_or_b32 exec_lo, exec_lo, s42
	v_mul_f32_e32 v12, v19, v24
	s_mov_b32 s42, 0
	s_delay_alu instid0(VALU_DEP_1)
	v_fmac_f32_e32 v12, v20, v23
	s_branch .LBB92_57
.LBB92_56:                              ;   in Loop: Header=BB92_57 Depth=3
	s_or_b32 exec_lo, exec_lo, s43
	s_xor_b32 s43, s44, -1
	s_delay_alu instid0(SALU_CYCLE_1) | instskip(NEXT) | instid1(SALU_CYCLE_1)
	s_and_b32 s43, exec_lo, s43
	s_or_b32 s42, s43, s42
	s_delay_alu instid0(SALU_CYCLE_1)
	s_and_not1_b32 exec_lo, exec_lo, s42
	s_cbranch_execz .LBB92_18
.LBB92_57:                              ;   Parent Loop BB92_16 Depth=1
                                        ;     Parent Loop BB92_19 Depth=2
                                        ; =>    This Inner Loop Header: Depth=3
	v_lshl_add_u32 v23, v9, 3, 0
	s_mov_b32 s43, exec_lo
                                        ; implicit-def: $sgpr44
	ds_load_b64 v[10:11], v23
	s_waitcnt lgkmcnt(0)
	v_cmpx_ne_u64_e64 v[10:11], v[7:8]
	s_xor_b32 s43, exec_lo, s43
	s_cbranch_execz .LBB92_65
; %bb.58:                               ;   in Loop: Header=BB92_57 Depth=3
	s_mov_b32 s45, exec_lo
                                        ; implicit-def: $sgpr44
	v_cmpx_ne_u64_e64 s[28:29], v[10:11]
	s_xor_b32 s45, exec_lo, s45
; %bb.59:                               ;   in Loop: Header=BB92_57 Depth=3
	v_add_nc_u32_e32 v9, 1, v9
	s_mov_b32 s44, -1
                                        ; implicit-def: $vgpr23
	s_delay_alu instid0(VALU_DEP_1)
	v_and_b32_e32 v9, 0xff, v9
; %bb.60:                               ;   in Loop: Header=BB92_57 Depth=3
	s_and_not1_saveexec_b32 s45, s45
	s_cbranch_execz .LBB92_64
; %bb.61:                               ;   in Loop: Header=BB92_57 Depth=3
	v_dual_mov_b32 v10, s28 :: v_dual_mov_b32 v11, s29
	s_mov_b32 s46, -1
	s_mov_b32 s47, exec_lo
	ds_cmpstore_rtn_b64 v[10:11], v23, v[7:8], v[10:11]
	s_waitcnt lgkmcnt(0)
	v_cmpx_eq_u64_e64 s[28:29], v[10:11]
	s_cbranch_execz .LBB92_63
; %bb.62:                               ;   in Loop: Header=BB92_57 Depth=3
	v_lshl_add_u32 v10, v9, 3, v23
	s_xor_b32 s46, exec_lo, -1
	ds_add_f32 v10, v12 offset:2060
.LBB92_63:                              ;   in Loop: Header=BB92_57 Depth=3
	s_or_b32 exec_lo, exec_lo, s47
	s_delay_alu instid0(SALU_CYCLE_1) | instskip(SKIP_1) | instid1(SALU_CYCLE_1)
	s_and_not1_b32 s44, s44, exec_lo
	s_and_b32 s46, s46, exec_lo
	s_or_b32 s44, s44, s46
.LBB92_64:                              ;   in Loop: Header=BB92_57 Depth=3
	s_or_b32 exec_lo, exec_lo, s45
	s_delay_alu instid0(SALU_CYCLE_1)
	s_and_b32 s44, s44, exec_lo
                                        ; implicit-def: $vgpr23
.LBB92_65:                              ;   in Loop: Header=BB92_57 Depth=3
	s_and_not1_saveexec_b32 s43, s43
	s_cbranch_execz .LBB92_56
; %bb.66:                               ;   in Loop: Header=BB92_57 Depth=3
	v_lshl_add_u32 v10, v9, 3, v23
	s_and_not1_b32 s44, s44, exec_lo
	ds_add_f32 v10, v12 offset:2060
	s_branch .LBB92_56
.LBB92_67:
	s_or_b32 exec_lo, exec_lo, s12
.LBB92_68:
	s_delay_alu instid0(SALU_CYCLE_1)
	s_and_not1_b32 vcc_lo, exec_lo, s33
	s_waitcnt lgkmcnt(0)
	s_barrier
	buffer_gl0_inv
	s_cbranch_vccnz .LBB92_121
; %bb.69:
	s_lshl_b64 s[0:1], s[34:35], 3
	s_delay_alu instid0(SALU_CYCLE_1) | instskip(SKIP_4) | instid1(VALU_DEP_1)
	s_add_u32 s0, s4, s0
	s_addc_u32 s1, s5, s1
	s_mov_b32 s4, 0
	s_load_b128 s[12:15], s[0:1], 0x0
	v_sub_co_u32 v0, s0, v0, s23
	v_sub_co_ci_u32_e64 v1, null, 0, 0, s0
	s_mov_b32 s5, exec_lo
	s_waitcnt lgkmcnt(0)
	s_delay_alu instid0(VALU_DEP_2) | instskip(NEXT) | instid1(VALU_DEP_2)
	v_add_co_u32 v0, vcc_lo, s12, v0
	v_add_co_ci_u32_e32 v1, vcc_lo, s13, v1, vcc_lo
	s_sub_u32 s0, s14, s23
	s_subb_u32 s1, s15, 0
	s_delay_alu instid0(VALU_DEP_1) | instid1(SALU_CYCLE_1)
	v_cmpx_gt_i64_e64 s[0:1], v[0:1]
	s_cbranch_execz .LBB92_120
; %bb.70:
	s_cmp_eq_u32 s3, 0
	s_mov_b32 s12, s23
	s_cselect_b32 s13, 1, 2
	s_cselect_b32 s14, 2, 1
	s_branch .LBB92_72
.LBB92_71:                              ;   in Loop: Header=BB92_72 Depth=1
	s_or_b32 exec_lo, exec_lo, s15
	v_add_co_u32 v0, vcc_lo, 0x100, v0
	v_add_co_ci_u32_e32 v1, vcc_lo, 0, v1, vcc_lo
	s_delay_alu instid0(VALU_DEP_1) | instskip(SKIP_1) | instid1(SALU_CYCLE_1)
	v_cmp_le_i64_e32 vcc_lo, s[0:1], v[0:1]
	s_or_b32 s4, vcc_lo, s4
	s_and_not1_b32 exec_lo, exec_lo, s4
	s_cbranch_execz .LBB92_120
.LBB92_72:                              ; =>This Loop Header: Depth=1
                                        ;     Child Loop BB92_74 Depth 2
                                        ;     Child Loop BB92_86 Depth 2
	;; [unrolled: 1-line block ×4, first 2 shown]
	v_lshlrev_b64 v[2:3], 3, v[0:1]
	v_lshlrev_b64 v[4:5], 2, v[0:1]
	;; [unrolled: 1-line block ×3, first 2 shown]
	s_mov_b32 s15, 0
	s_delay_alu instid0(VALU_DEP_3) | instskip(NEXT) | instid1(VALU_DEP_4)
	v_add_co_u32 v2, vcc_lo, s6, v2
	v_add_co_ci_u32_e32 v3, vcc_lo, s7, v3, vcc_lo
	s_delay_alu instid0(VALU_DEP_4)
	v_or_b32_e32 v10, 0, v5
	v_or_b32_e32 v9, s14, v4
	;; [unrolled: 1-line block ×3, first 2 shown]
	global_load_b64 v[2:3], v[2:3], off
	v_add_co_u32 v5, vcc_lo, s8, v6
	v_add_co_ci_u32_e32 v6, vcc_lo, s9, v7, vcc_lo
	v_or_b32_e32 v7, s13, v4
	v_lshlrev_b64 v[9:10], 2, v[9:10]
	global_load_b32 v11, v[5:6], off
	v_lshlrev_b64 v[7:8], 2, v[7:8]
	v_add_co_u32 v9, vcc_lo, s8, v9
	v_add_co_ci_u32_e32 v10, vcc_lo, s9, v10, vcc_lo
	s_delay_alu instid0(VALU_DEP_3) | instskip(NEXT) | instid1(VALU_DEP_4)
	v_add_co_u32 v7, vcc_lo, s8, v7
	v_add_co_ci_u32_e32 v8, vcc_lo, s9, v8, vcc_lo
	s_clause 0x2
	global_load_b32 v9, v[9:10], off
	global_load_b32 v10, v[7:8], off
	global_load_b32 v8, v[5:6], off offset:12
	s_waitcnt vmcnt(4)
	v_sub_co_u32 v2, vcc_lo, v2, s12
	v_subrev_co_ci_u32_e32 v3, vcc_lo, 0, v3, vcc_lo
	s_delay_alu instid0(VALU_DEP_2) | instskip(SKIP_1) | instid1(VALU_DEP_1)
	v_mul_lo_u32 v4, 0x89, v2
	s_waitcnt vmcnt(3)
	v_dual_mul_f32 v11, v14, v11 :: v_dual_and_b32 v4, 0xff, v4
	v_mov_b32_e32 v6, v5
	s_delay_alu instid0(VALU_DEP_2)
	v_mov_b32_e32 v5, v4
	s_branch .LBB92_74
.LBB92_73:                              ;   in Loop: Header=BB92_74 Depth=2
	s_or_b32 exec_lo, exec_lo, s16
	s_xor_b32 s16, s17, -1
	s_delay_alu instid0(SALU_CYCLE_1) | instskip(NEXT) | instid1(SALU_CYCLE_1)
	s_and_b32 s16, exec_lo, s16
	s_or_b32 s15, s16, s15
	s_delay_alu instid0(SALU_CYCLE_1)
	s_and_not1_b32 exec_lo, exec_lo, s15
	s_cbranch_execz .LBB92_84
.LBB92_74:                              ;   Parent Loop BB92_72 Depth=1
                                        ; =>  This Inner Loop Header: Depth=2
	s_delay_alu instid0(VALU_DEP_1)
	v_lshl_add_u32 v12, v5, 3, 0
	s_mov_b32 s16, exec_lo
                                        ; implicit-def: $sgpr17
	ds_load_b64 v[6:7], v12
	s_waitcnt lgkmcnt(0)
	v_cmpx_ne_u64_e64 v[6:7], v[2:3]
	s_xor_b32 s16, exec_lo, s16
	s_cbranch_execz .LBB92_82
; %bb.75:                               ;   in Loop: Header=BB92_74 Depth=2
	s_mov_b32 s18, exec_lo
                                        ; implicit-def: $sgpr17
	v_cmpx_ne_u64_e64 s[28:29], v[6:7]
	s_xor_b32 s18, exec_lo, s18
; %bb.76:                               ;   in Loop: Header=BB92_74 Depth=2
	v_add_nc_u32_e32 v5, 1, v5
	s_mov_b32 s17, -1
                                        ; implicit-def: $vgpr12
	s_delay_alu instid0(VALU_DEP_1)
	v_and_b32_e32 v5, 0xff, v5
; %bb.77:                               ;   in Loop: Header=BB92_74 Depth=2
	s_and_not1_saveexec_b32 s18, s18
	s_cbranch_execz .LBB92_81
; %bb.78:                               ;   in Loop: Header=BB92_74 Depth=2
	v_dual_mov_b32 v6, s28 :: v_dual_mov_b32 v7, s29
	s_mov_b32 s19, -1
	s_mov_b32 s20, exec_lo
	ds_cmpstore_rtn_b64 v[6:7], v12, v[2:3], v[6:7]
	s_waitcnt lgkmcnt(0)
	v_cmpx_eq_u64_e64 s[28:29], v[6:7]
	s_cbranch_execz .LBB92_80
; %bb.79:                               ;   in Loop: Header=BB92_74 Depth=2
	v_lshl_add_u32 v6, v5, 3, v12
	s_xor_b32 s19, exec_lo, -1
	ds_add_f32 v6, v11 offset:2048
.LBB92_80:                              ;   in Loop: Header=BB92_74 Depth=2
	s_or_b32 exec_lo, exec_lo, s20
	s_delay_alu instid0(SALU_CYCLE_1) | instskip(SKIP_1) | instid1(SALU_CYCLE_1)
	s_and_not1_b32 s17, s17, exec_lo
	s_and_b32 s19, s19, exec_lo
	s_or_b32 s17, s17, s19
.LBB92_81:                              ;   in Loop: Header=BB92_74 Depth=2
	s_or_b32 exec_lo, exec_lo, s18
	s_delay_alu instid0(SALU_CYCLE_1)
	s_and_b32 s17, s17, exec_lo
                                        ; implicit-def: $vgpr12
.LBB92_82:                              ;   in Loop: Header=BB92_74 Depth=2
	s_and_not1_saveexec_b32 s16, s16
	s_cbranch_execz .LBB92_73
; %bb.83:                               ;   in Loop: Header=BB92_74 Depth=2
	v_lshl_add_u32 v6, v5, 3, v12
	s_and_not1_b32 s17, s17, exec_lo
	ds_add_f32 v6, v11 offset:2048
	s_branch .LBB92_73
.LBB92_84:                              ;   in Loop: Header=BB92_72 Depth=1
	s_or_b32 exec_lo, exec_lo, s15
	v_mov_b32_e32 v6, v5
	s_waitcnt vmcnt(1)
	v_dual_mul_f32 v10, v14, v10 :: v_dual_mov_b32 v5, v4
	s_mov_b32 s15, 0
	s_branch .LBB92_86
.LBB92_85:                              ;   in Loop: Header=BB92_86 Depth=2
	s_or_b32 exec_lo, exec_lo, s16
	s_xor_b32 s16, s17, -1
	s_delay_alu instid0(SALU_CYCLE_1) | instskip(NEXT) | instid1(SALU_CYCLE_1)
	s_and_b32 s16, exec_lo, s16
	s_or_b32 s15, s16, s15
	s_delay_alu instid0(SALU_CYCLE_1)
	s_and_not1_b32 exec_lo, exec_lo, s15
	s_cbranch_execz .LBB92_96
.LBB92_86:                              ;   Parent Loop BB92_72 Depth=1
                                        ; =>  This Inner Loop Header: Depth=2
	s_delay_alu instid0(VALU_DEP_1)
	v_lshl_add_u32 v11, v5, 3, 0
	s_mov_b32 s16, exec_lo
                                        ; implicit-def: $sgpr17
	ds_load_b64 v[6:7], v11
	s_waitcnt lgkmcnt(0)
	v_cmpx_ne_u64_e64 v[6:7], v[2:3]
	s_xor_b32 s16, exec_lo, s16
	s_cbranch_execz .LBB92_94
; %bb.87:                               ;   in Loop: Header=BB92_86 Depth=2
	s_mov_b32 s18, exec_lo
                                        ; implicit-def: $sgpr17
	v_cmpx_ne_u64_e64 s[28:29], v[6:7]
	s_xor_b32 s18, exec_lo, s18
; %bb.88:                               ;   in Loop: Header=BB92_86 Depth=2
	v_add_nc_u32_e32 v5, 1, v5
	s_mov_b32 s17, -1
                                        ; implicit-def: $vgpr11
	s_delay_alu instid0(VALU_DEP_1)
	v_and_b32_e32 v5, 0xff, v5
; %bb.89:                               ;   in Loop: Header=BB92_86 Depth=2
	s_and_not1_saveexec_b32 s18, s18
	s_cbranch_execz .LBB92_93
; %bb.90:                               ;   in Loop: Header=BB92_86 Depth=2
	v_dual_mov_b32 v6, s28 :: v_dual_mov_b32 v7, s29
	s_mov_b32 s19, -1
	s_mov_b32 s20, exec_lo
	ds_cmpstore_rtn_b64 v[6:7], v11, v[2:3], v[6:7]
	s_waitcnt lgkmcnt(0)
	v_cmpx_eq_u64_e64 s[28:29], v[6:7]
	s_cbranch_execz .LBB92_92
; %bb.91:                               ;   in Loop: Header=BB92_86 Depth=2
	v_lshl_add_u32 v6, v5, 3, v11
	s_xor_b32 s19, exec_lo, -1
	ds_add_f32 v6, v10 offset:2052
.LBB92_92:                              ;   in Loop: Header=BB92_86 Depth=2
	s_or_b32 exec_lo, exec_lo, s20
	s_delay_alu instid0(SALU_CYCLE_1) | instskip(SKIP_1) | instid1(SALU_CYCLE_1)
	s_and_not1_b32 s17, s17, exec_lo
	s_and_b32 s19, s19, exec_lo
	s_or_b32 s17, s17, s19
.LBB92_93:                              ;   in Loop: Header=BB92_86 Depth=2
	s_or_b32 exec_lo, exec_lo, s18
	s_delay_alu instid0(SALU_CYCLE_1)
	s_and_b32 s17, s17, exec_lo
                                        ; implicit-def: $vgpr11
.LBB92_94:                              ;   in Loop: Header=BB92_86 Depth=2
	s_and_not1_saveexec_b32 s16, s16
	s_cbranch_execz .LBB92_85
; %bb.95:                               ;   in Loop: Header=BB92_86 Depth=2
	v_lshl_add_u32 v6, v5, 3, v11
	s_and_not1_b32 s17, s17, exec_lo
	ds_add_f32 v6, v10 offset:2052
	s_branch .LBB92_85
.LBB92_96:                              ;   in Loop: Header=BB92_72 Depth=1
	s_or_b32 exec_lo, exec_lo, s15
	v_dual_mul_f32 v9, v14, v9 :: v_dual_mov_b32 v6, v5
	v_mov_b32_e32 v5, v4
	s_mov_b32 s15, 0
	s_branch .LBB92_98
.LBB92_97:                              ;   in Loop: Header=BB92_98 Depth=2
	s_or_b32 exec_lo, exec_lo, s16
	s_xor_b32 s16, s17, -1
	s_delay_alu instid0(SALU_CYCLE_1) | instskip(NEXT) | instid1(SALU_CYCLE_1)
	s_and_b32 s16, exec_lo, s16
	s_or_b32 s15, s16, s15
	s_delay_alu instid0(SALU_CYCLE_1)
	s_and_not1_b32 exec_lo, exec_lo, s15
	s_cbranch_execz .LBB92_108
.LBB92_98:                              ;   Parent Loop BB92_72 Depth=1
                                        ; =>  This Inner Loop Header: Depth=2
	s_delay_alu instid0(VALU_DEP_1)
	v_lshl_add_u32 v10, v5, 3, 0
	s_mov_b32 s16, exec_lo
                                        ; implicit-def: $sgpr17
	ds_load_b64 v[6:7], v10
	s_waitcnt lgkmcnt(0)
	v_cmpx_ne_u64_e64 v[6:7], v[2:3]
	s_xor_b32 s16, exec_lo, s16
	s_cbranch_execz .LBB92_106
; %bb.99:                               ;   in Loop: Header=BB92_98 Depth=2
	s_mov_b32 s18, exec_lo
                                        ; implicit-def: $sgpr17
	v_cmpx_ne_u64_e64 s[28:29], v[6:7]
	s_xor_b32 s18, exec_lo, s18
; %bb.100:                              ;   in Loop: Header=BB92_98 Depth=2
	v_add_nc_u32_e32 v5, 1, v5
	s_mov_b32 s17, -1
                                        ; implicit-def: $vgpr10
	s_delay_alu instid0(VALU_DEP_1)
	v_and_b32_e32 v5, 0xff, v5
; %bb.101:                              ;   in Loop: Header=BB92_98 Depth=2
	s_and_not1_saveexec_b32 s18, s18
	s_cbranch_execz .LBB92_105
; %bb.102:                              ;   in Loop: Header=BB92_98 Depth=2
	v_dual_mov_b32 v6, s28 :: v_dual_mov_b32 v7, s29
	s_mov_b32 s19, -1
	s_mov_b32 s20, exec_lo
	ds_cmpstore_rtn_b64 v[6:7], v10, v[2:3], v[6:7]
	s_waitcnt lgkmcnt(0)
	v_cmpx_eq_u64_e64 s[28:29], v[6:7]
	s_cbranch_execz .LBB92_104
; %bb.103:                              ;   in Loop: Header=BB92_98 Depth=2
	v_lshl_add_u32 v6, v5, 3, v10
	s_xor_b32 s19, exec_lo, -1
	ds_add_f32 v6, v9 offset:2056
.LBB92_104:                             ;   in Loop: Header=BB92_98 Depth=2
	s_or_b32 exec_lo, exec_lo, s20
	s_delay_alu instid0(SALU_CYCLE_1) | instskip(SKIP_1) | instid1(SALU_CYCLE_1)
	s_and_not1_b32 s17, s17, exec_lo
	s_and_b32 s19, s19, exec_lo
	s_or_b32 s17, s17, s19
.LBB92_105:                             ;   in Loop: Header=BB92_98 Depth=2
	s_or_b32 exec_lo, exec_lo, s18
	s_delay_alu instid0(SALU_CYCLE_1)
	s_and_b32 s17, s17, exec_lo
                                        ; implicit-def: $vgpr10
.LBB92_106:                             ;   in Loop: Header=BB92_98 Depth=2
	s_and_not1_saveexec_b32 s16, s16
	s_cbranch_execz .LBB92_97
; %bb.107:                              ;   in Loop: Header=BB92_98 Depth=2
	v_lshl_add_u32 v6, v5, 3, v10
	s_and_not1_b32 s17, s17, exec_lo
	ds_add_f32 v6, v9 offset:2056
	s_branch .LBB92_97
.LBB92_108:                             ;   in Loop: Header=BB92_72 Depth=1
	s_or_b32 exec_lo, exec_lo, s15
	s_waitcnt vmcnt(0)
	v_mul_f32_e32 v7, v14, v8
	s_mov_b32 s15, 0
	s_branch .LBB92_110
.LBB92_109:                             ;   in Loop: Header=BB92_110 Depth=2
	s_or_b32 exec_lo, exec_lo, s16
	s_xor_b32 s16, s17, -1
	s_delay_alu instid0(SALU_CYCLE_1) | instskip(NEXT) | instid1(SALU_CYCLE_1)
	s_and_b32 s16, exec_lo, s16
	s_or_b32 s15, s16, s15
	s_delay_alu instid0(SALU_CYCLE_1)
	s_and_not1_b32 exec_lo, exec_lo, s15
	s_cbranch_execz .LBB92_71
.LBB92_110:                             ;   Parent Loop BB92_72 Depth=1
                                        ; =>  This Inner Loop Header: Depth=2
	v_lshl_add_u32 v8, v4, 3, 0
	s_mov_b32 s16, exec_lo
                                        ; implicit-def: $sgpr17
	ds_load_b64 v[5:6], v8
	s_waitcnt lgkmcnt(0)
	v_cmpx_ne_u64_e64 v[5:6], v[2:3]
	s_xor_b32 s16, exec_lo, s16
	s_cbranch_execz .LBB92_118
; %bb.111:                              ;   in Loop: Header=BB92_110 Depth=2
	s_mov_b32 s18, exec_lo
                                        ; implicit-def: $sgpr17
	v_cmpx_ne_u64_e64 s[28:29], v[5:6]
	s_xor_b32 s18, exec_lo, s18
; %bb.112:                              ;   in Loop: Header=BB92_110 Depth=2
	v_add_nc_u32_e32 v4, 1, v4
	s_mov_b32 s17, -1
                                        ; implicit-def: $vgpr8
	s_delay_alu instid0(VALU_DEP_1)
	v_and_b32_e32 v4, 0xff, v4
; %bb.113:                              ;   in Loop: Header=BB92_110 Depth=2
	s_and_not1_saveexec_b32 s18, s18
	s_cbranch_execz .LBB92_117
; %bb.114:                              ;   in Loop: Header=BB92_110 Depth=2
	v_dual_mov_b32 v5, s28 :: v_dual_mov_b32 v6, s29
	s_mov_b32 s19, -1
	s_mov_b32 s20, exec_lo
	ds_cmpstore_rtn_b64 v[5:6], v8, v[2:3], v[5:6]
	s_waitcnt lgkmcnt(0)
	v_cmpx_eq_u64_e64 s[28:29], v[5:6]
	s_cbranch_execz .LBB92_116
; %bb.115:                              ;   in Loop: Header=BB92_110 Depth=2
	v_lshl_add_u32 v5, v4, 3, v8
	s_xor_b32 s19, exec_lo, -1
	ds_add_f32 v5, v7 offset:2060
.LBB92_116:                             ;   in Loop: Header=BB92_110 Depth=2
	s_or_b32 exec_lo, exec_lo, s20
	s_delay_alu instid0(SALU_CYCLE_1) | instskip(SKIP_1) | instid1(SALU_CYCLE_1)
	s_and_not1_b32 s17, s17, exec_lo
	s_and_b32 s19, s19, exec_lo
	s_or_b32 s17, s17, s19
.LBB92_117:                             ;   in Loop: Header=BB92_110 Depth=2
	s_or_b32 exec_lo, exec_lo, s18
	s_delay_alu instid0(SALU_CYCLE_1)
	s_and_b32 s17, s17, exec_lo
                                        ; implicit-def: $vgpr8
.LBB92_118:                             ;   in Loop: Header=BB92_110 Depth=2
	s_and_not1_saveexec_b32 s16, s16
	s_cbranch_execz .LBB92_109
; %bb.119:                              ;   in Loop: Header=BB92_110 Depth=2
	v_lshl_add_u32 v5, v4, 3, v8
	s_and_not1_b32 s17, s17, exec_lo
	ds_add_f32 v5, v7 offset:2060
	s_branch .LBB92_109
.LBB92_120:
	s_or_b32 exec_lo, exec_lo, s5
.LBB92_121:
	s_waitcnt lgkmcnt(0)
	s_barrier
	buffer_gl0_inv
	s_and_saveexec_b32 s0, s2
	s_cbranch_execz .LBB92_126
; %bb.122:
	ds_load_b64 v[0:1], v15
	s_mov_b32 s1, 0
	s_waitcnt lgkmcnt(0)
	v_cmp_gt_i64_e32 vcc_lo, s[28:29], v[0:1]
	s_and_b32 exec_lo, exec_lo, vcc_lo
	s_cbranch_execz .LBB92_126
; %bb.123:
	s_lshl_b64 s[4:5], s[34:35], 3
	s_delay_alu instid0(SALU_CYCLE_1)
	s_add_u32 s4, s10, s4
	s_addc_u32 s5, s11, s5
	s_load_b64 s[4:5], s[4:5], 0x0
	s_waitcnt lgkmcnt(0)
	s_sub_u32 s4, s4, s22
	s_subb_u32 s5, s5, 0
	s_delay_alu instid0(SALU_CYCLE_1)
	v_dual_mov_b32 v2, s4 :: v_dual_mov_b32 v3, s5
.LBB92_124:                             ; =>This Inner Loop Header: Depth=1
	s_add_i32 s0, s1, 0
	s_addk_i32 s1, 0x80
	v_mov_b32_e32 v12, s0
	s_cmpk_lg_i32 s1, 0x800
	ds_load_2addr_b64 v[4:7], v12 offset1:1
	ds_load_2addr_b64 v[8:11], v12 offset0:2 offset1:3
	ds_load_2addr_b64 v[14:17], v12 offset0:4 offset1:5
	;; [unrolled: 1-line block ×7, first 2 shown]
	s_waitcnt lgkmcnt(7)
	v_cmp_gt_i64_e32 vcc_lo, v[0:1], v[4:5]
	v_cndmask_b32_e64 v4, 0, 1, vcc_lo
	v_cmp_gt_i64_e32 vcc_lo, v[0:1], v[6:7]
	v_cndmask_b32_e64 v5, 0, 1, vcc_lo
	s_waitcnt lgkmcnt(6)
	v_cmp_gt_i64_e32 vcc_lo, v[0:1], v[8:9]
	v_cndmask_b32_e64 v6, 0, 1, vcc_lo
	v_cmp_gt_i64_e32 vcc_lo, v[0:1], v[10:11]
	v_cndmask_b32_e64 v7, 0, 1, vcc_lo
	s_waitcnt lgkmcnt(5)
	v_cmp_gt_i64_e32 vcc_lo, v[0:1], v[14:15]
	v_cndmask_b32_e64 v8, 0, 1, vcc_lo
	v_cmp_gt_i64_e32 vcc_lo, v[0:1], v[16:17]
	v_cndmask_b32_e64 v9, 0, 1, vcc_lo
	s_waitcnt lgkmcnt(4)
	v_cmp_gt_i64_e32 vcc_lo, v[0:1], v[18:19]
	v_cndmask_b32_e64 v10, 0, 1, vcc_lo
	v_cmp_gt_i64_e32 vcc_lo, v[0:1], v[20:21]
	v_cndmask_b32_e64 v11, 0, 1, vcc_lo
	s_waitcnt lgkmcnt(3)
	v_cmp_gt_i64_e32 vcc_lo, v[0:1], v[22:23]
	v_cndmask_b32_e64 v12, 0, 1, vcc_lo
	v_add_co_u32 v2, vcc_lo, v2, v4
	v_add_co_ci_u32_e32 v3, vcc_lo, 0, v3, vcc_lo
	v_cmp_gt_i64_e32 vcc_lo, v[0:1], v[24:25]
	s_delay_alu instid0(VALU_DEP_3) | instskip(NEXT) | instid1(VALU_DEP_1)
	v_add_co_u32 v2, s0, v2, v5
	v_add_co_ci_u32_e64 v3, s0, 0, v3, s0
	v_cndmask_b32_e64 v4, 0, 1, vcc_lo
	s_delay_alu instid0(VALU_DEP_3) | instskip(NEXT) | instid1(VALU_DEP_3)
	v_add_co_u32 v2, vcc_lo, v2, v6
	v_add_co_ci_u32_e32 v3, vcc_lo, 0, v3, vcc_lo
	s_waitcnt lgkmcnt(2)
	v_cmp_gt_i64_e32 vcc_lo, v[0:1], v[26:27]
	s_delay_alu instid0(VALU_DEP_3) | instskip(NEXT) | instid1(VALU_DEP_1)
	v_add_co_u32 v2, s0, v2, v7
	v_add_co_ci_u32_e64 v3, s0, 0, v3, s0
	v_cndmask_b32_e64 v5, 0, 1, vcc_lo
	s_delay_alu instid0(VALU_DEP_3) | instskip(NEXT) | instid1(VALU_DEP_3)
	v_add_co_u32 v2, vcc_lo, v2, v8
	v_add_co_ci_u32_e32 v3, vcc_lo, 0, v3, vcc_lo
	v_cmp_gt_i64_e32 vcc_lo, v[0:1], v[28:29]
	s_delay_alu instid0(VALU_DEP_3) | instskip(NEXT) | instid1(VALU_DEP_1)
	v_add_co_u32 v2, s0, v2, v9
	v_add_co_ci_u32_e64 v3, s0, 0, v3, s0
	v_cndmask_b32_e64 v6, 0, 1, vcc_lo
	s_delay_alu instid0(VALU_DEP_3) | instskip(NEXT) | instid1(VALU_DEP_3)
	v_add_co_u32 v2, vcc_lo, v2, v10
	v_add_co_ci_u32_e32 v3, vcc_lo, 0, v3, vcc_lo
	s_waitcnt lgkmcnt(1)
	v_cmp_gt_i64_e32 vcc_lo, v[0:1], v[30:31]
	s_delay_alu instid0(VALU_DEP_3) | instskip(NEXT) | instid1(VALU_DEP_1)
	v_add_co_u32 v2, s0, v2, v11
	v_add_co_ci_u32_e64 v3, s0, 0, v3, s0
	v_cndmask_b32_e64 v7, 0, 1, vcc_lo
	s_delay_alu instid0(VALU_DEP_3) | instskip(NEXT) | instid1(VALU_DEP_3)
	;; [unrolled: 17-line block ×3, first 2 shown]
	v_add_co_u32 v2, vcc_lo, v2, v7
	v_add_co_ci_u32_e32 v3, vcc_lo, 0, v3, vcc_lo
	v_cmp_gt_i64_e32 vcc_lo, v[0:1], v[36:37]
	s_delay_alu instid0(VALU_DEP_3) | instskip(NEXT) | instid1(VALU_DEP_1)
	v_add_co_u32 v2, s0, v2, v4
	v_add_co_ci_u32_e64 v3, s0, 0, v3, s0
	v_cndmask_b32_e64 v4, 0, 1, vcc_lo
	s_delay_alu instid0(VALU_DEP_3) | instskip(NEXT) | instid1(VALU_DEP_3)
	v_add_co_u32 v2, vcc_lo, v2, v5
	v_add_co_ci_u32_e32 v3, vcc_lo, 0, v3, vcc_lo
	s_delay_alu instid0(VALU_DEP_2) | instskip(NEXT) | instid1(VALU_DEP_2)
	v_add_co_u32 v2, vcc_lo, v2, v4
	v_add_co_ci_u32_e32 v3, vcc_lo, 0, v3, vcc_lo
	s_cbranch_scc1 .LBB92_124
; %bb.125:
	s_cmp_eq_u32 s3, 0
	v_lshlrev_b32_e32 v4, 2, v13
	s_cselect_b32 s0, 2, 1
	s_cselect_b32 s1, 1, 2
	v_or_b32_e32 v5, s0, v13
	v_or_b32_e32 v6, s1, v13
	v_add_nc_u32_e32 v7, 0, v4
	v_add3_u32 v9, 0, 0x800, v4
	v_add_co_u32 v0, vcc_lo, v0, s22
	v_lshl_add_u32 v5, v5, 2, 0
	v_lshl_add_u32 v8, v6, 2, 0
	v_add_co_ci_u32_e32 v1, vcc_lo, 0, v1, vcc_lo
	ds_load_b32 v4, v7 offset:2048
	ds_load_b32 v6, v5 offset:2048
	;; [unrolled: 1-line block ×4, first 2 shown]
	v_lshlrev_b64 v[8:9], 3, v[2:3]
	v_lshlrev_b64 v[2:3], 4, v[2:3]
	s_delay_alu instid0(VALU_DEP_2) | instskip(NEXT) | instid1(VALU_DEP_3)
	v_add_co_u32 v8, vcc_lo, s24, v8
	v_add_co_ci_u32_e32 v9, vcc_lo, s25, v9, vcc_lo
	s_delay_alu instid0(VALU_DEP_3) | instskip(NEXT) | instid1(VALU_DEP_4)
	v_add_co_u32 v2, vcc_lo, s26, v2
	v_add_co_ci_u32_e32 v3, vcc_lo, s27, v3, vcc_lo
	global_store_b64 v[8:9], v[0:1], off
	s_waitcnt lgkmcnt(0)
	global_store_b128 v[2:3], v[4:7], off
.LBB92_126:
	s_nop 0
	s_sendmsg sendmsg(MSG_DEALLOC_VGPRS)
	s_endpgm
	.section	.rodata,"a",@progbits
	.p2align	6, 0x0
	.amdhsa_kernel _ZN9rocsparseL30bsrgemm_fill_block_per_row_2x2ILj256ELj16ELj256ELj137EllfEEv20rocsparse_direction_T4_S2_PKS2_S4_NS_24const_host_device_scalarIT5_EEPKT3_S4_PKS6_SA_S4_SC_S7_SA_S4_SC_SA_PS2_PS6_21rocsparse_index_base_SF_SF_SF_bbb
		.amdhsa_group_segment_fixed_size 0
		.amdhsa_private_segment_fixed_size 0
		.amdhsa_kernarg_size 172
		.amdhsa_user_sgpr_count 15
		.amdhsa_user_sgpr_dispatch_ptr 0
		.amdhsa_user_sgpr_queue_ptr 0
		.amdhsa_user_sgpr_kernarg_segment_ptr 1
		.amdhsa_user_sgpr_dispatch_id 0
		.amdhsa_user_sgpr_private_segment_size 0
		.amdhsa_wavefront_size32 1
		.amdhsa_uses_dynamic_stack 0
		.amdhsa_enable_private_segment 0
		.amdhsa_system_sgpr_workgroup_id_x 1
		.amdhsa_system_sgpr_workgroup_id_y 0
		.amdhsa_system_sgpr_workgroup_id_z 0
		.amdhsa_system_sgpr_workgroup_info 0
		.amdhsa_system_vgpr_workitem_id 0
		.amdhsa_next_free_vgpr 38
		.amdhsa_next_free_sgpr 48
		.amdhsa_reserve_vcc 1
		.amdhsa_float_round_mode_32 0
		.amdhsa_float_round_mode_16_64 0
		.amdhsa_float_denorm_mode_32 3
		.amdhsa_float_denorm_mode_16_64 3
		.amdhsa_dx10_clamp 1
		.amdhsa_ieee_mode 1
		.amdhsa_fp16_overflow 0
		.amdhsa_workgroup_processor_mode 1
		.amdhsa_memory_ordered 1
		.amdhsa_forward_progress 0
		.amdhsa_shared_vgpr_count 0
		.amdhsa_exception_fp_ieee_invalid_op 0
		.amdhsa_exception_fp_denorm_src 0
		.amdhsa_exception_fp_ieee_div_zero 0
		.amdhsa_exception_fp_ieee_overflow 0
		.amdhsa_exception_fp_ieee_underflow 0
		.amdhsa_exception_fp_ieee_inexact 0
		.amdhsa_exception_int_div_zero 0
	.end_amdhsa_kernel
	.section	.text._ZN9rocsparseL30bsrgemm_fill_block_per_row_2x2ILj256ELj16ELj256ELj137EllfEEv20rocsparse_direction_T4_S2_PKS2_S4_NS_24const_host_device_scalarIT5_EEPKT3_S4_PKS6_SA_S4_SC_S7_SA_S4_SC_SA_PS2_PS6_21rocsparse_index_base_SF_SF_SF_bbb,"axG",@progbits,_ZN9rocsparseL30bsrgemm_fill_block_per_row_2x2ILj256ELj16ELj256ELj137EllfEEv20rocsparse_direction_T4_S2_PKS2_S4_NS_24const_host_device_scalarIT5_EEPKT3_S4_PKS6_SA_S4_SC_S7_SA_S4_SC_SA_PS2_PS6_21rocsparse_index_base_SF_SF_SF_bbb,comdat
.Lfunc_end92:
	.size	_ZN9rocsparseL30bsrgemm_fill_block_per_row_2x2ILj256ELj16ELj256ELj137EllfEEv20rocsparse_direction_T4_S2_PKS2_S4_NS_24const_host_device_scalarIT5_EEPKT3_S4_PKS6_SA_S4_SC_S7_SA_S4_SC_SA_PS2_PS6_21rocsparse_index_base_SF_SF_SF_bbb, .Lfunc_end92-_ZN9rocsparseL30bsrgemm_fill_block_per_row_2x2ILj256ELj16ELj256ELj137EllfEEv20rocsparse_direction_T4_S2_PKS2_S4_NS_24const_host_device_scalarIT5_EEPKT3_S4_PKS6_SA_S4_SC_S7_SA_S4_SC_SA_PS2_PS6_21rocsparse_index_base_SF_SF_SF_bbb
                                        ; -- End function
	.section	.AMDGPU.csdata,"",@progbits
; Kernel info:
; codeLenInByte = 4604
; NumSgprs: 50
; NumVgprs: 38
; ScratchSize: 0
; MemoryBound: 0
; FloatMode: 240
; IeeeMode: 1
; LDSByteSize: 0 bytes/workgroup (compile time only)
; SGPRBlocks: 6
; VGPRBlocks: 4
; NumSGPRsForWavesPerEU: 50
; NumVGPRsForWavesPerEU: 38
; Occupancy: 16
; WaveLimiterHint : 1
; COMPUTE_PGM_RSRC2:SCRATCH_EN: 0
; COMPUTE_PGM_RSRC2:USER_SGPR: 15
; COMPUTE_PGM_RSRC2:TRAP_HANDLER: 0
; COMPUTE_PGM_RSRC2:TGID_X_EN: 1
; COMPUTE_PGM_RSRC2:TGID_Y_EN: 0
; COMPUTE_PGM_RSRC2:TGID_Z_EN: 0
; COMPUTE_PGM_RSRC2:TIDIG_COMP_CNT: 0
	.section	.text._ZN9rocsparseL30bsrgemm_fill_block_per_row_2x2ILj256ELj16ELj512ELj137EllfEEv20rocsparse_direction_T4_S2_PKS2_S4_NS_24const_host_device_scalarIT5_EEPKT3_S4_PKS6_SA_S4_SC_S7_SA_S4_SC_SA_PS2_PS6_21rocsparse_index_base_SF_SF_SF_bbb,"axG",@progbits,_ZN9rocsparseL30bsrgemm_fill_block_per_row_2x2ILj256ELj16ELj512ELj137EllfEEv20rocsparse_direction_T4_S2_PKS2_S4_NS_24const_host_device_scalarIT5_EEPKT3_S4_PKS6_SA_S4_SC_S7_SA_S4_SC_SA_PS2_PS6_21rocsparse_index_base_SF_SF_SF_bbb,comdat
	.globl	_ZN9rocsparseL30bsrgemm_fill_block_per_row_2x2ILj256ELj16ELj512ELj137EllfEEv20rocsparse_direction_T4_S2_PKS2_S4_NS_24const_host_device_scalarIT5_EEPKT3_S4_PKS6_SA_S4_SC_S7_SA_S4_SC_SA_PS2_PS6_21rocsparse_index_base_SF_SF_SF_bbb ; -- Begin function _ZN9rocsparseL30bsrgemm_fill_block_per_row_2x2ILj256ELj16ELj512ELj137EllfEEv20rocsparse_direction_T4_S2_PKS2_S4_NS_24const_host_device_scalarIT5_EEPKT3_S4_PKS6_SA_S4_SC_S7_SA_S4_SC_SA_PS2_PS6_21rocsparse_index_base_SF_SF_SF_bbb
	.p2align	8
	.type	_ZN9rocsparseL30bsrgemm_fill_block_per_row_2x2ILj256ELj16ELj512ELj137EllfEEv20rocsparse_direction_T4_S2_PKS2_S4_NS_24const_host_device_scalarIT5_EEPKT3_S4_PKS6_SA_S4_SC_S7_SA_S4_SC_SA_PS2_PS6_21rocsparse_index_base_SF_SF_SF_bbb,@function
_ZN9rocsparseL30bsrgemm_fill_block_per_row_2x2ILj256ELj16ELj512ELj137EllfEEv20rocsparse_direction_T4_S2_PKS2_S4_NS_24const_host_device_scalarIT5_EEPKT3_S4_PKS6_SA_S4_SC_S7_SA_S4_SC_SA_PS2_PS6_21rocsparse_index_base_SF_SF_SF_bbb: ; @_ZN9rocsparseL30bsrgemm_fill_block_per_row_2x2ILj256ELj16ELj512ELj137EllfEEv20rocsparse_direction_T4_S2_PKS2_S4_NS_24const_host_device_scalarIT5_EEPKT3_S4_PKS6_SA_S4_SC_S7_SA_S4_SC_SA_PS2_PS6_21rocsparse_index_base_SF_SF_SF_bbb
; %bb.0:
	s_clause 0x2
	s_load_b32 s6, s[0:1], 0xa8
	s_load_b64 s[4:5], s[0:1], 0x28
	s_load_b64 s[2:3], s[0:1], 0x60
	s_mov_b32 s40, s15
	s_waitcnt lgkmcnt(0)
	s_bitcmp1_b32 s6, 0
	s_cselect_b32 s43, -1, 0
	s_bitcmp1_b32 s6, 16
	s_cselect_b32 s7, -1, 0
	s_xor_b32 s8, s43, -1
	s_delay_alu instid0(SALU_CYCLE_1) | instskip(NEXT) | instid1(SALU_CYCLE_1)
	s_or_b32 s8, s8, s7
	s_and_b32 vcc_lo, exec_lo, s8
	s_cbranch_vccnz .LBB93_2
; %bb.1:
	s_load_b32 s4, s[4:5], 0x0
	s_waitcnt lgkmcnt(0)
	v_mov_b32_e32 v14, s4
	s_branch .LBB93_3
.LBB93_2:
	v_cndmask_b32_e64 v14, 0, s4, s43
.LBB93_3:
	s_bitcmp1_b32 s6, 8
	s_cselect_b32 s42, -1, 0
	s_delay_alu instid0(SALU_CYCLE_1) | instskip(NEXT) | instid1(SALU_CYCLE_1)
	s_xor_b32 s4, s42, -1
	s_or_b32 s4, s4, s7
	s_delay_alu instid0(SALU_CYCLE_1)
	s_and_b32 vcc_lo, exec_lo, s4
	s_cbranch_vccnz .LBB93_5
; %bb.4:
	s_load_b32 s2, s[2:3], 0x0
	s_waitcnt lgkmcnt(0)
	v_mov_b32_e32 v13, s2
	s_branch .LBB93_6
.LBB93_5:
	v_cndmask_b32_e64 v13, 0, s2, s42
.LBB93_6:
	s_clause 0x1
	s_load_b128 s[20:23], s[0:1], 0x98
	s_load_b64 s[34:35], s[0:1], 0x10
	v_cmp_gt_u32_e64 s2, 0x200, v0
	v_or_b32_e32 v3, 0xffffff00, v0
	s_mov_b32 s3, exec_lo
	v_cmpx_lt_u32_e32 0x1ff, v0
	s_xor_b32 s3, exec_lo, s3
; %bb.7:
	v_or_b32_e32 v3, 0xffffff00, v0
; %bb.8:
	s_or_saveexec_b32 s3, s3
	s_clause 0x4
	s_load_b128 s[24:27], s[0:1], 0x88
	s_load_b256 s[4:11], s[0:1], 0x68
	s_load_b128 s[28:31], s[0:1], 0x50
	s_load_b128 s[36:39], s[0:1], 0x18
	s_load_b256 s[12:19], s[0:1], 0x30
	s_xor_b32 exec_lo, exec_lo, s3
	s_cbranch_execz .LBB93_12
; %bb.9:
	v_lshl_add_u32 v4, v0, 3, 0
	s_waitcnt lgkmcnt(0)
	v_dual_mov_b32 v1, s34 :: v_dual_mov_b32 v2, s35
	v_mov_b32_e32 v5, v3
	s_mov_b32 s33, 0
.LBB93_10:                              ; =>This Inner Loop Header: Depth=1
	s_delay_alu instid0(VALU_DEP_1) | instskip(NEXT) | instid1(VALU_DEP_1)
	v_add_co_u32 v5, s41, 0x100, v5
	s_xor_b32 s41, s41, -1
	ds_store_b64 v4, v[1:2]
	v_add_nc_u32_e32 v4, 0x800, v4
	s_and_b32 s41, exec_lo, s41
	s_delay_alu instid0(SALU_CYCLE_1) | instskip(NEXT) | instid1(SALU_CYCLE_1)
	s_or_b32 s33, s41, s33
	s_and_not1_b32 exec_lo, exec_lo, s33
	s_cbranch_execnz .LBB93_10
; %bb.11:
	s_or_b32 exec_lo, exec_lo, s33
.LBB93_12:
	s_delay_alu instid0(SALU_CYCLE_1) | instskip(SKIP_2) | instid1(VALU_DEP_1)
	s_or_b32 exec_lo, exec_lo, s3
	v_dual_mov_b32 v2, 0 :: v_dual_lshlrev_b32 v1, 2, v0
	s_mov_b32 s3, 0
	v_add3_u32 v1, v1, 0, 0x1000
.LBB93_13:                              ; =>This Inner Loop Header: Depth=1
	v_add_nc_u32_e32 v3, 0x100, v3
	ds_store_b32 v1, v2
	v_add_nc_u32_e32 v1, 0x400, v1
	v_cmp_lt_u32_e32 vcc_lo, 0x6ff, v3
	s_or_b32 s3, vcc_lo, s3
	s_delay_alu instid0(SALU_CYCLE_1)
	s_and_not1_b32 exec_lo, exec_lo, s3
	s_cbranch_execnz .LBB93_13
; %bb.14:
	s_or_b32 exec_lo, exec_lo, s3
	s_waitcnt lgkmcnt(0)
	s_cmp_lg_u64 s[38:39], 0
	s_mov_b32 s41, 0
	s_barrier
	buffer_gl0_inv
	s_cbranch_scc0 .LBB93_16
; %bb.15:
	s_load_b64 s[36:37], s[36:37], 0x0
	s_waitcnt lgkmcnt(0)
	s_lshl_b64 s[36:37], s[36:37], 3
	s_delay_alu instid0(SALU_CYCLE_1) | instskip(SKIP_2) | instid1(SALU_CYCLE_1)
	s_add_u32 s3, s38, s36
	s_addc_u32 s33, s39, s37
	s_lshl_b64 s[36:37], s[40:41], 3
	s_add_u32 s36, s3, s36
	s_addc_u32 s37, s33, s37
	s_load_b64 s[40:41], s[36:37], 0x0
.LBB93_16:
	s_load_b32 s33, s[0:1], 0x0
	s_and_not1_b32 vcc_lo, exec_lo, s43
	s_cbranch_vccnz .LBB93_72
; %bb.17:
	s_waitcnt lgkmcnt(0)
	s_lshl_b64 s[0:1], s[40:41], 3
	v_lshrrev_b32_e32 v1, 4, v0
	s_add_u32 s0, s12, s0
	s_addc_u32 s1, s13, s1
	s_mov_b32 s12, 0
	s_load_b128 s[36:39], s[0:1], 0x0
	v_sub_co_u32 v1, s0, v1, s20
	s_delay_alu instid0(VALU_DEP_1) | instskip(SKIP_2) | instid1(VALU_DEP_2)
	v_sub_co_ci_u32_e64 v2, null, 0, 0, s0
	s_mov_b32 s3, exec_lo
	s_waitcnt lgkmcnt(0)
	v_add_co_u32 v1, vcc_lo, s36, v1
	s_delay_alu instid0(VALU_DEP_2)
	v_add_co_ci_u32_e32 v2, vcc_lo, s37, v2, vcc_lo
	s_sub_u32 s0, s38, s20
	s_subb_u32 s1, s39, 0
	s_delay_alu instid0(VALU_DEP_1) | instid1(SALU_CYCLE_1)
	v_cmpx_gt_i64_e64 s[0:1], v[1:2]
	s_cbranch_execz .LBB93_71
; %bb.18:
	v_and_b32_e32 v3, 15, v0
	s_cmp_eq_u32 s33, 0
	s_cselect_b32 s36, 2, 1
	s_delay_alu instid0(VALU_DEP_1) | instskip(NEXT) | instid1(VALU_DEP_1)
	v_sub_co_u32 v15, s13, v3, s21
	v_sub_co_ci_u32_e64 v16, null, 0, 0, s13
	s_mov_b32 s13, s21
	s_cselect_b32 s21, 1, 2
	s_branch .LBB93_20
.LBB93_19:                              ;   in Loop: Header=BB93_20 Depth=1
	s_or_b32 exec_lo, exec_lo, s37
	v_add_co_u32 v1, vcc_lo, v1, 16
	v_add_co_ci_u32_e32 v2, vcc_lo, 0, v2, vcc_lo
	s_delay_alu instid0(VALU_DEP_1) | instskip(SKIP_1) | instid1(SALU_CYCLE_1)
	v_cmp_le_i64_e32 vcc_lo, s[0:1], v[1:2]
	s_or_b32 s12, vcc_lo, s12
	s_and_not1_b32 exec_lo, exec_lo, s12
	s_cbranch_execz .LBB93_71
.LBB93_20:                              ; =>This Loop Header: Depth=1
                                        ;     Child Loop BB93_23 Depth 2
                                        ;       Child Loop BB93_25 Depth 3
                                        ;       Child Loop BB93_37 Depth 3
	;; [unrolled: 1-line block ×4, first 2 shown]
	v_lshlrev_b64 v[3:4], 3, v[1:2]
	s_mov_b32 s37, exec_lo
	s_delay_alu instid0(VALU_DEP_1) | instskip(NEXT) | instid1(VALU_DEP_2)
	v_add_co_u32 v3, vcc_lo, s14, v3
	v_add_co_ci_u32_e32 v4, vcc_lo, s15, v4, vcc_lo
	global_load_b64 v[3:4], v[3:4], off
	s_waitcnt vmcnt(0)
	v_sub_co_u32 v3, vcc_lo, v3, s20
	v_subrev_co_ci_u32_e32 v4, vcc_lo, 0, v4, vcc_lo
	s_delay_alu instid0(VALU_DEP_1) | instskip(NEXT) | instid1(VALU_DEP_1)
	v_lshlrev_b64 v[3:4], 3, v[3:4]
	v_add_co_u32 v3, vcc_lo, s18, v3
	s_delay_alu instid0(VALU_DEP_2)
	v_add_co_ci_u32_e32 v4, vcc_lo, s19, v4, vcc_lo
	global_load_b128 v[5:8], v[3:4], off
	s_waitcnt vmcnt(0)
	v_sub_co_u32 v3, vcc_lo, v7, s13
	v_subrev_co_ci_u32_e32 v4, vcc_lo, 0, v8, vcc_lo
	v_add_co_u32 v5, vcc_lo, v5, v15
	v_add_co_ci_u32_e32 v6, vcc_lo, v6, v16, vcc_lo
	s_delay_alu instid0(VALU_DEP_1)
	v_cmpx_lt_i64_e64 v[5:6], v[3:4]
	s_cbranch_execz .LBB93_19
; %bb.21:                               ;   in Loop: Header=BB93_20 Depth=1
	v_lshlrev_b64 v[7:8], 2, v[1:2]
	v_lshlrev_b64 v[11:12], 4, v[1:2]
	s_mov_b32 s38, 0
	s_delay_alu instid0(VALU_DEP_2) | instskip(NEXT) | instid1(VALU_DEP_3)
	v_or_b32_e32 v10, 0, v8
	v_or_b32_e32 v9, s36, v7
	;; [unrolled: 1-line block ×4, first 2 shown]
	v_add_co_u32 v11, vcc_lo, s16, v11
	s_delay_alu instid0(VALU_DEP_4) | instskip(SKIP_1) | instid1(VALU_DEP_4)
	v_lshlrev_b64 v[9:10], 2, v[9:10]
	v_add_co_ci_u32_e32 v12, vcc_lo, s17, v12, vcc_lo
	v_lshlrev_b64 v[7:8], 2, v[7:8]
	s_delay_alu instid0(VALU_DEP_3) | instskip(NEXT) | instid1(VALU_DEP_4)
	v_add_co_u32 v9, vcc_lo, s16, v9
	v_add_co_ci_u32_e32 v10, vcc_lo, s17, v10, vcc_lo
	s_delay_alu instid0(VALU_DEP_3) | instskip(NEXT) | instid1(VALU_DEP_4)
	v_add_co_u32 v7, vcc_lo, s16, v7
	v_add_co_ci_u32_e32 v8, vcc_lo, s17, v8, vcc_lo
	s_clause 0x3
	global_load_b32 v17, v[11:12], off offset:12
	global_load_b32 v9, v[9:10], off
	global_load_b32 v7, v[7:8], off
	global_load_b32 v8, v[11:12], off
	s_waitcnt vmcnt(3)
	v_mul_f32_e32 v17, v14, v17
	s_waitcnt vmcnt(2)
	v_mul_f32_e32 v18, v14, v9
	s_waitcnt vmcnt(1)
	v_mul_f32_e32 v19, v14, v7
	s_waitcnt vmcnt(0)
	v_mul_f32_e32 v20, v14, v8
	s_branch .LBB93_23
.LBB93_22:                              ;   in Loop: Header=BB93_23 Depth=2
	s_or_b32 exec_lo, exec_lo, s39
	v_add_co_u32 v5, vcc_lo, v5, 16
	v_add_co_ci_u32_e32 v6, vcc_lo, 0, v6, vcc_lo
	s_delay_alu instid0(VALU_DEP_1) | instskip(SKIP_1) | instid1(SALU_CYCLE_1)
	v_cmp_ge_i64_e32 vcc_lo, v[5:6], v[3:4]
	s_or_b32 s38, vcc_lo, s38
	s_and_not1_b32 exec_lo, exec_lo, s38
	s_cbranch_execz .LBB93_19
.LBB93_23:                              ;   Parent Loop BB93_20 Depth=1
                                        ; =>  This Loop Header: Depth=2
                                        ;       Child Loop BB93_25 Depth 3
                                        ;       Child Loop BB93_37 Depth 3
	;; [unrolled: 1-line block ×4, first 2 shown]
	v_lshlrev_b64 v[9:10], 3, v[5:6]
	v_lshlrev_b64 v[7:8], 2, v[5:6]
	;; [unrolled: 1-line block ×3, first 2 shown]
	s_mov_b32 s39, 0
	s_delay_alu instid0(VALU_DEP_3) | instskip(NEXT) | instid1(VALU_DEP_3)
	v_add_co_u32 v9, vcc_lo, s28, v9
	v_or_b32_e32 v12, 0, v8
	s_delay_alu instid0(VALU_DEP_4) | instskip(SKIP_3) | instid1(VALU_DEP_4)
	v_or_b32_e32 v11, s36, v7
	v_add_co_ci_u32_e32 v10, vcc_lo, s29, v10, vcc_lo
	v_or_b32_e32 v8, 0, v8
	v_or_b32_e32 v7, s21, v7
	v_lshlrev_b64 v[11:12], 2, v[11:12]
	global_load_b64 v[9:10], v[9:10], off
	v_lshlrev_b64 v[7:8], 2, v[7:8]
	v_add_co_u32 v11, vcc_lo, s30, v11
	v_add_co_ci_u32_e32 v12, vcc_lo, s31, v12, vcc_lo
	v_add_co_u32 v25, vcc_lo, s30, v21
	v_add_co_ci_u32_e32 v26, vcc_lo, s31, v22, vcc_lo
	s_clause 0x1
	global_load_b32 v24, v[11:12], off
	global_load_b32 v23, v[25:26], off
	v_add_co_u32 v7, vcc_lo, s30, v7
	v_add_co_ci_u32_e32 v8, vcc_lo, s31, v8, vcc_lo
	s_clause 0x1
	global_load_b32 v21, v[7:8], off
	global_load_b32 v22, v[25:26], off offset:12
	s_waitcnt vmcnt(4)
	v_sub_co_u32 v7, vcc_lo, v9, s13
	v_subrev_co_ci_u32_e32 v8, vcc_lo, 0, v10, vcc_lo
	s_delay_alu instid0(VALU_DEP_2) | instskip(NEXT) | instid1(VALU_DEP_1)
	v_mul_lo_u32 v9, 0x89, v7
	v_and_b32_e32 v9, 0x1ff, v9
	v_mov_b32_e32 v11, v10
	s_waitcnt vmcnt(3)
	s_delay_alu instid0(VALU_DEP_2) | instskip(SKIP_1) | instid1(VALU_DEP_1)
	v_dual_mul_f32 v25, v19, v24 :: v_dual_mov_b32 v10, v9
	s_waitcnt vmcnt(2)
	v_fmac_f32_e32 v25, v20, v23
	s_branch .LBB93_25
.LBB93_24:                              ;   in Loop: Header=BB93_25 Depth=3
	s_or_b32 exec_lo, exec_lo, s43
	s_xor_b32 s43, s44, -1
	s_delay_alu instid0(SALU_CYCLE_1) | instskip(NEXT) | instid1(SALU_CYCLE_1)
	s_and_b32 s43, exec_lo, s43
	s_or_b32 s39, s43, s39
	s_delay_alu instid0(SALU_CYCLE_1)
	s_and_not1_b32 exec_lo, exec_lo, s39
	s_cbranch_execz .LBB93_35
.LBB93_25:                              ;   Parent Loop BB93_20 Depth=1
                                        ;     Parent Loop BB93_23 Depth=2
                                        ; =>    This Inner Loop Header: Depth=3
	s_delay_alu instid0(VALU_DEP_2)
	v_lshl_add_u32 v26, v10, 3, 0
	s_mov_b32 s43, exec_lo
                                        ; implicit-def: $sgpr44
	ds_load_b64 v[11:12], v26
	s_waitcnt lgkmcnt(0)
	v_cmpx_ne_u64_e64 v[11:12], v[7:8]
	s_xor_b32 s43, exec_lo, s43
	s_cbranch_execz .LBB93_33
; %bb.26:                               ;   in Loop: Header=BB93_25 Depth=3
	s_mov_b32 s45, exec_lo
                                        ; implicit-def: $sgpr44
	v_cmpx_ne_u64_e64 s[34:35], v[11:12]
	s_xor_b32 s45, exec_lo, s45
; %bb.27:                               ;   in Loop: Header=BB93_25 Depth=3
	v_add_nc_u32_e32 v10, 1, v10
	s_mov_b32 s44, -1
                                        ; implicit-def: $vgpr26
	s_delay_alu instid0(VALU_DEP_1)
	v_and_b32_e32 v10, 0x1ff, v10
; %bb.28:                               ;   in Loop: Header=BB93_25 Depth=3
	s_and_not1_saveexec_b32 s45, s45
	s_cbranch_execz .LBB93_32
; %bb.29:                               ;   in Loop: Header=BB93_25 Depth=3
	v_dual_mov_b32 v11, s34 :: v_dual_mov_b32 v12, s35
	s_mov_b32 s46, -1
	s_mov_b32 s47, exec_lo
	ds_cmpstore_rtn_b64 v[11:12], v26, v[7:8], v[11:12]
	s_waitcnt lgkmcnt(0)
	v_cmpx_eq_u64_e64 s[34:35], v[11:12]
	s_cbranch_execz .LBB93_31
; %bb.30:                               ;   in Loop: Header=BB93_25 Depth=3
	v_lshl_add_u32 v11, v10, 3, v26
	s_xor_b32 s46, exec_lo, -1
	ds_add_f32 v11, v25 offset:4096
.LBB93_31:                              ;   in Loop: Header=BB93_25 Depth=3
	s_or_b32 exec_lo, exec_lo, s47
	s_delay_alu instid0(SALU_CYCLE_1) | instskip(SKIP_1) | instid1(SALU_CYCLE_1)
	s_and_not1_b32 s44, s44, exec_lo
	s_and_b32 s46, s46, exec_lo
	s_or_b32 s44, s44, s46
.LBB93_32:                              ;   in Loop: Header=BB93_25 Depth=3
	s_or_b32 exec_lo, exec_lo, s45
	s_delay_alu instid0(SALU_CYCLE_1)
	s_and_b32 s44, s44, exec_lo
                                        ; implicit-def: $vgpr26
.LBB93_33:                              ;   in Loop: Header=BB93_25 Depth=3
	s_and_not1_saveexec_b32 s43, s43
	s_cbranch_execz .LBB93_24
; %bb.34:                               ;   in Loop: Header=BB93_25 Depth=3
	v_lshl_add_u32 v11, v10, 3, v26
	s_and_not1_b32 s44, s44, exec_lo
	ds_add_f32 v11, v25 offset:4096
	s_branch .LBB93_24
.LBB93_35:                              ;   in Loop: Header=BB93_23 Depth=2
	s_or_b32 exec_lo, exec_lo, s39
	v_mov_b32_e32 v11, v10
	s_waitcnt vmcnt(0)
	v_dual_mul_f32 v25, v19, v22 :: v_dual_mov_b32 v10, v9
	s_mov_b32 s39, 0
	s_delay_alu instid0(VALU_DEP_1)
	v_fmac_f32_e32 v25, v20, v21
	s_branch .LBB93_37
.LBB93_36:                              ;   in Loop: Header=BB93_37 Depth=3
	s_or_b32 exec_lo, exec_lo, s43
	s_xor_b32 s43, s44, -1
	s_delay_alu instid0(SALU_CYCLE_1) | instskip(NEXT) | instid1(SALU_CYCLE_1)
	s_and_b32 s43, exec_lo, s43
	s_or_b32 s39, s43, s39
	s_delay_alu instid0(SALU_CYCLE_1)
	s_and_not1_b32 exec_lo, exec_lo, s39
	s_cbranch_execz .LBB93_47
.LBB93_37:                              ;   Parent Loop BB93_20 Depth=1
                                        ;     Parent Loop BB93_23 Depth=2
                                        ; =>    This Inner Loop Header: Depth=3
	s_delay_alu instid0(VALU_DEP_2)
	v_lshl_add_u32 v26, v10, 3, 0
	s_mov_b32 s43, exec_lo
                                        ; implicit-def: $sgpr44
	ds_load_b64 v[11:12], v26
	s_waitcnt lgkmcnt(0)
	v_cmpx_ne_u64_e64 v[11:12], v[7:8]
	s_xor_b32 s43, exec_lo, s43
	s_cbranch_execz .LBB93_45
; %bb.38:                               ;   in Loop: Header=BB93_37 Depth=3
	s_mov_b32 s45, exec_lo
                                        ; implicit-def: $sgpr44
	v_cmpx_ne_u64_e64 s[34:35], v[11:12]
	s_xor_b32 s45, exec_lo, s45
; %bb.39:                               ;   in Loop: Header=BB93_37 Depth=3
	v_add_nc_u32_e32 v10, 1, v10
	s_mov_b32 s44, -1
                                        ; implicit-def: $vgpr26
	s_delay_alu instid0(VALU_DEP_1)
	v_and_b32_e32 v10, 0x1ff, v10
; %bb.40:                               ;   in Loop: Header=BB93_37 Depth=3
	s_and_not1_saveexec_b32 s45, s45
	s_cbranch_execz .LBB93_44
; %bb.41:                               ;   in Loop: Header=BB93_37 Depth=3
	v_dual_mov_b32 v11, s34 :: v_dual_mov_b32 v12, s35
	s_mov_b32 s46, -1
	s_mov_b32 s47, exec_lo
	ds_cmpstore_rtn_b64 v[11:12], v26, v[7:8], v[11:12]
	s_waitcnt lgkmcnt(0)
	v_cmpx_eq_u64_e64 s[34:35], v[11:12]
	s_cbranch_execz .LBB93_43
; %bb.42:                               ;   in Loop: Header=BB93_37 Depth=3
	v_lshl_add_u32 v11, v10, 3, v26
	s_xor_b32 s46, exec_lo, -1
	ds_add_f32 v11, v25 offset:4100
.LBB93_43:                              ;   in Loop: Header=BB93_37 Depth=3
	s_or_b32 exec_lo, exec_lo, s47
	s_delay_alu instid0(SALU_CYCLE_1) | instskip(SKIP_1) | instid1(SALU_CYCLE_1)
	s_and_not1_b32 s44, s44, exec_lo
	s_and_b32 s46, s46, exec_lo
	s_or_b32 s44, s44, s46
.LBB93_44:                              ;   in Loop: Header=BB93_37 Depth=3
	s_or_b32 exec_lo, exec_lo, s45
	s_delay_alu instid0(SALU_CYCLE_1)
	s_and_b32 s44, s44, exec_lo
                                        ; implicit-def: $vgpr26
.LBB93_45:                              ;   in Loop: Header=BB93_37 Depth=3
	s_and_not1_saveexec_b32 s43, s43
	s_cbranch_execz .LBB93_36
; %bb.46:                               ;   in Loop: Header=BB93_37 Depth=3
	v_lshl_add_u32 v11, v10, 3, v26
	s_and_not1_b32 s44, s44, exec_lo
	ds_add_f32 v11, v25 offset:4100
	s_branch .LBB93_36
.LBB93_47:                              ;   in Loop: Header=BB93_23 Depth=2
	s_or_b32 exec_lo, exec_lo, s39
	v_dual_mul_f32 v24, v17, v24 :: v_dual_mov_b32 v11, v10
	v_mov_b32_e32 v10, v9
	s_mov_b32 s39, 0
	s_delay_alu instid0(VALU_DEP_2)
	v_fmac_f32_e32 v24, v18, v23
	s_branch .LBB93_49
.LBB93_48:                              ;   in Loop: Header=BB93_49 Depth=3
	s_or_b32 exec_lo, exec_lo, s43
	s_xor_b32 s43, s44, -1
	s_delay_alu instid0(SALU_CYCLE_1) | instskip(NEXT) | instid1(SALU_CYCLE_1)
	s_and_b32 s43, exec_lo, s43
	s_or_b32 s39, s43, s39
	s_delay_alu instid0(SALU_CYCLE_1)
	s_and_not1_b32 exec_lo, exec_lo, s39
	s_cbranch_execz .LBB93_59
.LBB93_49:                              ;   Parent Loop BB93_20 Depth=1
                                        ;     Parent Loop BB93_23 Depth=2
                                        ; =>    This Inner Loop Header: Depth=3
	s_delay_alu instid0(VALU_DEP_2)
	v_lshl_add_u32 v23, v10, 3, 0
	s_mov_b32 s43, exec_lo
                                        ; implicit-def: $sgpr44
	ds_load_b64 v[11:12], v23
	s_waitcnt lgkmcnt(0)
	v_cmpx_ne_u64_e64 v[11:12], v[7:8]
	s_xor_b32 s43, exec_lo, s43
	s_cbranch_execz .LBB93_57
; %bb.50:                               ;   in Loop: Header=BB93_49 Depth=3
	s_mov_b32 s45, exec_lo
                                        ; implicit-def: $sgpr44
	v_cmpx_ne_u64_e64 s[34:35], v[11:12]
	s_xor_b32 s45, exec_lo, s45
; %bb.51:                               ;   in Loop: Header=BB93_49 Depth=3
	v_add_nc_u32_e32 v10, 1, v10
	s_mov_b32 s44, -1
                                        ; implicit-def: $vgpr23
	s_delay_alu instid0(VALU_DEP_1)
	v_and_b32_e32 v10, 0x1ff, v10
; %bb.52:                               ;   in Loop: Header=BB93_49 Depth=3
	s_and_not1_saveexec_b32 s45, s45
	s_cbranch_execz .LBB93_56
; %bb.53:                               ;   in Loop: Header=BB93_49 Depth=3
	v_dual_mov_b32 v11, s34 :: v_dual_mov_b32 v12, s35
	s_mov_b32 s46, -1
	s_mov_b32 s47, exec_lo
	ds_cmpstore_rtn_b64 v[11:12], v23, v[7:8], v[11:12]
	s_waitcnt lgkmcnt(0)
	v_cmpx_eq_u64_e64 s[34:35], v[11:12]
	s_cbranch_execz .LBB93_55
; %bb.54:                               ;   in Loop: Header=BB93_49 Depth=3
	v_lshl_add_u32 v11, v10, 3, v23
	s_xor_b32 s46, exec_lo, -1
	ds_add_f32 v11, v24 offset:4104
.LBB93_55:                              ;   in Loop: Header=BB93_49 Depth=3
	s_or_b32 exec_lo, exec_lo, s47
	s_delay_alu instid0(SALU_CYCLE_1) | instskip(SKIP_1) | instid1(SALU_CYCLE_1)
	s_and_not1_b32 s44, s44, exec_lo
	s_and_b32 s46, s46, exec_lo
	s_or_b32 s44, s44, s46
.LBB93_56:                              ;   in Loop: Header=BB93_49 Depth=3
	s_or_b32 exec_lo, exec_lo, s45
	s_delay_alu instid0(SALU_CYCLE_1)
	s_and_b32 s44, s44, exec_lo
                                        ; implicit-def: $vgpr23
.LBB93_57:                              ;   in Loop: Header=BB93_49 Depth=3
	s_and_not1_saveexec_b32 s43, s43
	s_cbranch_execz .LBB93_48
; %bb.58:                               ;   in Loop: Header=BB93_49 Depth=3
	v_lshl_add_u32 v11, v10, 3, v23
	s_and_not1_b32 s44, s44, exec_lo
	ds_add_f32 v11, v24 offset:4104
	s_branch .LBB93_48
.LBB93_59:                              ;   in Loop: Header=BB93_23 Depth=2
	s_or_b32 exec_lo, exec_lo, s39
	v_mul_f32_e32 v12, v17, v22
	s_mov_b32 s39, 0
	s_delay_alu instid0(VALU_DEP_1)
	v_fmac_f32_e32 v12, v18, v21
	s_branch .LBB93_61
.LBB93_60:                              ;   in Loop: Header=BB93_61 Depth=3
	s_or_b32 exec_lo, exec_lo, s43
	s_xor_b32 s43, s44, -1
	s_delay_alu instid0(SALU_CYCLE_1) | instskip(NEXT) | instid1(SALU_CYCLE_1)
	s_and_b32 s43, exec_lo, s43
	s_or_b32 s39, s43, s39
	s_delay_alu instid0(SALU_CYCLE_1)
	s_and_not1_b32 exec_lo, exec_lo, s39
	s_cbranch_execz .LBB93_22
.LBB93_61:                              ;   Parent Loop BB93_20 Depth=1
                                        ;     Parent Loop BB93_23 Depth=2
                                        ; =>    This Inner Loop Header: Depth=3
	v_lshl_add_u32 v21, v9, 3, 0
	s_mov_b32 s43, exec_lo
                                        ; implicit-def: $sgpr44
	ds_load_b64 v[10:11], v21
	s_waitcnt lgkmcnt(0)
	v_cmpx_ne_u64_e64 v[10:11], v[7:8]
	s_xor_b32 s43, exec_lo, s43
	s_cbranch_execz .LBB93_69
; %bb.62:                               ;   in Loop: Header=BB93_61 Depth=3
	s_mov_b32 s45, exec_lo
                                        ; implicit-def: $sgpr44
	v_cmpx_ne_u64_e64 s[34:35], v[10:11]
	s_xor_b32 s45, exec_lo, s45
; %bb.63:                               ;   in Loop: Header=BB93_61 Depth=3
	v_add_nc_u32_e32 v9, 1, v9
	s_mov_b32 s44, -1
                                        ; implicit-def: $vgpr21
	s_delay_alu instid0(VALU_DEP_1)
	v_and_b32_e32 v9, 0x1ff, v9
; %bb.64:                               ;   in Loop: Header=BB93_61 Depth=3
	s_and_not1_saveexec_b32 s45, s45
	s_cbranch_execz .LBB93_68
; %bb.65:                               ;   in Loop: Header=BB93_61 Depth=3
	v_dual_mov_b32 v10, s34 :: v_dual_mov_b32 v11, s35
	s_mov_b32 s46, -1
	s_mov_b32 s47, exec_lo
	ds_cmpstore_rtn_b64 v[10:11], v21, v[7:8], v[10:11]
	s_waitcnt lgkmcnt(0)
	v_cmpx_eq_u64_e64 s[34:35], v[10:11]
	s_cbranch_execz .LBB93_67
; %bb.66:                               ;   in Loop: Header=BB93_61 Depth=3
	v_lshl_add_u32 v10, v9, 3, v21
	s_xor_b32 s46, exec_lo, -1
	ds_add_f32 v10, v12 offset:4108
.LBB93_67:                              ;   in Loop: Header=BB93_61 Depth=3
	s_or_b32 exec_lo, exec_lo, s47
	s_delay_alu instid0(SALU_CYCLE_1) | instskip(SKIP_1) | instid1(SALU_CYCLE_1)
	s_and_not1_b32 s44, s44, exec_lo
	s_and_b32 s46, s46, exec_lo
	s_or_b32 s44, s44, s46
.LBB93_68:                              ;   in Loop: Header=BB93_61 Depth=3
	s_or_b32 exec_lo, exec_lo, s45
	s_delay_alu instid0(SALU_CYCLE_1)
	s_and_b32 s44, s44, exec_lo
                                        ; implicit-def: $vgpr21
.LBB93_69:                              ;   in Loop: Header=BB93_61 Depth=3
	s_and_not1_saveexec_b32 s43, s43
	s_cbranch_execz .LBB93_60
; %bb.70:                               ;   in Loop: Header=BB93_61 Depth=3
	v_lshl_add_u32 v10, v9, 3, v21
	s_and_not1_b32 s44, s44, exec_lo
	ds_add_f32 v10, v12 offset:4108
	s_branch .LBB93_60
.LBB93_71:
	s_or_b32 exec_lo, exec_lo, s3
.LBB93_72:
	s_delay_alu instid0(SALU_CYCLE_1)
	s_and_not1_b32 vcc_lo, exec_lo, s42
	s_waitcnt lgkmcnt(0)
	s_barrier
	buffer_gl0_inv
	s_cbranch_vccnz .LBB93_125
; %bb.73:
	s_lshl_b64 s[0:1], s[40:41], 3
	s_mov_b32 s3, 0
	s_add_u32 s0, s4, s0
	s_addc_u32 s1, s5, s1
	s_mov_b32 s4, exec_lo
	s_load_b128 s[12:15], s[0:1], 0x0
	v_sub_co_u32 v1, s0, v0, s23
	s_delay_alu instid0(VALU_DEP_1) | instskip(SKIP_1) | instid1(VALU_DEP_2)
	v_sub_co_ci_u32_e64 v2, null, 0, 0, s0
	s_waitcnt lgkmcnt(0)
	v_add_co_u32 v1, vcc_lo, s12, v1
	s_delay_alu instid0(VALU_DEP_2)
	v_add_co_ci_u32_e32 v2, vcc_lo, s13, v2, vcc_lo
	s_sub_u32 s0, s14, s23
	s_subb_u32 s1, s15, 0
	s_delay_alu instid0(VALU_DEP_1) | instid1(SALU_CYCLE_1)
	v_cmpx_gt_i64_e64 s[0:1], v[1:2]
	s_cbranch_execz .LBB93_124
; %bb.74:
	s_cmp_eq_u32 s33, 0
	s_mov_b32 s5, s23
	s_cselect_b32 s12, 1, 2
	s_cselect_b32 s13, 2, 1
	s_branch .LBB93_76
.LBB93_75:                              ;   in Loop: Header=BB93_76 Depth=1
	s_or_b32 exec_lo, exec_lo, s14
	v_add_co_u32 v1, vcc_lo, 0x100, v1
	v_add_co_ci_u32_e32 v2, vcc_lo, 0, v2, vcc_lo
	s_delay_alu instid0(VALU_DEP_1) | instskip(SKIP_1) | instid1(SALU_CYCLE_1)
	v_cmp_le_i64_e32 vcc_lo, s[0:1], v[1:2]
	s_or_b32 s3, vcc_lo, s3
	s_and_not1_b32 exec_lo, exec_lo, s3
	s_cbranch_execz .LBB93_124
.LBB93_76:                              ; =>This Loop Header: Depth=1
                                        ;     Child Loop BB93_78 Depth 2
                                        ;     Child Loop BB93_90 Depth 2
	;; [unrolled: 1-line block ×4, first 2 shown]
	v_lshlrev_b64 v[3:4], 3, v[1:2]
	v_lshlrev_b64 v[5:6], 2, v[1:2]
	;; [unrolled: 1-line block ×3, first 2 shown]
	s_mov_b32 s14, 0
	s_delay_alu instid0(VALU_DEP_3) | instskip(NEXT) | instid1(VALU_DEP_4)
	v_add_co_u32 v3, vcc_lo, s6, v3
	v_add_co_ci_u32_e32 v4, vcc_lo, s7, v4, vcc_lo
	s_delay_alu instid0(VALU_DEP_4)
	v_or_b32_e32 v11, 0, v6
	v_or_b32_e32 v10, s13, v5
	;; [unrolled: 1-line block ×3, first 2 shown]
	global_load_b64 v[3:4], v[3:4], off
	v_add_co_u32 v6, vcc_lo, s8, v7
	v_add_co_ci_u32_e32 v7, vcc_lo, s9, v8, vcc_lo
	v_or_b32_e32 v8, s12, v5
	v_lshlrev_b64 v[10:11], 2, v[10:11]
	global_load_b32 v12, v[6:7], off
	v_lshlrev_b64 v[8:9], 2, v[8:9]
	v_add_co_u32 v10, vcc_lo, s8, v10
	v_add_co_ci_u32_e32 v11, vcc_lo, s9, v11, vcc_lo
	s_delay_alu instid0(VALU_DEP_3) | instskip(NEXT) | instid1(VALU_DEP_4)
	v_add_co_u32 v8, vcc_lo, s8, v8
	v_add_co_ci_u32_e32 v9, vcc_lo, s9, v9, vcc_lo
	s_clause 0x2
	global_load_b32 v10, v[10:11], off
	global_load_b32 v11, v[8:9], off
	global_load_b32 v9, v[6:7], off offset:12
	s_waitcnt vmcnt(4)
	v_sub_co_u32 v3, vcc_lo, v3, s5
	v_subrev_co_ci_u32_e32 v4, vcc_lo, 0, v4, vcc_lo
	s_delay_alu instid0(VALU_DEP_2) | instskip(SKIP_1) | instid1(VALU_DEP_1)
	v_mul_lo_u32 v5, 0x89, v3
	s_waitcnt vmcnt(3)
	v_dual_mul_f32 v12, v13, v12 :: v_dual_and_b32 v5, 0x1ff, v5
	v_mov_b32_e32 v7, v6
	s_delay_alu instid0(VALU_DEP_2)
	v_mov_b32_e32 v6, v5
	s_branch .LBB93_78
.LBB93_77:                              ;   in Loop: Header=BB93_78 Depth=2
	s_or_b32 exec_lo, exec_lo, s15
	s_xor_b32 s15, s16, -1
	s_delay_alu instid0(SALU_CYCLE_1) | instskip(NEXT) | instid1(SALU_CYCLE_1)
	s_and_b32 s15, exec_lo, s15
	s_or_b32 s14, s15, s14
	s_delay_alu instid0(SALU_CYCLE_1)
	s_and_not1_b32 exec_lo, exec_lo, s14
	s_cbranch_execz .LBB93_88
.LBB93_78:                              ;   Parent Loop BB93_76 Depth=1
                                        ; =>  This Inner Loop Header: Depth=2
	s_delay_alu instid0(VALU_DEP_1)
	v_lshl_add_u32 v14, v6, 3, 0
	s_mov_b32 s15, exec_lo
                                        ; implicit-def: $sgpr16
	ds_load_b64 v[7:8], v14
	s_waitcnt lgkmcnt(0)
	v_cmpx_ne_u64_e64 v[7:8], v[3:4]
	s_xor_b32 s15, exec_lo, s15
	s_cbranch_execz .LBB93_86
; %bb.79:                               ;   in Loop: Header=BB93_78 Depth=2
	s_mov_b32 s17, exec_lo
                                        ; implicit-def: $sgpr16
	v_cmpx_ne_u64_e64 s[34:35], v[7:8]
	s_xor_b32 s17, exec_lo, s17
; %bb.80:                               ;   in Loop: Header=BB93_78 Depth=2
	v_add_nc_u32_e32 v6, 1, v6
	s_mov_b32 s16, -1
                                        ; implicit-def: $vgpr14
	s_delay_alu instid0(VALU_DEP_1)
	v_and_b32_e32 v6, 0x1ff, v6
; %bb.81:                               ;   in Loop: Header=BB93_78 Depth=2
	s_and_not1_saveexec_b32 s17, s17
	s_cbranch_execz .LBB93_85
; %bb.82:                               ;   in Loop: Header=BB93_78 Depth=2
	v_dual_mov_b32 v7, s34 :: v_dual_mov_b32 v8, s35
	s_mov_b32 s18, -1
	s_mov_b32 s19, exec_lo
	ds_cmpstore_rtn_b64 v[7:8], v14, v[3:4], v[7:8]
	s_waitcnt lgkmcnt(0)
	v_cmpx_eq_u64_e64 s[34:35], v[7:8]
	s_cbranch_execz .LBB93_84
; %bb.83:                               ;   in Loop: Header=BB93_78 Depth=2
	v_lshl_add_u32 v7, v6, 3, v14
	s_xor_b32 s18, exec_lo, -1
	ds_add_f32 v7, v12 offset:4096
.LBB93_84:                              ;   in Loop: Header=BB93_78 Depth=2
	s_or_b32 exec_lo, exec_lo, s19
	s_delay_alu instid0(SALU_CYCLE_1) | instskip(SKIP_1) | instid1(SALU_CYCLE_1)
	s_and_not1_b32 s16, s16, exec_lo
	s_and_b32 s18, s18, exec_lo
	s_or_b32 s16, s16, s18
.LBB93_85:                              ;   in Loop: Header=BB93_78 Depth=2
	s_or_b32 exec_lo, exec_lo, s17
	s_delay_alu instid0(SALU_CYCLE_1)
	s_and_b32 s16, s16, exec_lo
                                        ; implicit-def: $vgpr14
.LBB93_86:                              ;   in Loop: Header=BB93_78 Depth=2
	s_and_not1_saveexec_b32 s15, s15
	s_cbranch_execz .LBB93_77
; %bb.87:                               ;   in Loop: Header=BB93_78 Depth=2
	v_lshl_add_u32 v7, v6, 3, v14
	s_and_not1_b32 s16, s16, exec_lo
	ds_add_f32 v7, v12 offset:4096
	s_branch .LBB93_77
.LBB93_88:                              ;   in Loop: Header=BB93_76 Depth=1
	s_or_b32 exec_lo, exec_lo, s14
	v_mov_b32_e32 v7, v6
	s_waitcnt vmcnt(1)
	v_mul_f32_e32 v11, v13, v11
	v_mov_b32_e32 v6, v5
	s_mov_b32 s14, 0
	s_branch .LBB93_90
.LBB93_89:                              ;   in Loop: Header=BB93_90 Depth=2
	s_or_b32 exec_lo, exec_lo, s15
	s_xor_b32 s15, s16, -1
	s_delay_alu instid0(SALU_CYCLE_1) | instskip(NEXT) | instid1(SALU_CYCLE_1)
	s_and_b32 s15, exec_lo, s15
	s_or_b32 s14, s15, s14
	s_delay_alu instid0(SALU_CYCLE_1)
	s_and_not1_b32 exec_lo, exec_lo, s14
	s_cbranch_execz .LBB93_100
.LBB93_90:                              ;   Parent Loop BB93_76 Depth=1
                                        ; =>  This Inner Loop Header: Depth=2
	s_delay_alu instid0(VALU_DEP_1)
	v_lshl_add_u32 v12, v6, 3, 0
	s_mov_b32 s15, exec_lo
                                        ; implicit-def: $sgpr16
	ds_load_b64 v[7:8], v12
	s_waitcnt lgkmcnt(0)
	v_cmpx_ne_u64_e64 v[7:8], v[3:4]
	s_xor_b32 s15, exec_lo, s15
	s_cbranch_execz .LBB93_98
; %bb.91:                               ;   in Loop: Header=BB93_90 Depth=2
	s_mov_b32 s17, exec_lo
                                        ; implicit-def: $sgpr16
	v_cmpx_ne_u64_e64 s[34:35], v[7:8]
	s_xor_b32 s17, exec_lo, s17
; %bb.92:                               ;   in Loop: Header=BB93_90 Depth=2
	v_add_nc_u32_e32 v6, 1, v6
	s_mov_b32 s16, -1
                                        ; implicit-def: $vgpr12
	s_delay_alu instid0(VALU_DEP_1)
	v_and_b32_e32 v6, 0x1ff, v6
; %bb.93:                               ;   in Loop: Header=BB93_90 Depth=2
	s_and_not1_saveexec_b32 s17, s17
	s_cbranch_execz .LBB93_97
; %bb.94:                               ;   in Loop: Header=BB93_90 Depth=2
	v_dual_mov_b32 v7, s34 :: v_dual_mov_b32 v8, s35
	s_mov_b32 s18, -1
	s_mov_b32 s19, exec_lo
	ds_cmpstore_rtn_b64 v[7:8], v12, v[3:4], v[7:8]
	s_waitcnt lgkmcnt(0)
	v_cmpx_eq_u64_e64 s[34:35], v[7:8]
	s_cbranch_execz .LBB93_96
; %bb.95:                               ;   in Loop: Header=BB93_90 Depth=2
	v_lshl_add_u32 v7, v6, 3, v12
	s_xor_b32 s18, exec_lo, -1
	ds_add_f32 v7, v11 offset:4100
.LBB93_96:                              ;   in Loop: Header=BB93_90 Depth=2
	s_or_b32 exec_lo, exec_lo, s19
	s_delay_alu instid0(SALU_CYCLE_1) | instskip(SKIP_1) | instid1(SALU_CYCLE_1)
	s_and_not1_b32 s16, s16, exec_lo
	s_and_b32 s18, s18, exec_lo
	s_or_b32 s16, s16, s18
.LBB93_97:                              ;   in Loop: Header=BB93_90 Depth=2
	s_or_b32 exec_lo, exec_lo, s17
	s_delay_alu instid0(SALU_CYCLE_1)
	s_and_b32 s16, s16, exec_lo
                                        ; implicit-def: $vgpr12
.LBB93_98:                              ;   in Loop: Header=BB93_90 Depth=2
	s_and_not1_saveexec_b32 s15, s15
	s_cbranch_execz .LBB93_89
; %bb.99:                               ;   in Loop: Header=BB93_90 Depth=2
	v_lshl_add_u32 v7, v6, 3, v12
	s_and_not1_b32 s16, s16, exec_lo
	ds_add_f32 v7, v11 offset:4100
	s_branch .LBB93_89
.LBB93_100:                             ;   in Loop: Header=BB93_76 Depth=1
	s_or_b32 exec_lo, exec_lo, s14
	v_dual_mul_f32 v10, v13, v10 :: v_dual_mov_b32 v7, v6
	v_mov_b32_e32 v6, v5
	s_mov_b32 s14, 0
	s_branch .LBB93_102
.LBB93_101:                             ;   in Loop: Header=BB93_102 Depth=2
	s_or_b32 exec_lo, exec_lo, s15
	s_xor_b32 s15, s16, -1
	s_delay_alu instid0(SALU_CYCLE_1) | instskip(NEXT) | instid1(SALU_CYCLE_1)
	s_and_b32 s15, exec_lo, s15
	s_or_b32 s14, s15, s14
	s_delay_alu instid0(SALU_CYCLE_1)
	s_and_not1_b32 exec_lo, exec_lo, s14
	s_cbranch_execz .LBB93_112
.LBB93_102:                             ;   Parent Loop BB93_76 Depth=1
                                        ; =>  This Inner Loop Header: Depth=2
	s_delay_alu instid0(VALU_DEP_1)
	v_lshl_add_u32 v11, v6, 3, 0
	s_mov_b32 s15, exec_lo
                                        ; implicit-def: $sgpr16
	ds_load_b64 v[7:8], v11
	s_waitcnt lgkmcnt(0)
	v_cmpx_ne_u64_e64 v[7:8], v[3:4]
	s_xor_b32 s15, exec_lo, s15
	s_cbranch_execz .LBB93_110
; %bb.103:                              ;   in Loop: Header=BB93_102 Depth=2
	s_mov_b32 s17, exec_lo
                                        ; implicit-def: $sgpr16
	v_cmpx_ne_u64_e64 s[34:35], v[7:8]
	s_xor_b32 s17, exec_lo, s17
; %bb.104:                              ;   in Loop: Header=BB93_102 Depth=2
	v_add_nc_u32_e32 v6, 1, v6
	s_mov_b32 s16, -1
                                        ; implicit-def: $vgpr11
	s_delay_alu instid0(VALU_DEP_1)
	v_and_b32_e32 v6, 0x1ff, v6
; %bb.105:                              ;   in Loop: Header=BB93_102 Depth=2
	s_and_not1_saveexec_b32 s17, s17
	s_cbranch_execz .LBB93_109
; %bb.106:                              ;   in Loop: Header=BB93_102 Depth=2
	v_dual_mov_b32 v7, s34 :: v_dual_mov_b32 v8, s35
	s_mov_b32 s18, -1
	s_mov_b32 s19, exec_lo
	ds_cmpstore_rtn_b64 v[7:8], v11, v[3:4], v[7:8]
	s_waitcnt lgkmcnt(0)
	v_cmpx_eq_u64_e64 s[34:35], v[7:8]
	s_cbranch_execz .LBB93_108
; %bb.107:                              ;   in Loop: Header=BB93_102 Depth=2
	v_lshl_add_u32 v7, v6, 3, v11
	s_xor_b32 s18, exec_lo, -1
	ds_add_f32 v7, v10 offset:4104
.LBB93_108:                             ;   in Loop: Header=BB93_102 Depth=2
	s_or_b32 exec_lo, exec_lo, s19
	s_delay_alu instid0(SALU_CYCLE_1) | instskip(SKIP_1) | instid1(SALU_CYCLE_1)
	s_and_not1_b32 s16, s16, exec_lo
	s_and_b32 s18, s18, exec_lo
	s_or_b32 s16, s16, s18
.LBB93_109:                             ;   in Loop: Header=BB93_102 Depth=2
	s_or_b32 exec_lo, exec_lo, s17
	s_delay_alu instid0(SALU_CYCLE_1)
	s_and_b32 s16, s16, exec_lo
                                        ; implicit-def: $vgpr11
.LBB93_110:                             ;   in Loop: Header=BB93_102 Depth=2
	s_and_not1_saveexec_b32 s15, s15
	s_cbranch_execz .LBB93_101
; %bb.111:                              ;   in Loop: Header=BB93_102 Depth=2
	v_lshl_add_u32 v7, v6, 3, v11
	s_and_not1_b32 s16, s16, exec_lo
	ds_add_f32 v7, v10 offset:4104
	s_branch .LBB93_101
.LBB93_112:                             ;   in Loop: Header=BB93_76 Depth=1
	s_or_b32 exec_lo, exec_lo, s14
	s_waitcnt vmcnt(0)
	v_mul_f32_e32 v8, v13, v9
	s_mov_b32 s14, 0
	s_branch .LBB93_114
.LBB93_113:                             ;   in Loop: Header=BB93_114 Depth=2
	s_or_b32 exec_lo, exec_lo, s15
	s_xor_b32 s15, s16, -1
	s_delay_alu instid0(SALU_CYCLE_1) | instskip(NEXT) | instid1(SALU_CYCLE_1)
	s_and_b32 s15, exec_lo, s15
	s_or_b32 s14, s15, s14
	s_delay_alu instid0(SALU_CYCLE_1)
	s_and_not1_b32 exec_lo, exec_lo, s14
	s_cbranch_execz .LBB93_75
.LBB93_114:                             ;   Parent Loop BB93_76 Depth=1
                                        ; =>  This Inner Loop Header: Depth=2
	v_lshl_add_u32 v9, v5, 3, 0
	s_mov_b32 s15, exec_lo
                                        ; implicit-def: $sgpr16
	ds_load_b64 v[6:7], v9
	s_waitcnt lgkmcnt(0)
	v_cmpx_ne_u64_e64 v[6:7], v[3:4]
	s_xor_b32 s15, exec_lo, s15
	s_cbranch_execz .LBB93_122
; %bb.115:                              ;   in Loop: Header=BB93_114 Depth=2
	s_mov_b32 s17, exec_lo
                                        ; implicit-def: $sgpr16
	v_cmpx_ne_u64_e64 s[34:35], v[6:7]
	s_xor_b32 s17, exec_lo, s17
; %bb.116:                              ;   in Loop: Header=BB93_114 Depth=2
	v_add_nc_u32_e32 v5, 1, v5
	s_mov_b32 s16, -1
                                        ; implicit-def: $vgpr9
	s_delay_alu instid0(VALU_DEP_1)
	v_and_b32_e32 v5, 0x1ff, v5
; %bb.117:                              ;   in Loop: Header=BB93_114 Depth=2
	s_and_not1_saveexec_b32 s17, s17
	s_cbranch_execz .LBB93_121
; %bb.118:                              ;   in Loop: Header=BB93_114 Depth=2
	v_dual_mov_b32 v6, s34 :: v_dual_mov_b32 v7, s35
	s_mov_b32 s18, -1
	s_mov_b32 s19, exec_lo
	ds_cmpstore_rtn_b64 v[6:7], v9, v[3:4], v[6:7]
	s_waitcnt lgkmcnt(0)
	v_cmpx_eq_u64_e64 s[34:35], v[6:7]
	s_cbranch_execz .LBB93_120
; %bb.119:                              ;   in Loop: Header=BB93_114 Depth=2
	v_lshl_add_u32 v6, v5, 3, v9
	s_xor_b32 s18, exec_lo, -1
	ds_add_f32 v6, v8 offset:4108
.LBB93_120:                             ;   in Loop: Header=BB93_114 Depth=2
	s_or_b32 exec_lo, exec_lo, s19
	s_delay_alu instid0(SALU_CYCLE_1) | instskip(SKIP_1) | instid1(SALU_CYCLE_1)
	s_and_not1_b32 s16, s16, exec_lo
	s_and_b32 s18, s18, exec_lo
	s_or_b32 s16, s16, s18
.LBB93_121:                             ;   in Loop: Header=BB93_114 Depth=2
	s_or_b32 exec_lo, exec_lo, s17
	s_delay_alu instid0(SALU_CYCLE_1)
	s_and_b32 s16, s16, exec_lo
                                        ; implicit-def: $vgpr9
.LBB93_122:                             ;   in Loop: Header=BB93_114 Depth=2
	s_and_not1_saveexec_b32 s15, s15
	s_cbranch_execz .LBB93_113
; %bb.123:                              ;   in Loop: Header=BB93_114 Depth=2
	v_lshl_add_u32 v6, v5, 3, v9
	s_and_not1_b32 s16, s16, exec_lo
	ds_add_f32 v6, v8 offset:4108
	s_branch .LBB93_113
.LBB93_124:
	s_or_b32 exec_lo, exec_lo, s4
.LBB93_125:
	s_waitcnt lgkmcnt(0)
	s_barrier
	buffer_gl0_inv
	s_and_saveexec_b32 s0, s2
	s_cbranch_execz .LBB93_132
; %bb.126:
	s_lshl_b64 s[0:1], s[40:41], 3
	s_delay_alu instid0(SALU_CYCLE_1)
	s_add_u32 s0, s10, s0
	s_addc_u32 s1, s11, s1
	s_load_b64 s[0:1], s[0:1], 0x0
	s_waitcnt lgkmcnt(0)
	s_sub_u32 s2, s0, s22
	s_subb_u32 s3, s1, 0
	s_cmp_eq_u32 s33, 0
	s_mov_b32 s1, 0
	s_cselect_b32 s4, 1, 2
	s_cselect_b32 s5, 2, 1
	s_add_i32 s6, 0, 0x1000
	s_branch .LBB93_128
.LBB93_127:                             ;   in Loop: Header=BB93_128 Depth=1
	s_or_b32 exec_lo, exec_lo, s7
	v_add_nc_u32_e32 v1, 0x100, v0
	v_cmp_lt_u32_e32 vcc_lo, 0xff, v0
	s_delay_alu instid0(VALU_DEP_2) | instskip(SKIP_1) | instid1(SALU_CYCLE_1)
	v_mov_b32_e32 v0, v1
	s_or_b32 s1, vcc_lo, s1
	s_and_not1_b32 exec_lo, exec_lo, s1
	s_cbranch_execz .LBB93_132
.LBB93_128:                             ; =>This Loop Header: Depth=1
                                        ;     Child Loop BB93_130 Depth 2
	s_delay_alu instid0(VALU_DEP_1)
	v_lshl_add_u32 v1, v0, 3, 0
	s_mov_b32 s7, exec_lo
	ds_load_b64 v[1:2], v1
	s_waitcnt lgkmcnt(0)
	v_cmpx_gt_i64_e64 s[34:35], v[1:2]
	s_cbranch_execz .LBB93_127
; %bb.129:                              ;   in Loop: Header=BB93_128 Depth=1
	v_dual_mov_b32 v4, s3 :: v_dual_mov_b32 v3, s2
	s_mov_b32 s8, 0
.LBB93_130:                             ;   Parent Loop BB93_128 Depth=1
                                        ; =>  This Inner Loop Header: Depth=2
	s_delay_alu instid0(SALU_CYCLE_1)
	s_add_i32 s0, s8, 0
	s_addk_i32 s8, 0x80
	v_mov_b32_e32 v33, s0
	s_cmpk_lg_i32 s8, 0x1000
	ds_load_2addr_b64 v[5:8], v33 offset1:1
	ds_load_2addr_b64 v[9:12], v33 offset0:2 offset1:3
	ds_load_2addr_b64 v[13:16], v33 offset0:4 offset1:5
	;; [unrolled: 1-line block ×7, first 2 shown]
	s_waitcnt lgkmcnt(7)
	v_cmp_gt_i64_e32 vcc_lo, v[1:2], v[5:6]
	v_cndmask_b32_e64 v5, 0, 1, vcc_lo
	v_cmp_gt_i64_e32 vcc_lo, v[1:2], v[7:8]
	v_cndmask_b32_e64 v6, 0, 1, vcc_lo
	s_waitcnt lgkmcnt(6)
	v_cmp_gt_i64_e32 vcc_lo, v[1:2], v[9:10]
	v_cndmask_b32_e64 v7, 0, 1, vcc_lo
	v_cmp_gt_i64_e32 vcc_lo, v[1:2], v[11:12]
	v_cndmask_b32_e64 v8, 0, 1, vcc_lo
	;; [unrolled: 5-line block ×4, first 2 shown]
	s_waitcnt lgkmcnt(3)
	v_cmp_gt_i64_e32 vcc_lo, v[1:2], v[21:22]
	v_cndmask_b32_e64 v13, 0, 1, vcc_lo
	v_add_co_u32 v3, vcc_lo, v3, v5
	v_add_co_ci_u32_e32 v4, vcc_lo, 0, v4, vcc_lo
	v_cmp_gt_i64_e32 vcc_lo, v[1:2], v[23:24]
	s_delay_alu instid0(VALU_DEP_3) | instskip(NEXT) | instid1(VALU_DEP_1)
	v_add_co_u32 v3, s0, v3, v6
	v_add_co_ci_u32_e64 v4, s0, 0, v4, s0
	v_cndmask_b32_e64 v5, 0, 1, vcc_lo
	s_delay_alu instid0(VALU_DEP_3) | instskip(NEXT) | instid1(VALU_DEP_3)
	v_add_co_u32 v3, vcc_lo, v3, v7
	v_add_co_ci_u32_e32 v4, vcc_lo, 0, v4, vcc_lo
	s_waitcnt lgkmcnt(2)
	v_cmp_gt_i64_e32 vcc_lo, v[1:2], v[25:26]
	s_delay_alu instid0(VALU_DEP_3) | instskip(NEXT) | instid1(VALU_DEP_1)
	v_add_co_u32 v3, s0, v3, v8
	v_add_co_ci_u32_e64 v4, s0, 0, v4, s0
	v_cndmask_b32_e64 v6, 0, 1, vcc_lo
	s_delay_alu instid0(VALU_DEP_3) | instskip(NEXT) | instid1(VALU_DEP_3)
	v_add_co_u32 v3, vcc_lo, v3, v9
	v_add_co_ci_u32_e32 v4, vcc_lo, 0, v4, vcc_lo
	v_cmp_gt_i64_e32 vcc_lo, v[1:2], v[27:28]
	s_delay_alu instid0(VALU_DEP_3) | instskip(NEXT) | instid1(VALU_DEP_1)
	v_add_co_u32 v3, s0, v3, v10
	v_add_co_ci_u32_e64 v4, s0, 0, v4, s0
	v_cndmask_b32_e64 v7, 0, 1, vcc_lo
	s_delay_alu instid0(VALU_DEP_3) | instskip(NEXT) | instid1(VALU_DEP_3)
	v_add_co_u32 v3, vcc_lo, v3, v11
	v_add_co_ci_u32_e32 v4, vcc_lo, 0, v4, vcc_lo
	s_waitcnt lgkmcnt(1)
	v_cmp_gt_i64_e32 vcc_lo, v[1:2], v[29:30]
	s_delay_alu instid0(VALU_DEP_3) | instskip(NEXT) | instid1(VALU_DEP_1)
	v_add_co_u32 v3, s0, v3, v12
	v_add_co_ci_u32_e64 v4, s0, 0, v4, s0
	v_cndmask_b32_e64 v8, 0, 1, vcc_lo
	s_delay_alu instid0(VALU_DEP_3) | instskip(NEXT) | instid1(VALU_DEP_3)
	;; [unrolled: 17-line block ×3, first 2 shown]
	v_add_co_u32 v3, vcc_lo, v3, v8
	v_add_co_ci_u32_e32 v4, vcc_lo, 0, v4, vcc_lo
	v_cmp_gt_i64_e32 vcc_lo, v[1:2], v[35:36]
	s_delay_alu instid0(VALU_DEP_3) | instskip(NEXT) | instid1(VALU_DEP_1)
	v_add_co_u32 v3, s0, v3, v5
	v_add_co_ci_u32_e64 v4, s0, 0, v4, s0
	v_cndmask_b32_e64 v5, 0, 1, vcc_lo
	s_delay_alu instid0(VALU_DEP_3) | instskip(NEXT) | instid1(VALU_DEP_3)
	v_add_co_u32 v3, vcc_lo, v3, v6
	v_add_co_ci_u32_e32 v4, vcc_lo, 0, v4, vcc_lo
	s_delay_alu instid0(VALU_DEP_2) | instskip(NEXT) | instid1(VALU_DEP_2)
	v_add_co_u32 v3, vcc_lo, v3, v5
	v_add_co_ci_u32_e32 v4, vcc_lo, 0, v4, vcc_lo
	s_cbranch_scc1 .LBB93_130
; %bb.131:                              ;   in Loop: Header=BB93_128 Depth=1
	v_lshl_add_u32 v6, v0, 4, s6
	v_add_co_u32 v1, vcc_lo, v1, s22
	v_add_co_ci_u32_e32 v2, vcc_lo, 0, v2, vcc_lo
	ds_load_2addr_b32 v[7:8], v6 offset1:3
	v_lshlrev_b32_e32 v5, 2, v0
	s_delay_alu instid0(VALU_DEP_1) | instskip(SKIP_1) | instid1(VALU_DEP_2)
	v_or_b32_e32 v9, s4, v5
	v_or_b32_e32 v5, s5, v5
	v_lshl_add_u32 v6, v9, 2, s6
	s_delay_alu instid0(VALU_DEP_2)
	v_lshl_add_u32 v11, v5, 2, s6
	v_lshlrev_b64 v[9:10], 3, v[3:4]
	v_lshlrev_b64 v[3:4], 4, v[3:4]
	ds_load_b32 v5, v6
	ds_load_b32 v6, v11
	v_add_co_u32 v9, vcc_lo, s24, v9
	v_add_co_ci_u32_e32 v10, vcc_lo, s25, v10, vcc_lo
	v_add_co_u32 v11, vcc_lo, s26, v3
	v_add_co_ci_u32_e32 v12, vcc_lo, s27, v4, vcc_lo
	s_waitcnt lgkmcnt(2)
	v_dual_mov_b32 v4, v7 :: v_dual_mov_b32 v7, v8
	global_store_b64 v[9:10], v[1:2], off
	s_waitcnt lgkmcnt(0)
	global_store_b128 v[11:12], v[4:7], off
	s_branch .LBB93_127
.LBB93_132:
	s_nop 0
	s_sendmsg sendmsg(MSG_DEALLOC_VGPRS)
	s_endpgm
	.section	.rodata,"a",@progbits
	.p2align	6, 0x0
	.amdhsa_kernel _ZN9rocsparseL30bsrgemm_fill_block_per_row_2x2ILj256ELj16ELj512ELj137EllfEEv20rocsparse_direction_T4_S2_PKS2_S4_NS_24const_host_device_scalarIT5_EEPKT3_S4_PKS6_SA_S4_SC_S7_SA_S4_SC_SA_PS2_PS6_21rocsparse_index_base_SF_SF_SF_bbb
		.amdhsa_group_segment_fixed_size 0
		.amdhsa_private_segment_fixed_size 0
		.amdhsa_kernarg_size 172
		.amdhsa_user_sgpr_count 15
		.amdhsa_user_sgpr_dispatch_ptr 0
		.amdhsa_user_sgpr_queue_ptr 0
		.amdhsa_user_sgpr_kernarg_segment_ptr 1
		.amdhsa_user_sgpr_dispatch_id 0
		.amdhsa_user_sgpr_private_segment_size 0
		.amdhsa_wavefront_size32 1
		.amdhsa_uses_dynamic_stack 0
		.amdhsa_enable_private_segment 0
		.amdhsa_system_sgpr_workgroup_id_x 1
		.amdhsa_system_sgpr_workgroup_id_y 0
		.amdhsa_system_sgpr_workgroup_id_z 0
		.amdhsa_system_sgpr_workgroup_info 0
		.amdhsa_system_vgpr_workitem_id 0
		.amdhsa_next_free_vgpr 37
		.amdhsa_next_free_sgpr 48
		.amdhsa_reserve_vcc 1
		.amdhsa_float_round_mode_32 0
		.amdhsa_float_round_mode_16_64 0
		.amdhsa_float_denorm_mode_32 3
		.amdhsa_float_denorm_mode_16_64 3
		.amdhsa_dx10_clamp 1
		.amdhsa_ieee_mode 1
		.amdhsa_fp16_overflow 0
		.amdhsa_workgroup_processor_mode 1
		.amdhsa_memory_ordered 1
		.amdhsa_forward_progress 0
		.amdhsa_shared_vgpr_count 0
		.amdhsa_exception_fp_ieee_invalid_op 0
		.amdhsa_exception_fp_denorm_src 0
		.amdhsa_exception_fp_ieee_div_zero 0
		.amdhsa_exception_fp_ieee_overflow 0
		.amdhsa_exception_fp_ieee_underflow 0
		.amdhsa_exception_fp_ieee_inexact 0
		.amdhsa_exception_int_div_zero 0
	.end_amdhsa_kernel
	.section	.text._ZN9rocsparseL30bsrgemm_fill_block_per_row_2x2ILj256ELj16ELj512ELj137EllfEEv20rocsparse_direction_T4_S2_PKS2_S4_NS_24const_host_device_scalarIT5_EEPKT3_S4_PKS6_SA_S4_SC_S7_SA_S4_SC_SA_PS2_PS6_21rocsparse_index_base_SF_SF_SF_bbb,"axG",@progbits,_ZN9rocsparseL30bsrgemm_fill_block_per_row_2x2ILj256ELj16ELj512ELj137EllfEEv20rocsparse_direction_T4_S2_PKS2_S4_NS_24const_host_device_scalarIT5_EEPKT3_S4_PKS6_SA_S4_SC_S7_SA_S4_SC_SA_PS2_PS6_21rocsparse_index_base_SF_SF_SF_bbb,comdat
.Lfunc_end93:
	.size	_ZN9rocsparseL30bsrgemm_fill_block_per_row_2x2ILj256ELj16ELj512ELj137EllfEEv20rocsparse_direction_T4_S2_PKS2_S4_NS_24const_host_device_scalarIT5_EEPKT3_S4_PKS6_SA_S4_SC_S7_SA_S4_SC_SA_PS2_PS6_21rocsparse_index_base_SF_SF_SF_bbb, .Lfunc_end93-_ZN9rocsparseL30bsrgemm_fill_block_per_row_2x2ILj256ELj16ELj512ELj137EllfEEv20rocsparse_direction_T4_S2_PKS2_S4_NS_24const_host_device_scalarIT5_EEPKT3_S4_PKS6_SA_S4_SC_S7_SA_S4_SC_SA_PS2_PS6_21rocsparse_index_base_SF_SF_SF_bbb
                                        ; -- End function
	.section	.AMDGPU.csdata,"",@progbits
; Kernel info:
; codeLenInByte = 4768
; NumSgprs: 50
; NumVgprs: 37
; ScratchSize: 0
; MemoryBound: 0
; FloatMode: 240
; IeeeMode: 1
; LDSByteSize: 0 bytes/workgroup (compile time only)
; SGPRBlocks: 6
; VGPRBlocks: 4
; NumSGPRsForWavesPerEU: 50
; NumVGPRsForWavesPerEU: 37
; Occupancy: 16
; WaveLimiterHint : 1
; COMPUTE_PGM_RSRC2:SCRATCH_EN: 0
; COMPUTE_PGM_RSRC2:USER_SGPR: 15
; COMPUTE_PGM_RSRC2:TRAP_HANDLER: 0
; COMPUTE_PGM_RSRC2:TGID_X_EN: 1
; COMPUTE_PGM_RSRC2:TGID_Y_EN: 0
; COMPUTE_PGM_RSRC2:TGID_Z_EN: 0
; COMPUTE_PGM_RSRC2:TIDIG_COMP_CNT: 0
	.section	.text._ZN9rocsparseL38bsrgemm_block_per_row_atomic_multipassILj256ELj256ELj2EllfEEv20rocsparse_direction_T3_S2_PKS2_S4_NS_24const_host_device_scalarIT4_EEPKT2_S4_PKS6_SA_S4_SC_S7_SA_S4_SC_SA_PS2_PS6_PS8_21rocsparse_index_base_SG_SG_SG_bbb,"axG",@progbits,_ZN9rocsparseL38bsrgemm_block_per_row_atomic_multipassILj256ELj256ELj2EllfEEv20rocsparse_direction_T3_S2_PKS2_S4_NS_24const_host_device_scalarIT4_EEPKT2_S4_PKS6_SA_S4_SC_S7_SA_S4_SC_SA_PS2_PS6_PS8_21rocsparse_index_base_SG_SG_SG_bbb,comdat
	.globl	_ZN9rocsparseL38bsrgemm_block_per_row_atomic_multipassILj256ELj256ELj2EllfEEv20rocsparse_direction_T3_S2_PKS2_S4_NS_24const_host_device_scalarIT4_EEPKT2_S4_PKS6_SA_S4_SC_S7_SA_S4_SC_SA_PS2_PS6_PS8_21rocsparse_index_base_SG_SG_SG_bbb ; -- Begin function _ZN9rocsparseL38bsrgemm_block_per_row_atomic_multipassILj256ELj256ELj2EllfEEv20rocsparse_direction_T3_S2_PKS2_S4_NS_24const_host_device_scalarIT4_EEPKT2_S4_PKS6_SA_S4_SC_S7_SA_S4_SC_SA_PS2_PS6_PS8_21rocsparse_index_base_SG_SG_SG_bbb
	.p2align	8
	.type	_ZN9rocsparseL38bsrgemm_block_per_row_atomic_multipassILj256ELj256ELj2EllfEEv20rocsparse_direction_T3_S2_PKS2_S4_NS_24const_host_device_scalarIT4_EEPKT2_S4_PKS6_SA_S4_SC_S7_SA_S4_SC_SA_PS2_PS6_PS8_21rocsparse_index_base_SG_SG_SG_bbb,@function
_ZN9rocsparseL38bsrgemm_block_per_row_atomic_multipassILj256ELj256ELj2EllfEEv20rocsparse_direction_T3_S2_PKS2_S4_NS_24const_host_device_scalarIT4_EEPKT2_S4_PKS6_SA_S4_SC_S7_SA_S4_SC_SA_PS2_PS6_PS8_21rocsparse_index_base_SG_SG_SG_bbb: ; @_ZN9rocsparseL38bsrgemm_block_per_row_atomic_multipassILj256ELj256ELj2EllfEEv20rocsparse_direction_T3_S2_PKS2_S4_NS_24const_host_device_scalarIT4_EEPKT2_S4_PKS6_SA_S4_SC_S7_SA_S4_SC_SA_PS2_PS6_PS8_21rocsparse_index_base_SG_SG_SG_bbb
; %bb.0:
	s_clause 0x3
	s_load_b32 s3, s[0:1], 0xb0
	s_load_b128 s[28:31], s[0:1], 0xa0
	s_load_b64 s[6:7], s[0:1], 0x28
	s_load_b64 s[4:5], s[0:1], 0x60
	s_mov_b32 s2, s15
	s_waitcnt lgkmcnt(0)
	s_bitcmp1_b32 s3, 0
	s_cselect_b32 s8, -1, 0
	s_bitcmp1_b32 s3, 16
	s_cselect_b32 s9, -1, 0
	s_xor_b32 s10, s8, -1
	s_delay_alu instid0(SALU_CYCLE_1) | instskip(NEXT) | instid1(SALU_CYCLE_1)
	s_or_b32 s10, s10, s9
	s_and_b32 vcc_lo, exec_lo, s10
	s_cbranch_vccnz .LBB94_2
; %bb.1:
	s_load_b32 s6, s[6:7], 0x0
	s_waitcnt lgkmcnt(0)
	v_mov_b32_e32 v33, s6
	s_branch .LBB94_3
.LBB94_2:
	v_cndmask_b32_e64 v33, 0, s6, s8
.LBB94_3:
	s_load_b64 s[6:7], s[0:1], 0x20
	s_bitcmp1_b32 s3, 8
	s_cselect_b32 s33, -1, 0
	s_delay_alu instid0(SALU_CYCLE_1) | instskip(NEXT) | instid1(SALU_CYCLE_1)
	s_xor_b32 s3, s33, -1
	s_or_b32 s3, s3, s9
	s_delay_alu instid0(SALU_CYCLE_1)
	s_and_b32 vcc_lo, exec_lo, s3
	s_cbranch_vccnz .LBB94_5
; %bb.4:
	s_load_b32 s3, s[4:5], 0x0
	s_waitcnt lgkmcnt(0)
	v_mov_b32_e32 v34, s3
	s_branch .LBB94_6
.LBB94_5:
	v_cndmask_b32_e64 v34, 0, s4, s33
.LBB94_6:
	s_load_b64 s[4:5], s[0:1], 0x30
	s_mov_b64 s[34:35], 0
	s_waitcnt lgkmcnt(0)
	s_cmp_eq_u64 s[6:7], 0
	s_mov_b32 s3, 0
	s_cbranch_scc1 .LBB94_8
; %bb.7:
	s_load_b64 s[10:11], s[0:1], 0x18
	s_waitcnt lgkmcnt(0)
	s_load_b64 s[10:11], s[10:11], 0x0
	s_waitcnt lgkmcnt(0)
	s_lshl_b64 s[10:11], s[10:11], 3
	s_delay_alu instid0(SALU_CYCLE_1) | instskip(SKIP_2) | instid1(SALU_CYCLE_1)
	s_add_u32 s6, s6, s10
	s_addc_u32 s7, s7, s11
	s_lshl_b64 s[2:3], s[2:3], 3
	s_add_u32 s2, s6, s2
	s_addc_u32 s3, s7, s3
	s_load_b64 s[2:3], s[2:3], 0x0
.LBB94_8:
	s_and_not1_b32 vcc_lo, exec_lo, s8
	s_cbranch_vccz .LBB94_11
; %bb.9:
	s_and_not1_b32 vcc_lo, exec_lo, s8
	s_mov_b64 s[44:45], 0
	s_cbranch_vccz .LBB94_12
.LBB94_10:
	s_load_b128 s[36:39], s[0:1], 0x8
	s_waitcnt lgkmcnt(0)
	v_cmp_lt_i64_e64 s4, s[36:37], 1
	s_delay_alu instid0(VALU_DEP_1)
	s_and_b32 vcc_lo, exec_lo, s4
	s_cbranch_vccz .LBB94_13
	s_branch .LBB94_98
.LBB94_11:
	s_waitcnt lgkmcnt(0)
	s_lshl_b64 s[6:7], s[2:3], 3
	s_delay_alu instid0(SALU_CYCLE_1)
	s_add_u32 s6, s4, s6
	s_addc_u32 s7, s5, s7
	s_load_b64 s[6:7], s[6:7], 0x0
	s_waitcnt lgkmcnt(0)
	s_sub_u32 s34, s6, s28
	s_subb_u32 s35, s7, 0
	s_and_not1_b32 vcc_lo, exec_lo, s8
	s_mov_b64 s[44:45], 0
	s_cbranch_vccnz .LBB94_10
.LBB94_12:
	s_waitcnt lgkmcnt(0)
	s_lshl_b64 s[6:7], s[2:3], 3
	s_delay_alu instid0(SALU_CYCLE_1)
	s_add_u32 s4, s4, s6
	s_addc_u32 s5, s5, s7
	s_load_b64 s[4:5], s[4:5], 0x8
	s_waitcnt lgkmcnt(0)
	s_sub_u32 s44, s4, s28
	s_subb_u32 s45, s5, 0
	s_load_b128 s[36:39], s[0:1], 0x8
	s_waitcnt lgkmcnt(0)
	v_cmp_lt_i64_e64 s4, s[36:37], 1
	s_delay_alu instid0(VALU_DEP_1)
	s_and_b32 vcc_lo, exec_lo, s4
	s_cbranch_vccnz .LBB94_98
.LBB94_13:
	s_clause 0x4
	s_load_b256 s[12:19], s[0:1], 0x68
	s_load_b64 s[46:47], s[0:1], 0x98
	s_load_b128 s[40:43], s[0:1], 0x88
	s_load_b64 s[48:49], s[0:1], 0x58
	s_load_b256 s[20:27], s[0:1], 0x38
	v_bfe_u32 v7, v0, 1, 1
	s_lshl_b64 s[6:7], s[2:3], 3
	v_dual_mov_b32 v2, 0 :: v_dual_and_b32 v3, 1, v0
	v_lshlrev_b32_e32 v35, 2, v0
	s_delay_alu instid0(VALU_DEP_3) | instskip(SKIP_1) | instid1(VALU_DEP_4)
	v_mad_u64_u32 v[9:10], null, v7, s38, 0
	v_and_b32_e32 v15, 3, v0
	v_mul_lo_u32 v12, v3, s39
	v_mov_b32_e32 v8, v2
	s_load_b32 s9, s[0:1], 0x0
	v_lshrrev_b32_e32 v1, 2, v0
	s_mul_i32 s11, s38, s39
	v_mov_b32_e32 v4, v10
	s_mul_hi_u32 s51, s38, s38
	s_waitcnt lgkmcnt(0)
	s_add_u32 s2, s18, s6
	s_addc_u32 s3, s19, s7
	s_mov_b32 s56, s31
	s_load_b64 s[4:5], s[2:3], 0x0
	v_mad_u64_u32 v[10:11], null, v7, s39, v[4:5]
	v_lshlrev_b32_e32 v5, 2, v3
	v_mul_lo_u32 v11, v3, s38
	v_mov_b32_e32 v4, v2
	v_cmp_gt_i64_e64 s2, s[38:39], v[7:8]
	v_cmp_gt_u64_e32 vcc_lo, s[38:39], v[7:8]
	v_and_b32_e32 v38, 2, v0
	v_lshlrev_b64 v[9:10], 2, v[9:10]
	v_cmp_gt_i64_e64 s3, s[38:39], v[3:4]
	v_cmp_lt_i64_e64 s10, s[34:35], s[44:45]
	v_lshlrev_b64 v[11:12], 2, v[11:12]
	v_cmp_gt_u32_e64 s0, 0x100, v0
	v_cmp_eq_u32_e64 s1, 0, v0
	v_or_b32_e32 v36, 0x1400, v35
	v_dual_mov_b32 v6, v2 :: v_dual_add_nc_u32 v43, 0xff8, v35
	v_or_b32_e32 v41, 0x1000, v35
	v_add_nc_u32_e32 v45, 0xfe0, v35
	s_waitcnt lgkmcnt(0)
	s_sub_u32 s18, s4, s30
	v_add_co_u32 v4, s4, s22, v9
	s_delay_alu instid0(VALU_DEP_1) | instskip(SKIP_1) | instid1(VALU_DEP_2)
	v_add_co_ci_u32_e64 v13, s4, s23, v10, s4
	s_subb_u32 s19, s5, 0
	v_add_co_u32 v4, s4, v4, v5
	s_delay_alu instid0(VALU_DEP_1) | instskip(SKIP_3) | instid1(VALU_DEP_1)
	v_add_co_ci_u32_e64 v37, s4, 0, v13, s4
	s_and_b32 s54, s3, s2
	v_lshlrev_b64 v[13:14], 2, v[7:8]
	v_add_co_u32 v8, s2, s42, v11
	v_add_co_ci_u32_e64 v16, s2, s43, v12, s2
	v_add_co_u32 v17, s2, s42, v9
	s_delay_alu instid0(VALU_DEP_1) | instskip(NEXT) | instid1(VALU_DEP_4)
	v_add_co_ci_u32_e64 v18, s2, s43, v10, s2
	v_add_co_u32 v8, s2, v8, v13
	s_delay_alu instid0(VALU_DEP_1) | instskip(NEXT) | instid1(VALU_DEP_4)
	v_add_co_ci_u32_e64 v16, s2, v16, v14, s2
	v_add_co_u32 v17, s2, v17, v5
	s_delay_alu instid0(VALU_DEP_1) | instskip(SKIP_1) | instid1(VALU_DEP_1)
	v_add_co_ci_u32_e64 v18, s2, 0, v18, s2
	v_add_co_u32 v11, s2, s16, v11
	v_add_co_ci_u32_e64 v12, s2, s17, v12, s2
	v_sub_co_u32 v39, s2, v1, s31
	s_delay_alu instid0(VALU_DEP_1) | instskip(NEXT) | instid1(VALU_DEP_4)
	v_sub_co_ci_u32_e64 v40, null, 0, 0, s2
	v_add_co_u32 v11, s2, v11, v13
	s_delay_alu instid0(VALU_DEP_1)
	v_add_co_ci_u32_e64 v12, s2, v12, v14, s2
	v_add_co_u32 v9, s2, s16, v9
	s_add_i32 s5, s51, s11
	v_add_co_ci_u32_e64 v10, s2, s17, v10, s2
	v_add_co_u32 v13, s31, v0, -1
	s_add_i32 s51, s5, s11
	v_add_co_u32 v9, s2, v9, v5
	s_cmp_eq_u32 s9, 0
	s_delay_alu instid0(VALU_DEP_2)
	v_lshl_add_u32 v42, v13, 2, 0x1000
	s_cselect_b32 s11, -1, 0
	v_dual_mov_b32 v58, 1 :: v_dual_lshlrev_b32 v13, 2, v7
	v_add_co_ci_u32_e64 v10, s2, 0, v10, s2
	v_cndmask_b32_e64 v7, v11, v9, s11
	v_and_b32_e32 v11, 0xfc, v0
	s_delay_alu instid0(VALU_DEP_4)
	v_lshl_or_b32 v9, v1, 4, v13
	v_cndmask_b32_e64 v51, v8, v17, s11
	v_cndmask_b32_e64 v8, v12, v10, s11
	v_mov_b32_e32 v13, 0
	v_or3_b32 v12, v11, v38, v3
	s_cmp_lg_u32 s9, 0
	v_cndmask_b32_e64 v50, v16, v18, s11
	s_cselect_b32 s55, -1, 0
	s_add_u32 s22, s12, s6
	s_addc_u32 s23, s13, s7
	s_and_b32 s58, s3, vcc_lo
	v_add_nc_u32_e32 v53, 0x1400, v9
	s_movk_i32 s11, 0x3f8
	v_add_co_u32 v9, s12, s48, v5
	v_add_co_u32 v54, vcc_lo, v39, 64
	v_cmp_eq_u32_e64 s2, 3, v15
	s_and_b32 s57, s8, s10
	v_add_nc_u32_e32 v44, 0xff0, v35
	v_dual_mov_b32 v15, 0x100 :: v_dual_lshlrev_b32 v56, 2, v12
	v_or_b32_e32 v57, 0x1000, v11
	v_mov_b32_e32 v11, s18
	v_cmp_ne_u32_e64 s3, 0, v0
	v_cmp_lt_u32_e64 s4, 1, v0
	v_cmp_lt_u32_e64 s5, 3, v0
	;; [unrolled: 1-line block ×4, first 2 shown]
	v_add_nc_u32_e32 v46, 0xfc0, v35
	v_cmp_lt_u32_e64 s8, 31, v0
	v_dual_mov_b32 v16, 0 :: v_dual_add_nc_u32 v47, 0xf80, v35
	v_cmp_lt_u32_e64 s9, 63, v0
	v_add_nc_u32_e32 v48, 0xf00, v35
	v_cmp_lt_u32_e64 s10, 0x7f, v0
	v_dual_mov_b32 v12, s19 :: v_dual_add_nc_u32 v49, 0xe00, v35
	s_add_u32 s59, s24, 8
	v_or_b32_e32 v52, 0xffffff00, v0
	v_add_co_ci_u32_e64 v10, null, s49, 0, s12
	v_and_or_b32 v0, v35, s11, 0x1400
	v_add_co_ci_u32_e32 v55, vcc_lo, 0, v40, vcc_lo
	v_mov_b32_e32 v14, 0
	s_mul_i32 s50, s38, s38
	s_addc_u32 s60, s25, 0
	s_add_u32 s61, s40, -8
	s_addc_u32 s62, s41, -1
	s_lshl_b64 s[40:41], s[38:39], 2
	s_lshl_b64 s[42:43], s[50:51], 2
	s_lshl_b64 s[52:53], s[50:51], 8
	s_branch .LBB94_15
.LBB94_14:                              ;   in Loop: Header=BB94_15 Depth=1
	s_or_b32 exec_lo, exec_lo, s11
	s_waitcnt_vscnt null, 0x0
	s_barrier
	buffer_gl0_inv
	ds_load_b64 v[13:14], v2 offset:6144
	v_ashrrev_i32_e32 v15, 31, v16
	v_add_co_u32 v11, vcc_lo, v11, v16
	s_waitcnt lgkmcnt(0)
	s_barrier
	s_delay_alu instid0(VALU_DEP_2) | instskip(SKIP_3) | instid1(VALU_DEP_1)
	v_add_co_ci_u32_e32 v12, vcc_lo, v12, v15, vcc_lo
	buffer_gl0_inv
	v_cmp_le_i64_e32 vcc_lo, s[36:37], v[13:14]
	v_add_co_u32 v15, s11, 0x100, v13
	v_add_co_ci_u32_e64 v16, s11, 0, v14, s11
	s_cbranch_vccnz .LBB94_98
.LBB94_15:                              ; =>This Loop Header: Depth=1
                                        ;     Child Loop BB94_18 Depth 2
                                        ;     Child Loop BB94_24 Depth 2
                                        ;       Child Loop BB94_39 Depth 3
                                        ;         Child Loop BB94_51 Depth 4
                                        ;         Child Loop BB94_47 Depth 4
                                        ;     Child Loop BB94_61 Depth 2
                                        ;     Child Loop BB94_70 Depth 2
	;; [unrolled: 1-line block ×3, first 2 shown]
	s_and_saveexec_b32 s11, s0
	s_cbranch_execz .LBB94_17
; %bb.16:                               ;   in Loop: Header=BB94_15 Depth=1
	ds_store_b32 v41, v2
.LBB94_17:                              ;   in Loop: Header=BB94_15 Depth=1
	s_or_b32 exec_lo, exec_lo, s11
	v_dual_mov_b32 v17, v35 :: v_dual_mov_b32 v18, v52
	s_mov_b32 s11, 0
.LBB94_18:                              ;   Parent Loop BB94_15 Depth=1
                                        ; =>  This Inner Loop Header: Depth=2
	s_delay_alu instid0(VALU_DEP_1) | instskip(SKIP_4) | instid1(SALU_CYCLE_1)
	v_add_nc_u32_e32 v18, 0x100, v18
	ds_store_b32 v17, v2
	v_add_nc_u32_e32 v17, 0x400, v17
	v_cmp_lt_u32_e32 vcc_lo, 0x2ff, v18
	s_or_b32 s11, vcc_lo, s11
	s_and_not1_b32 exec_lo, exec_lo, s11
	s_cbranch_execnz .LBB94_18
; %bb.19:                               ;   in Loop: Header=BB94_15 Depth=1
	s_or_b32 exec_lo, exec_lo, s11
	s_and_saveexec_b32 s11, s1
	s_cbranch_execz .LBB94_21
; %bb.20:                               ;   in Loop: Header=BB94_15 Depth=1
	v_dual_mov_b32 v17, s36 :: v_dual_mov_b32 v18, s37
	ds_store_b64 v2, v[17:18] offset:6144
.LBB94_21:                              ;   in Loop: Header=BB94_15 Depth=1
	s_or_b32 exec_lo, exec_lo, s11
	v_dual_mov_b32 v17, s36 :: v_dual_mov_b32 v18, s37
	s_and_not1_b32 vcc_lo, exec_lo, s57
	s_waitcnt lgkmcnt(0)
	s_barrier
	buffer_gl0_inv
	s_cbranch_vccnz .LBB94_56
; %bb.22:                               ;   in Loop: Header=BB94_15 Depth=1
	v_cmp_ne_u64_e64 s11, 0, v[13:14]
	v_dual_mov_b32 v17, s36 :: v_dual_mov_b32 v18, s37
	s_mov_b64 s[16:17], s[34:35]
	s_branch .LBB94_24
.LBB94_23:                              ;   in Loop: Header=BB94_24 Depth=2
	s_or_b32 exec_lo, exec_lo, s13
	s_add_u32 s16, s16, 64
	s_addc_u32 s17, s17, 0
	s_delay_alu instid0(SALU_CYCLE_1) | instskip(NEXT) | instid1(VALU_DEP_1)
	v_cmp_lt_i64_e64 s12, s[16:17], s[44:45]
	s_and_b32 vcc_lo, exec_lo, s12
	s_cbranch_vccz .LBB94_56
.LBB94_24:                              ;   Parent Loop BB94_15 Depth=1
                                        ; =>  This Loop Header: Depth=2
                                        ;       Child Loop BB94_39 Depth 3
                                        ;         Child Loop BB94_51 Depth 4
                                        ;         Child Loop BB94_47 Depth 4
	v_add_co_u32 v19, s12, s16, v1
	s_delay_alu instid0(VALU_DEP_1) | instskip(NEXT) | instid1(VALU_DEP_1)
	v_add_co_ci_u32_e64 v20, null, s17, 0, s12
	s_waitcnt_vscnt null, 0x0
	s_barrier
	buffer_gl0_inv
	v_cmp_gt_i64_e64 s12, s[44:45], v[19:20]
	s_delay_alu instid0(VALU_DEP_1)
	s_and_saveexec_b32 s13, s12
	s_cbranch_execz .LBB94_28
; %bb.25:                               ;   in Loop: Header=BB94_24 Depth=2
	v_mov_b32_e32 v21, 0
	s_and_saveexec_b32 s18, s58
	s_cbranch_execz .LBB94_27
; %bb.26:                               ;   in Loop: Header=BB94_24 Depth=2
	v_mul_lo_u32 v23, v20, s50
	v_mul_lo_u32 v24, v19, s51
	v_mad_u64_u32 v[21:22], null, v19, s50, 0
	s_delay_alu instid0(VALU_DEP_1) | instskip(NEXT) | instid1(VALU_DEP_1)
	v_add3_u32 v22, v22, v24, v23
	v_lshlrev_b64 v[21:22], 2, v[21:22]
	s_delay_alu instid0(VALU_DEP_1) | instskip(NEXT) | instid1(VALU_DEP_2)
	v_add_co_u32 v21, vcc_lo, v4, v21
	v_add_co_ci_u32_e32 v22, vcc_lo, v37, v22, vcc_lo
	global_load_b32 v21, v[21:22], off
.LBB94_27:                              ;   in Loop: Header=BB94_24 Depth=2
	s_or_b32 exec_lo, exec_lo, s18
	s_waitcnt vmcnt(0)
	ds_store_b32 v36, v21
.LBB94_28:                              ;   in Loop: Header=BB94_24 Depth=2
	s_or_b32 exec_lo, exec_lo, s13
	v_mov_b32_e32 v21, 0
	v_lshlrev_b64 v[19:20], 3, v[19:20]
	v_mov_b32_e32 v22, 0
	s_waitcnt lgkmcnt(0)
	s_barrier
	buffer_gl0_inv
	s_and_saveexec_b32 s63, s12
	s_cbranch_execz .LBB94_54
; %bb.29:                               ;   in Loop: Header=BB94_24 Depth=2
	v_add_co_u32 v21, vcc_lo, s20, v19
	v_add_co_ci_u32_e32 v22, vcc_lo, s21, v20, vcc_lo
	s_and_b32 vcc_lo, exec_lo, s11
	global_load_b64 v[23:24], v[21:22], off
	s_cbranch_vccz .LBB94_31
; %bb.30:                               ;   in Loop: Header=BB94_24 Depth=2
	v_add_co_u32 v21, vcc_lo, s46, v19
	v_add_co_ci_u32_e32 v22, vcc_lo, s47, v20, vcc_lo
	s_mov_b32 s13, 0
	global_load_b64 v[21:22], v[21:22], off
	s_branch .LBB94_32
.LBB94_31:                              ;   in Loop: Header=BB94_24 Depth=2
	s_mov_b32 s13, -1
                                        ; implicit-def: $vgpr21_vgpr22
.LBB94_32:                              ;   in Loop: Header=BB94_24 Depth=2
	s_waitcnt vmcnt(0)
	v_sub_co_u32 v23, vcc_lo, v23, s28
	v_subrev_co_ci_u32_e32 v24, vcc_lo, 0, v24, vcc_lo
	s_and_not1_b32 vcc_lo, exec_lo, s13
	s_delay_alu instid0(VALU_DEP_1)
	v_lshlrev_b64 v[23:24], 3, v[23:24]
	s_cbranch_vccnz .LBB94_34
; %bb.33:                               ;   in Loop: Header=BB94_24 Depth=2
	s_delay_alu instid0(VALU_DEP_1) | instskip(NEXT) | instid1(VALU_DEP_2)
	v_add_co_u32 v21, vcc_lo, s24, v23
	v_add_co_ci_u32_e32 v22, vcc_lo, s25, v24, vcc_lo
	global_load_b64 v[21:22], v[21:22], off
	s_waitcnt vmcnt(0)
	v_sub_co_u32 v21, vcc_lo, v21, s29
	v_subrev_co_ci_u32_e32 v22, vcc_lo, 0, v22, vcc_lo
.LBB94_34:                              ;   in Loop: Header=BB94_24 Depth=2
	s_delay_alu instid0(VALU_DEP_1) | instskip(NEXT) | instid1(VALU_DEP_2)
	v_add_co_u32 v23, vcc_lo, s59, v23
	v_add_co_ci_u32_e32 v24, vcc_lo, s60, v24, vcc_lo
	s_mov_b32 s64, exec_lo
	global_load_b64 v[23:24], v[23:24], off
	s_waitcnt vmcnt(0)
	v_sub_co_u32 v23, vcc_lo, v23, s29
	v_subrev_co_ci_u32_e32 v24, vcc_lo, 0, v24, vcc_lo
	s_delay_alu instid0(VALU_DEP_1)
	v_cmpx_lt_i64_e64 v[21:22], v[23:24]
	s_cbranch_execz .LBB94_53
; %bb.35:                               ;   in Loop: Header=BB94_24 Depth=2
	v_mad_u64_u32 v[29:30], null, s40, v21, v[5:6]
	v_mul_lo_u32 v27, s40, v22
	v_mul_lo_u32 v28, s41, v21
	v_mad_u64_u32 v[25:26], null, s42, v21, v[9:10]
	v_mul_lo_u32 v31, s42, v22
	v_mul_lo_u32 v32, s43, v21
	;; [unrolled: 1-line block ×3, first 2 shown]
	s_mov_b32 s65, 0
	v_add3_u32 v30, v28, v30, v27
	v_mad_u64_u32 v[27:28], null, s38, v29, s[48:49]
	s_delay_alu instid0(VALU_DEP_4) | instskip(NEXT) | instid1(VALU_DEP_3)
	v_add3_u32 v26, v32, v26, v31
	v_mul_lo_u32 v29, s38, v30
	s_delay_alu instid0(VALU_DEP_1)
	v_add3_u32 v28, v59, v28, v29
	v_dual_mov_b32 v30, v22 :: v_dual_mov_b32 v29, v21
	s_branch .LBB94_39
.LBB94_36:                              ;   in Loop: Header=BB94_39 Depth=3
	v_or3_b32 v31, v59, v38, v3
	s_delay_alu instid0(VALU_DEP_1)
	v_dual_mul_f32 v32, v33, v60 :: v_dual_lshlrev_b32 v31, 2, v31
	ds_add_f32 v31, v32
.LBB94_37:                              ;   in Loop: Header=BB94_39 Depth=3
	s_or_b32 exec_lo, exec_lo, s67
	s_delay_alu instid0(SALU_CYCLE_1)
	s_or_b32 s13, s13, exec_lo
.LBB94_38:                              ;   in Loop: Header=BB94_39 Depth=3
	s_or_b32 exec_lo, exec_lo, s66
	v_add_co_u32 v21, vcc_lo, v21, 1
	v_add_co_ci_u32_e32 v22, vcc_lo, 0, v22, vcc_lo
	s_xor_b32 s18, s13, -1
	v_add_co_u32 v27, s13, v27, s42
	s_delay_alu instid0(VALU_DEP_2)
	v_cmp_ge_i64_e32 vcc_lo, v[21:22], v[23:24]
	v_add_co_ci_u32_e64 v28, s13, s43, v28, s13
	s_or_b32 s13, s18, vcc_lo
	v_add_co_u32 v25, vcc_lo, v25, s42
	v_add_co_ci_u32_e32 v26, vcc_lo, s43, v26, vcc_lo
	s_and_b32 s13, exec_lo, s13
	s_delay_alu instid0(SALU_CYCLE_1) | instskip(NEXT) | instid1(SALU_CYCLE_1)
	s_or_b32 s65, s13, s65
	s_and_not1_b32 exec_lo, exec_lo, s65
	s_cbranch_execz .LBB94_52
.LBB94_39:                              ;   Parent Loop BB94_15 Depth=1
                                        ;     Parent Loop BB94_24 Depth=2
                                        ; =>    This Loop Header: Depth=3
                                        ;         Child Loop BB94_51 Depth 4
                                        ;         Child Loop BB94_47 Depth 4
	v_lshlrev_b64 v[31:32], 3, v[21:22]
	s_delay_alu instid0(VALU_DEP_1) | instskip(NEXT) | instid1(VALU_DEP_2)
	v_add_co_u32 v31, vcc_lo, s26, v31
	v_add_co_ci_u32_e32 v32, vcc_lo, s27, v32, vcc_lo
	global_load_b64 v[31:32], v[31:32], off
	s_waitcnt vmcnt(0)
	v_sub_co_u32 v31, vcc_lo, v31, s29
	v_subrev_co_ci_u32_e32 v32, vcc_lo, 0, v32, vcc_lo
	s_delay_alu instid0(VALU_DEP_1) | instskip(SKIP_1) | instid1(VALU_DEP_2)
	v_cmp_lt_i64_e64 s13, v[31:32], v[13:14]
	v_cmp_ge_i64_e32 vcc_lo, v[31:32], v[15:16]
	s_or_b32 s18, s13, vcc_lo
                                        ; implicit-def: $sgpr13
	s_delay_alu instid0(SALU_CYCLE_1) | instskip(NEXT) | instid1(SALU_CYCLE_1)
	s_and_saveexec_b32 s19, s18
	s_xor_b32 s18, exec_lo, s19
	s_cbranch_execz .LBB94_43
; %bb.40:                               ;   in Loop: Header=BB94_39 Depth=3
	s_mov_b32 s19, -1
	s_and_saveexec_b32 s13, vcc_lo
; %bb.41:                               ;   in Loop: Header=BB94_39 Depth=3
	v_cmp_lt_i64_e32 vcc_lo, v[31:32], v[17:18]
	v_dual_mov_b32 v30, v22 :: v_dual_mov_b32 v29, v21
	s_xor_b32 s19, exec_lo, -1
	v_dual_cndmask_b32 v18, v18, v32 :: v_dual_cndmask_b32 v17, v17, v31
; %bb.42:                               ;   in Loop: Header=BB94_39 Depth=3
	s_or_b32 exec_lo, exec_lo, s13
	s_delay_alu instid0(SALU_CYCLE_1)
	s_and_b32 s13, s19, exec_lo
                                        ; implicit-def: $vgpr31_vgpr32
.LBB94_43:                              ;   in Loop: Header=BB94_39 Depth=3
	s_and_not1_saveexec_b32 s66, s18
	s_cbranch_execz .LBB94_38
; %bb.44:                               ;   in Loop: Header=BB94_39 Depth=3
	v_sub_nc_u32_e32 v31, v31, v13
	s_delay_alu instid0(VALU_DEP_1)
	v_lshlrev_b32_e32 v59, 2, v31
	ds_store_b32 v59, v58 offset:4096
	s_and_saveexec_b32 s67, s54
	s_cbranch_execz .LBB94_37
; %bb.45:                               ;   in Loop: Header=BB94_39 Depth=3
	s_and_not1_b32 vcc_lo, exec_lo, s55
	s_cbranch_vccnz .LBB94_49
; %bb.46:                               ;   in Loop: Header=BB94_39 Depth=3
	v_dual_mov_b32 v60, 0 :: v_dual_mov_b32 v61, v53
	v_dual_mov_b32 v32, v28 :: v_dual_mov_b32 v31, v27
	s_mov_b64 s[18:19], s[38:39]
.LBB94_47:                              ;   Parent Loop BB94_15 Depth=1
                                        ;     Parent Loop BB94_24 Depth=2
                                        ;       Parent Loop BB94_39 Depth=3
                                        ; =>      This Inner Loop Header: Depth=4
	global_load_b32 v62, v[31:32], off
	ds_load_b32 v63, v61
	v_add_co_u32 v31, vcc_lo, v31, 4
	v_add_co_ci_u32_e32 v32, vcc_lo, 0, v32, vcc_lo
	s_add_u32 s18, s18, -1
	v_add_nc_u32_e32 v61, 8, v61
	s_addc_u32 s19, s19, -1
	s_delay_alu instid0(SALU_CYCLE_1)
	s_cmp_lg_u64 s[18:19], 0
	s_waitcnt vmcnt(0) lgkmcnt(0)
	v_fmac_f32_e32 v60, v63, v62
	s_cbranch_scc1 .LBB94_47
; %bb.48:                               ;   in Loop: Header=BB94_39 Depth=3
	s_branch .LBB94_36
.LBB94_49:                              ;   in Loop: Header=BB94_39 Depth=3
                                        ; implicit-def: $vgpr60
	s_cbranch_execz .LBB94_36
; %bb.50:                               ;   in Loop: Header=BB94_39 Depth=3
	v_dual_mov_b32 v60, 0 :: v_dual_mov_b32 v61, v0
	v_dual_mov_b32 v32, v26 :: v_dual_mov_b32 v31, v25
	s_mov_b64 s[18:19], s[38:39]
.LBB94_51:                              ;   Parent Loop BB94_15 Depth=1
                                        ;     Parent Loop BB94_24 Depth=2
                                        ;       Parent Loop BB94_39 Depth=3
                                        ; =>      This Inner Loop Header: Depth=4
	global_load_b32 v62, v[31:32], off
	ds_load_b32 v63, v61
	v_add_co_u32 v31, vcc_lo, v31, s40
	s_add_u32 s18, s18, -1
	v_add_co_ci_u32_e32 v32, vcc_lo, s41, v32, vcc_lo
	v_add_nc_u32_e32 v61, 4, v61
	s_addc_u32 s19, s19, -1
	s_delay_alu instid0(SALU_CYCLE_1)
	s_cmp_eq_u64 s[18:19], 0
	s_waitcnt vmcnt(0) lgkmcnt(0)
	v_fmac_f32_e32 v60, v63, v62
	s_cbranch_scc0 .LBB94_51
	s_branch .LBB94_36
.LBB94_52:                              ;   in Loop: Header=BB94_24 Depth=2
	s_or_b32 exec_lo, exec_lo, s65
	v_dual_mov_b32 v21, v29 :: v_dual_mov_b32 v22, v30
.LBB94_53:                              ;   in Loop: Header=BB94_24 Depth=2
	s_or_b32 exec_lo, exec_lo, s64
.LBB94_54:                              ;   in Loop: Header=BB94_24 Depth=2
	s_delay_alu instid0(SALU_CYCLE_1)
	s_or_b32 exec_lo, exec_lo, s63
	s_waitcnt lgkmcnt(0)
	s_barrier
	buffer_gl0_inv
	s_and_saveexec_b32 s13, s12
	s_cbranch_execz .LBB94_23
; %bb.55:                               ;   in Loop: Header=BB94_24 Depth=2
	v_add_co_u32 v19, vcc_lo, s46, v19
	v_add_co_ci_u32_e32 v20, vcc_lo, s47, v20, vcc_lo
	global_store_b64 v[19:20], v[21:22], off
	s_branch .LBB94_23
.LBB94_56:                              ;   in Loop: Header=BB94_15 Depth=1
	s_and_not1_b32 vcc_lo, exec_lo, s33
	s_cbranch_vccnz .LBB94_68
; %bb.57:                               ;   in Loop: Header=BB94_15 Depth=1
	s_load_b128 s[16:19], s[22:23], 0x0
	s_waitcnt lgkmcnt(0)
	v_add_co_u32 v21, vcc_lo, s16, v39
	v_add_co_ci_u32_e32 v22, vcc_lo, s17, v40, vcc_lo
	s_sub_u32 s12, s18, s56
	s_subb_u32 s13, s19, 0
	s_mov_b32 s18, exec_lo
	s_delay_alu instid0(VALU_DEP_1)
	v_cmpx_gt_i64_e64 s[12:13], v[21:22]
	s_cbranch_execz .LBB94_67
; %bb.58:                               ;   in Loop: Header=BB94_15 Depth=1
	v_lshlrev_b64 v[23:24], 3, v[21:22]
	v_mad_u64_u32 v[19:20], null, s42, v21, v[7:8]
	v_mul_lo_u32 v25, s42, v22
	v_mul_lo_u32 v26, s43, v21
	s_delay_alu instid0(VALU_DEP_4) | instskip(SKIP_2) | instid1(VALU_DEP_4)
	v_add_co_u32 v21, vcc_lo, s14, v23
	v_add_co_ci_u32_e32 v22, vcc_lo, s15, v24, vcc_lo
	v_add_co_u32 v23, vcc_lo, v54, s16
	v_add3_u32 v20, v26, v20, v25
	v_add_co_ci_u32_e32 v24, vcc_lo, s17, v55, vcc_lo
	s_mov_b32 s16, 0
	s_branch .LBB94_61
.LBB94_59:                              ;   in Loop: Header=BB94_61 Depth=2
	s_or_b32 exec_lo, exec_lo, s19
	s_delay_alu instid0(SALU_CYCLE_1)
	s_or_b32 s11, s11, exec_lo
.LBB94_60:                              ;   in Loop: Header=BB94_61 Depth=2
	s_or_b32 exec_lo, exec_lo, s17
	v_cmp_le_i64_e32 vcc_lo, s[12:13], v[23:24]
	s_xor_b32 s17, s11, -1
	v_add_co_u32 v21, s11, 0x200, v21
	s_delay_alu instid0(VALU_DEP_1)
	v_add_co_ci_u32_e64 v22, s11, 0, v22, s11
	s_or_b32 s11, s17, vcc_lo
	v_add_co_u32 v19, vcc_lo, v19, s52
	v_add_co_ci_u32_e32 v20, vcc_lo, s53, v20, vcc_lo
	v_add_co_u32 v23, vcc_lo, v23, 64
	v_add_co_ci_u32_e32 v24, vcc_lo, 0, v24, vcc_lo
	s_and_b32 s11, exec_lo, s11
	s_delay_alu instid0(SALU_CYCLE_1) | instskip(NEXT) | instid1(SALU_CYCLE_1)
	s_or_b32 s16, s11, s16
	s_and_not1_b32 exec_lo, exec_lo, s16
	s_cbranch_execz .LBB94_66
.LBB94_61:                              ;   Parent Loop BB94_15 Depth=1
                                        ; =>  This Inner Loop Header: Depth=2
	global_load_b64 v[25:26], v[21:22], off
	s_waitcnt vmcnt(0)
	v_sub_co_u32 v25, vcc_lo, v25, s56
	v_subrev_co_ci_u32_e32 v26, vcc_lo, 0, v26, vcc_lo
	s_delay_alu instid0(VALU_DEP_1)
	v_cmp_lt_i64_e32 vcc_lo, v[25:26], v[15:16]
	v_cmp_lt_i64_e64 s11, v[25:26], v[13:14]
	s_xor_b32 s17, vcc_lo, -1
	s_delay_alu instid0(VALU_DEP_1) | instid1(SALU_CYCLE_1)
	s_or_b32 s17, s11, s17
                                        ; implicit-def: $sgpr11
	s_delay_alu instid0(SALU_CYCLE_1) | instskip(NEXT) | instid1(SALU_CYCLE_1)
	s_and_saveexec_b32 s19, s17
	s_xor_b32 s17, exec_lo, s19
; %bb.62:                               ;   in Loop: Header=BB94_61 Depth=2
	v_cmp_lt_i64_e64 s11, v[25:26], v[17:18]
	s_delay_alu instid0(VALU_DEP_1) | instskip(SKIP_2) | instid1(VALU_DEP_1)
	v_cndmask_b32_e64 v25, v17, v25, s11
	v_cndmask_b32_e64 v26, v18, v26, s11
	s_and_b32 s11, vcc_lo, exec_lo
	v_dual_cndmask_b32 v17, v25, v17 :: v_dual_cndmask_b32 v18, v26, v18
                                        ; implicit-def: $vgpr25
; %bb.63:                               ;   in Loop: Header=BB94_61 Depth=2
	s_and_not1_saveexec_b32 s17, s17
	s_cbranch_execz .LBB94_60
; %bb.64:                               ;   in Loop: Header=BB94_61 Depth=2
	v_sub_nc_u32_e32 v25, v25, v13
	s_delay_alu instid0(VALU_DEP_1)
	v_lshlrev_b32_e32 v25, 2, v25
	ds_store_b32 v25, v58 offset:4096
	s_and_saveexec_b32 s19, s58
	s_cbranch_execz .LBB94_59
; %bb.65:                               ;   in Loop: Header=BB94_61 Depth=2
	global_load_b32 v26, v[19:20], off
	v_or3_b32 v25, v25, v38, v3
	s_waitcnt vmcnt(0)
	s_delay_alu instid0(VALU_DEP_1)
	v_dual_mul_f32 v26, v34, v26 :: v_dual_lshlrev_b32 v25, 2, v25
	ds_add_f32 v25, v26
	s_branch .LBB94_59
.LBB94_66:                              ;   in Loop: Header=BB94_15 Depth=1
	s_or_b32 exec_lo, exec_lo, s16
.LBB94_67:                              ;   in Loop: Header=BB94_15 Depth=1
	s_delay_alu instid0(SALU_CYCLE_1)
	s_or_b32 exec_lo, exec_lo, s18
.LBB94_68:                              ;   in Loop: Header=BB94_15 Depth=1
	s_and_saveexec_b32 s11, s2
	s_cbranch_execz .LBB94_73
; %bb.69:                               ;   in Loop: Header=BB94_15 Depth=1
	s_mov_b32 s16, exec_lo
	s_mov_b64 s[12:13], -1
.LBB94_70:                              ;   Parent Loop BB94_15 Depth=1
                                        ; =>  This Inner Loop Header: Depth=2
	s_ctz_i32_b32 s17, s16
	s_delay_alu instid0(SALU_CYCLE_1) | instskip(SKIP_1) | instid1(VALU_DEP_1)
	v_readlane_b32 s19, v18, s17
	v_readlane_b32 s18, v17, s17
	v_cmp_lt_u64_e64 s63, s[12:13], s[18:19]
	s_delay_alu instid0(VALU_DEP_1) | instskip(SKIP_3) | instid1(SALU_CYCLE_1)
	s_and_b32 s63, s63, exec_lo
	s_cselect_b32 s13, s13, s19
	s_cselect_b32 s12, s12, s18
	s_lshl_b32 s17, 1, s17
	s_and_not1_b32 s16, s16, s17
	s_delay_alu instid0(SALU_CYCLE_1)
	s_cmp_lg_u32 s16, 0
	s_cbranch_scc1 .LBB94_70
; %bb.71:                               ;   in Loop: Header=BB94_15 Depth=1
	v_mbcnt_lo_u32_b32 v15, exec_lo, 0
	s_mov_b32 s16, exec_lo
	s_delay_alu instid0(VALU_DEP_1)
	v_cmpx_eq_u32_e32 0, v15
	s_xor_b32 s16, exec_lo, s16
	s_cbranch_execz .LBB94_73
; %bb.72:                               ;   in Loop: Header=BB94_15 Depth=1
	v_dual_mov_b32 v16, s13 :: v_dual_mov_b32 v15, s12
	ds_min_u64 v2, v[15:16] offset:6144
.LBB94_73:                              ;   in Loop: Header=BB94_15 Depth=1
	s_or_b32 exec_lo, exec_lo, s11
	s_waitcnt lgkmcnt(0)
	s_waitcnt_vscnt null, 0x0
	s_barrier
	buffer_gl0_inv
	ds_load_b32 v15, v41
	s_waitcnt lgkmcnt(0)
	s_barrier
	buffer_gl0_inv
	s_and_saveexec_b32 s11, s3
	s_cbranch_execz .LBB94_75
; %bb.74:                               ;   in Loop: Header=BB94_15 Depth=1
	ds_load_b32 v16, v42
	s_waitcnt lgkmcnt(0)
	v_add_nc_u32_e32 v15, v16, v15
.LBB94_75:                              ;   in Loop: Header=BB94_15 Depth=1
	s_or_b32 exec_lo, exec_lo, s11
	s_barrier
	buffer_gl0_inv
	ds_store_b32 v41, v15
	s_waitcnt lgkmcnt(0)
	s_barrier
	buffer_gl0_inv
	s_and_saveexec_b32 s11, s4
	s_cbranch_execz .LBB94_77
; %bb.76:                               ;   in Loop: Header=BB94_15 Depth=1
	ds_load_b32 v16, v43
	s_waitcnt lgkmcnt(0)
	v_add_nc_u32_e32 v15, v16, v15
.LBB94_77:                              ;   in Loop: Header=BB94_15 Depth=1
	s_or_b32 exec_lo, exec_lo, s11
	s_barrier
	buffer_gl0_inv
	ds_store_b32 v41, v15
	;; [unrolled: 14-line block ×8, first 2 shown]
	s_waitcnt lgkmcnt(0)
	s_barrier
	buffer_gl0_inv
	ds_load_b32 v16, v2 offset:5116
	v_mov_b32_e32 v17, 0
	s_and_saveexec_b32 s11, s31
	s_cbranch_execz .LBB94_91
; %bb.90:                               ;   in Loop: Header=BB94_15 Depth=1
	ds_load_b32 v17, v42
.LBB94_91:                              ;   in Loop: Header=BB94_15 Depth=1
	s_or_b32 exec_lo, exec_lo, s11
	s_waitcnt lgkmcnt(0)
	v_cmp_eq_u32_e32 vcc_lo, v15, v17
	s_barrier
	buffer_gl0_inv
	s_and_b32 s12, s31, vcc_lo
	s_delay_alu instid0(SALU_CYCLE_1)
	s_and_saveexec_b32 s11, s12
	s_cbranch_execz .LBB94_93
; %bb.92:                               ;   in Loop: Header=BB94_15 Depth=1
	ds_store_b32 v41, v2
.LBB94_93:                              ;   in Loop: Header=BB94_15 Depth=1
	s_or_b32 exec_lo, exec_lo, s11
	v_add_co_u32 v15, vcc_lo, v11, -1
	v_add_co_ci_u32_e32 v17, vcc_lo, -1, v12, vcc_lo
	v_add_co_u32 v18, vcc_lo, s30, v13
	v_add_co_ci_u32_e32 v19, vcc_lo, 0, v14, vcc_lo
	v_dual_mov_b32 v20, v57 :: v_dual_mov_b32 v21, v56
	v_dual_mov_b32 v14, v2 :: v_dual_mov_b32 v13, v1
	s_mov_b32 s11, 0
	s_waitcnt lgkmcnt(0)
	s_barrier
	buffer_gl0_inv
	s_branch .LBB94_95
.LBB94_94:                              ;   in Loop: Header=BB94_95 Depth=2
	s_or_b32 exec_lo, exec_lo, s12
	v_add_co_u32 v13, vcc_lo, v13, 64
	v_add_co_ci_u32_e32 v14, vcc_lo, 0, v14, vcc_lo
	v_add_nc_u32_e32 v21, 0x400, v21
	s_delay_alu instid0(VALU_DEP_3) | instskip(SKIP_1) | instid1(VALU_DEP_2)
	v_subrev_nc_u32_e32 v22, 64, v13
	v_add_nc_u32_e32 v20, 0x100, v20
	v_cmp_lt_u32_e32 vcc_lo, 0xbf, v22
	s_or_b32 s11, vcc_lo, s11
	s_delay_alu instid0(SALU_CYCLE_1)
	s_and_not1_b32 exec_lo, exec_lo, s11
	s_cbranch_execz .LBB94_14
.LBB94_95:                              ;   Parent Loop BB94_15 Depth=1
                                        ; =>  This Inner Loop Header: Depth=2
	ds_load_b32 v22, v20
	s_mov_b32 s12, exec_lo
	s_waitcnt lgkmcnt(0)
	v_cmpx_ne_u32_e32 0, v22
	s_cbranch_execz .LBB94_94
; %bb.96:                               ;   in Loop: Header=BB94_95 Depth=2
	v_ashrrev_i32_e32 v23, 31, v22
	v_add_co_u32 v24, vcc_lo, v11, v22
	s_delay_alu instid0(VALU_DEP_2) | instskip(SKIP_2) | instid1(VALU_DEP_3)
	v_add_co_ci_u32_e32 v25, vcc_lo, v12, v23, vcc_lo
	v_add_co_u32 v26, vcc_lo, v18, v13
	v_add_co_ci_u32_e32 v27, vcc_lo, v19, v14, vcc_lo
	v_lshlrev_b64 v[24:25], 3, v[24:25]
	s_delay_alu instid0(VALU_DEP_1) | instskip(NEXT) | instid1(VALU_DEP_2)
	v_add_co_u32 v24, vcc_lo, s61, v24
	v_add_co_ci_u32_e32 v25, vcc_lo, s62, v25, vcc_lo
	global_store_b64 v[24:25], v[26:27], off
	s_and_b32 exec_lo, exec_lo, s58
	s_cbranch_execz .LBB94_94
; %bb.97:                               ;   in Loop: Header=BB94_95 Depth=2
	v_add_co_u32 v24, vcc_lo, v15, v22
	v_add_co_ci_u32_e32 v22, vcc_lo, v17, v23, vcc_lo
	s_delay_alu instid0(VALU_DEP_2) | instskip(NEXT) | instid1(VALU_DEP_2)
	v_mul_lo_u32 v26, v24, s51
	v_mul_lo_u32 v25, v22, s50
	v_mad_u64_u32 v[22:23], null, v24, s50, 0
	ds_load_b32 v24, v21
	v_add3_u32 v23, v23, v26, v25
	s_delay_alu instid0(VALU_DEP_1) | instskip(NEXT) | instid1(VALU_DEP_1)
	v_lshlrev_b64 v[22:23], 2, v[22:23]
	v_add_co_u32 v22, vcc_lo, v51, v22
	s_delay_alu instid0(VALU_DEP_2)
	v_add_co_ci_u32_e32 v23, vcc_lo, v50, v23, vcc_lo
	s_waitcnt lgkmcnt(0)
	global_store_b32 v[22:23], v24, off
	s_branch .LBB94_94
.LBB94_98:
	s_endpgm
	.section	.rodata,"a",@progbits
	.p2align	6, 0x0
	.amdhsa_kernel _ZN9rocsparseL38bsrgemm_block_per_row_atomic_multipassILj256ELj256ELj2EllfEEv20rocsparse_direction_T3_S2_PKS2_S4_NS_24const_host_device_scalarIT4_EEPKT2_S4_PKS6_SA_S4_SC_S7_SA_S4_SC_SA_PS2_PS6_PS8_21rocsparse_index_base_SG_SG_SG_bbb
		.amdhsa_group_segment_fixed_size 6152
		.amdhsa_private_segment_fixed_size 0
		.amdhsa_kernarg_size 180
		.amdhsa_user_sgpr_count 15
		.amdhsa_user_sgpr_dispatch_ptr 0
		.amdhsa_user_sgpr_queue_ptr 0
		.amdhsa_user_sgpr_kernarg_segment_ptr 1
		.amdhsa_user_sgpr_dispatch_id 0
		.amdhsa_user_sgpr_private_segment_size 0
		.amdhsa_wavefront_size32 1
		.amdhsa_uses_dynamic_stack 0
		.amdhsa_enable_private_segment 0
		.amdhsa_system_sgpr_workgroup_id_x 1
		.amdhsa_system_sgpr_workgroup_id_y 0
		.amdhsa_system_sgpr_workgroup_id_z 0
		.amdhsa_system_sgpr_workgroup_info 0
		.amdhsa_system_vgpr_workitem_id 0
		.amdhsa_next_free_vgpr 64
		.amdhsa_next_free_sgpr 68
		.amdhsa_reserve_vcc 1
		.amdhsa_float_round_mode_32 0
		.amdhsa_float_round_mode_16_64 0
		.amdhsa_float_denorm_mode_32 3
		.amdhsa_float_denorm_mode_16_64 3
		.amdhsa_dx10_clamp 1
		.amdhsa_ieee_mode 1
		.amdhsa_fp16_overflow 0
		.amdhsa_workgroup_processor_mode 1
		.amdhsa_memory_ordered 1
		.amdhsa_forward_progress 0
		.amdhsa_shared_vgpr_count 0
		.amdhsa_exception_fp_ieee_invalid_op 0
		.amdhsa_exception_fp_denorm_src 0
		.amdhsa_exception_fp_ieee_div_zero 0
		.amdhsa_exception_fp_ieee_overflow 0
		.amdhsa_exception_fp_ieee_underflow 0
		.amdhsa_exception_fp_ieee_inexact 0
		.amdhsa_exception_int_div_zero 0
	.end_amdhsa_kernel
	.section	.text._ZN9rocsparseL38bsrgemm_block_per_row_atomic_multipassILj256ELj256ELj2EllfEEv20rocsparse_direction_T3_S2_PKS2_S4_NS_24const_host_device_scalarIT4_EEPKT2_S4_PKS6_SA_S4_SC_S7_SA_S4_SC_SA_PS2_PS6_PS8_21rocsparse_index_base_SG_SG_SG_bbb,"axG",@progbits,_ZN9rocsparseL38bsrgemm_block_per_row_atomic_multipassILj256ELj256ELj2EllfEEv20rocsparse_direction_T3_S2_PKS2_S4_NS_24const_host_device_scalarIT4_EEPKT2_S4_PKS6_SA_S4_SC_S7_SA_S4_SC_SA_PS2_PS6_PS8_21rocsparse_index_base_SG_SG_SG_bbb,comdat
.Lfunc_end94:
	.size	_ZN9rocsparseL38bsrgemm_block_per_row_atomic_multipassILj256ELj256ELj2EllfEEv20rocsparse_direction_T3_S2_PKS2_S4_NS_24const_host_device_scalarIT4_EEPKT2_S4_PKS6_SA_S4_SC_S7_SA_S4_SC_SA_PS2_PS6_PS8_21rocsparse_index_base_SG_SG_SG_bbb, .Lfunc_end94-_ZN9rocsparseL38bsrgemm_block_per_row_atomic_multipassILj256ELj256ELj2EllfEEv20rocsparse_direction_T3_S2_PKS2_S4_NS_24const_host_device_scalarIT4_EEPKT2_S4_PKS6_SA_S4_SC_S7_SA_S4_SC_SA_PS2_PS6_PS8_21rocsparse_index_base_SG_SG_SG_bbb
                                        ; -- End function
	.section	.AMDGPU.csdata,"",@progbits
; Kernel info:
; codeLenInByte = 4192
; NumSgprs: 70
; NumVgprs: 64
; ScratchSize: 0
; MemoryBound: 0
; FloatMode: 240
; IeeeMode: 1
; LDSByteSize: 6152 bytes/workgroup (compile time only)
; SGPRBlocks: 8
; VGPRBlocks: 7
; NumSGPRsForWavesPerEU: 70
; NumVGPRsForWavesPerEU: 64
; Occupancy: 16
; WaveLimiterHint : 1
; COMPUTE_PGM_RSRC2:SCRATCH_EN: 0
; COMPUTE_PGM_RSRC2:USER_SGPR: 15
; COMPUTE_PGM_RSRC2:TRAP_HANDLER: 0
; COMPUTE_PGM_RSRC2:TGID_X_EN: 1
; COMPUTE_PGM_RSRC2:TGID_Y_EN: 0
; COMPUTE_PGM_RSRC2:TGID_Z_EN: 0
; COMPUTE_PGM_RSRC2:TIDIG_COMP_CNT: 0
	.section	.text._ZN9rocsparseL23bsrgemm_fill_wf_per_rowILj256ELj64ELj8ELj137ELj4EllfEEv20rocsparse_direction_T5_S2_S2_PKS2_S4_NS_24const_host_device_scalarIT6_EEPKT4_S4_PKS6_SA_S4_SC_S7_SA_S4_SC_SA_PS2_PS6_21rocsparse_index_base_SF_SF_SF_bbb,"axG",@progbits,_ZN9rocsparseL23bsrgemm_fill_wf_per_rowILj256ELj64ELj8ELj137ELj4EllfEEv20rocsparse_direction_T5_S2_S2_PKS2_S4_NS_24const_host_device_scalarIT6_EEPKT4_S4_PKS6_SA_S4_SC_S7_SA_S4_SC_SA_PS2_PS6_21rocsparse_index_base_SF_SF_SF_bbb,comdat
	.globl	_ZN9rocsparseL23bsrgemm_fill_wf_per_rowILj256ELj64ELj8ELj137ELj4EllfEEv20rocsparse_direction_T5_S2_S2_PKS2_S4_NS_24const_host_device_scalarIT6_EEPKT4_S4_PKS6_SA_S4_SC_S7_SA_S4_SC_SA_PS2_PS6_21rocsparse_index_base_SF_SF_SF_bbb ; -- Begin function _ZN9rocsparseL23bsrgemm_fill_wf_per_rowILj256ELj64ELj8ELj137ELj4EllfEEv20rocsparse_direction_T5_S2_S2_PKS2_S4_NS_24const_host_device_scalarIT6_EEPKT4_S4_PKS6_SA_S4_SC_S7_SA_S4_SC_SA_PS2_PS6_21rocsparse_index_base_SF_SF_SF_bbb
	.p2align	8
	.type	_ZN9rocsparseL23bsrgemm_fill_wf_per_rowILj256ELj64ELj8ELj137ELj4EllfEEv20rocsparse_direction_T5_S2_S2_PKS2_S4_NS_24const_host_device_scalarIT6_EEPKT4_S4_PKS6_SA_S4_SC_S7_SA_S4_SC_SA_PS2_PS6_21rocsparse_index_base_SF_SF_SF_bbb,@function
_ZN9rocsparseL23bsrgemm_fill_wf_per_rowILj256ELj64ELj8ELj137ELj4EllfEEv20rocsparse_direction_T5_S2_S2_PKS2_S4_NS_24const_host_device_scalarIT6_EEPKT4_S4_PKS6_SA_S4_SC_S7_SA_S4_SC_SA_PS2_PS6_21rocsparse_index_base_SF_SF_SF_bbb: ; @_ZN9rocsparseL23bsrgemm_fill_wf_per_rowILj256ELj64ELj8ELj137ELj4EllfEEv20rocsparse_direction_T5_S2_S2_PKS2_S4_NS_24const_host_device_scalarIT6_EEPKT4_S4_PKS6_SA_S4_SC_S7_SA_S4_SC_SA_PS2_PS6_21rocsparse_index_base_SF_SF_SF_bbb
; %bb.0:
	s_clause 0x2
	s_load_b32 s6, s[0:1], 0xb0
	s_load_b64 s[4:5], s[0:1], 0x30
	s_load_b64 s[2:3], s[0:1], 0x68
	s_waitcnt lgkmcnt(0)
	s_bitcmp1_b32 s6, 0
	s_cselect_b32 s12, -1, 0
	s_bitcmp1_b32 s6, 16
	s_cselect_b32 s7, -1, 0
	s_xor_b32 s8, s12, -1
	s_delay_alu instid0(SALU_CYCLE_1) | instskip(NEXT) | instid1(SALU_CYCLE_1)
	s_or_b32 s8, s8, s7
	s_and_b32 vcc_lo, exec_lo, s8
	s_cbranch_vccnz .LBB95_2
; %bb.1:
	s_load_b32 s4, s[4:5], 0x0
	s_waitcnt lgkmcnt(0)
	v_mov_b32_e32 v37, s4
	s_branch .LBB95_3
.LBB95_2:
	v_cndmask_b32_e64 v37, 0, s4, s12
.LBB95_3:
	s_load_b128 s[36:39], s[0:1], 0xa0
	s_bitcmp1_b32 s6, 8
	s_cselect_b32 s34, -1, 0
	s_delay_alu instid0(SALU_CYCLE_1) | instskip(NEXT) | instid1(SALU_CYCLE_1)
	s_xor_b32 s4, s34, -1
	s_or_b32 s4, s4, s7
	s_delay_alu instid0(SALU_CYCLE_1)
	s_and_b32 vcc_lo, exec_lo, s4
	s_cbranch_vccnz .LBB95_5
; %bb.4:
	s_load_b32 s2, s[2:3], 0x0
	s_waitcnt lgkmcnt(0)
	v_mov_b32_e32 v35, s2
	s_branch .LBB95_6
.LBB95_5:
	v_cndmask_b32_e64 v35, 0, s2, s34
.LBB95_6:
	s_clause 0x5
	s_load_b128 s[40:43], s[0:1], 0x90
	s_load_b256 s[16:23], s[0:1], 0x70
	s_load_b128 s[44:47], s[0:1], 0x58
	s_load_b256 s[4:11], s[0:1], 0x8
	s_load_b64 s[2:3], s[0:1], 0x28
	s_load_b256 s[24:31], s[0:1], 0x38
	s_movk_i32 s13, 0xc0
	v_and_b32_e32 v3, 63, v0
	v_lshrrev_b32_e32 v33, 6, v0
	v_and_or_b32 v32, v0, s13, 0x800
	s_mov_b32 s13, exec_lo
	s_delay_alu instid0(VALU_DEP_3)
	v_cmpx_gt_u32_e32 8, v3
	s_cbranch_execz .LBB95_8
; %bb.7:
	s_delay_alu instid0(VALU_DEP_2)
	v_lshl_add_u32 v4, v3, 3, v32
	s_waitcnt lgkmcnt(0)
	v_dual_mov_b32 v1, s6 :: v_dual_mov_b32 v2, s7
	ds_store_b64 v4, v[1:2]
.LBB95_8:
	s_or_b32 exec_lo, exec_lo, s13
	v_lshlrev_b32_e32 v34, 9, v33
	v_or_b32_e32 v1, 0xffffffc0, v3
	v_mov_b32_e32 v4, 0
	s_mov_b32 s13, 0
	s_delay_alu instid0(VALU_DEP_3)
	v_lshl_or_b32 v2, v3, 2, v34
.LBB95_9:                               ; =>This Inner Loop Header: Depth=1
	s_delay_alu instid0(VALU_DEP_3) | instskip(NEXT) | instid1(VALU_DEP_1)
	v_add_co_u32 v1, s14, v1, 64
	s_xor_b32 s14, s14, -1
	ds_store_b32 v2, v4
	v_add_nc_u32_e32 v2, 0x100, v2
	s_and_b32 s14, exec_lo, s14
	s_delay_alu instid0(SALU_CYCLE_1) | instskip(NEXT) | instid1(SALU_CYCLE_1)
	s_or_b32 s13, s14, s13
	s_and_not1_b32 exec_lo, exec_lo, s13
	s_cbranch_execnz .LBB95_9
; %bb.10:
	s_or_b32 exec_lo, exec_lo, s13
	v_lshl_or_b32 v1, s15, 2, v33
	v_mov_b32_e32 v2, 0
	s_waitcnt lgkmcnt(0)
	s_barrier
	buffer_gl0_inv
	v_cmp_gt_i64_e32 vcc_lo, s[4:5], v[1:2]
	s_and_saveexec_b32 s4, vcc_lo
	s_cbranch_execz .LBB95_64
; %bb.11:
	s_cmp_eq_u64 s[2:3], 0
	s_cbranch_scc1 .LBB95_13
; %bb.12:
	s_load_b64 s[4:5], s[10:11], 0x0
	v_lshlrev_b64 v[1:2], 3, v[1:2]
	s_waitcnt lgkmcnt(0)
	s_lshl_b64 s[4:5], s[4:5], 3
	s_delay_alu instid0(SALU_CYCLE_1) | instskip(SKIP_1) | instid1(VALU_DEP_1)
	s_add_u32 s2, s2, s4
	s_addc_u32 s3, s3, s5
	v_add_co_u32 v1, vcc_lo, s2, v1
	v_add_co_ci_u32_e32 v2, vcc_lo, s3, v2, vcc_lo
	global_load_b64 v[1:2], v[1:2], off
.LBB95_13:
	s_load_b32 s33, s[0:1], 0x0
	s_waitcnt vmcnt(0)
	v_lshlrev_b64 v[8:9], 3, v[1:2]
	v_lshrrev_b32_e32 v36, 4, v3
	v_and_b32_e32 v6, 3, v0
	v_bfe_u32 v4, v0, 2, 2
	s_and_not1_b32 vcc_lo, exec_lo, s12
	s_mul_i32 s14, s8, s9
	s_mul_hi_u32 s15, s8, s8
	s_mul_i32 s2, s8, s8
	s_cbranch_vccnz .LBB95_41
; %bb.14:
	v_add_co_u32 v0, vcc_lo, s24, v8
	v_add_co_ci_u32_e32 v1, vcc_lo, s25, v9, vcc_lo
	v_sub_co_u32 v5, s0, v36, s36
	s_delay_alu instid0(VALU_DEP_1)
	v_sub_co_ci_u32_e64 v7, null, 0, 0, s0
	global_load_b128 v[0:3], v[0:1], off
	s_mov_b32 s25, 0
	s_mov_b32 s24, exec_lo
	s_waitcnt vmcnt(0)
	v_sub_co_u32 v10, vcc_lo, v2, s36
	v_subrev_co_ci_u32_e32 v11, vcc_lo, 0, v3, vcc_lo
	v_add_co_u32 v12, vcc_lo, v0, v5
	v_add_co_ci_u32_e32 v13, vcc_lo, v1, v7, vcc_lo
	s_delay_alu instid0(VALU_DEP_1)
	v_cmpx_lt_i64_e64 v[12:13], v[10:11]
	s_cbranch_execz .LBB95_40
; %bb.15:
	v_mul_lo_u32 v2, s9, v12
	v_mul_lo_u32 v3, s8, v13
	v_mad_u64_u32 v[0:1], null, s8, v12, 0
	s_waitcnt lgkmcnt(0)
	s_cmp_lg_u32 s33, 0
	v_mul_lo_u32 v16, s2, v13
	s_cselect_b32 s35, -1, 0
	s_add_i32 s0, s15, s14
	v_dual_mov_b32 v7, 0 :: v_dual_lshlrev_b32 v14, 2, v6
	s_add_i32 s3, s0, s14
	v_add3_u32 v1, v1, v3, v2
	v_mul_lo_u32 v15, s3, v12
	v_mad_u64_u32 v[2:3], null, s2, v12, 0
	v_dual_mov_b32 v5, v7 :: v_dual_lshlrev_b32 v18, 2, v4
	s_delay_alu instid0(VALU_DEP_4) | instskip(SKIP_2) | instid1(VALU_DEP_3)
	v_lshlrev_b64 v[0:1], 2, v[0:1]
	v_cmp_gt_i64_e32 vcc_lo, s[8:9], v[6:7]
	s_lshl_b64 s[4:5], s[8:9], 2
	v_cmp_gt_u64_e64 s0, s[8:9], v[4:5]
	v_add3_u32 v3, v3, v16, v15
	v_lshlrev_b32_e32 v5, 4, v4
	v_add_co_u32 v15, s1, v0, v18
	s_delay_alu instid0(VALU_DEP_1) | instskip(NEXT) | instid1(VALU_DEP_4)
	v_add_co_ci_u32_e64 v16, s1, 0, v1, s1
	v_lshlrev_b64 v[0:1], 2, v[2:3]
	s_delay_alu instid0(VALU_DEP_3) | instskip(SKIP_1) | instid1(VALU_DEP_3)
	v_mul_lo_u32 v3, s9, v15
	s_and_b32 s48, vcc_lo, s0
	v_mul_lo_u32 v2, s8, v16
	v_mad_u64_u32 v[16:17], null, s8, v15, s[28:29]
	s_delay_alu instid0(VALU_DEP_4) | instskip(SKIP_2) | instid1(VALU_DEP_3)
	v_add_co_u32 v0, vcc_lo, v0, v18
	v_add_co_ci_u32_e32 v1, vcc_lo, 0, v1, vcc_lo
	v_add_co_u32 v20, s0, s46, v14
	v_add_co_u32 v18, vcc_lo, s28, v0
	v_add3_u32 v5, v34, v14, v5
	v_mov_b32_e32 v15, v7
	v_add_co_ci_u32_e32 v19, vcc_lo, s29, v1, vcc_lo
	v_add3_u32 v17, v3, v17, v2
	v_add_co_ci_u32_e64 v21, null, s47, 0, s0
	s_lshl_b64 s[10:11], s[2:3], 2
	s_lshl_b64 s[12:13], s[2:3], 4
	s_branch .LBB95_17
.LBB95_16:                              ;   in Loop: Header=BB95_17 Depth=1
	s_or_b32 exec_lo, exec_lo, s3
	v_add_co_u32 v12, vcc_lo, v12, 4
	v_add_co_ci_u32_e32 v13, vcc_lo, 0, v13, vcc_lo
	v_add_co_u32 v18, vcc_lo, v18, s12
	v_add_co_ci_u32_e32 v19, vcc_lo, s13, v19, vcc_lo
	s_delay_alu instid0(VALU_DEP_3) | instskip(SKIP_1) | instid1(VALU_DEP_1)
	v_cmp_ge_i64_e32 vcc_lo, v[12:13], v[10:11]
	v_add_co_u32 v16, s0, v16, s12
	v_add_co_ci_u32_e64 v17, s0, s13, v17, s0
	s_or_b32 s25, vcc_lo, s25
	s_delay_alu instid0(SALU_CYCLE_1)
	s_and_not1_b32 exec_lo, exec_lo, s25
	s_cbranch_execz .LBB95_40
.LBB95_17:                              ; =>This Loop Header: Depth=1
                                        ;     Child Loop BB95_20 Depth 2
                                        ;       Child Loop BB95_27 Depth 3
                                        ;       Child Loop BB95_23 Depth 3
	;; [unrolled: 1-line block ×3, first 2 shown]
	v_lshlrev_b64 v[0:1], 3, v[12:13]
	s_mov_b32 s3, exec_lo
	s_delay_alu instid0(VALU_DEP_1) | instskip(NEXT) | instid1(VALU_DEP_2)
	v_add_co_u32 v0, vcc_lo, s26, v0
	v_add_co_ci_u32_e32 v1, vcc_lo, s27, v1, vcc_lo
	global_load_b64 v[0:1], v[0:1], off
	s_waitcnt vmcnt(0)
	v_sub_co_u32 v0, vcc_lo, v0, s36
	v_subrev_co_ci_u32_e32 v1, vcc_lo, 0, v1, vcc_lo
	s_delay_alu instid0(VALU_DEP_1) | instskip(NEXT) | instid1(VALU_DEP_1)
	v_lshlrev_b64 v[0:1], 3, v[0:1]
	v_add_co_u32 v0, vcc_lo, s30, v0
	s_delay_alu instid0(VALU_DEP_2)
	v_add_co_ci_u32_e32 v1, vcc_lo, s31, v1, vcc_lo
	global_load_b128 v[0:3], v[0:1], off
	s_waitcnt vmcnt(0)
	v_cmpx_lt_i64_e64 v[0:1], v[2:3]
	s_cbranch_execz .LBB95_16
; %bb.18:                               ;   in Loop: Header=BB95_17 Depth=1
	v_sub_co_u32 v0, vcc_lo, v0, s37
	v_subrev_co_ci_u32_e32 v1, vcc_lo, 0, v1, vcc_lo
	v_sub_co_u32 v2, vcc_lo, v2, s37
	s_delay_alu instid0(VALU_DEP_3) | instskip(NEXT) | instid1(VALU_DEP_3)
	v_mul_lo_u32 v22, s5, v0
	v_mul_lo_u32 v7, s4, v1
	v_mad_u64_u32 v[24:25], null, s4, v0, v[14:15]
	v_mul_lo_u32 v26, s10, v1
	v_mul_lo_u32 v27, s11, v0
	v_subrev_co_ci_u32_e32 v3, vcc_lo, 0, v3, vcc_lo
	s_mov_b32 s28, 0
	s_delay_alu instid0(VALU_DEP_4) | instskip(SKIP_3) | instid1(VALU_DEP_4)
	v_add3_u32 v7, v22, v25, v7
	v_mul_lo_u32 v28, s9, v24
	v_mad_u64_u32 v[22:23], null, s8, v24, s[46:47]
	v_mad_u64_u32 v[24:25], null, s10, v0, v[20:21]
	v_mul_lo_u32 v7, s8, v7
	s_delay_alu instid0(VALU_DEP_2) | instskip(NEXT) | instid1(VALU_DEP_2)
	v_add3_u32 v25, v27, v25, v26
	v_add3_u32 v23, v28, v23, v7
	s_branch .LBB95_20
.LBB95_19:                              ;   in Loop: Header=BB95_20 Depth=2
	s_or_b32 exec_lo, exec_lo, s29
	v_add_co_u32 v0, vcc_lo, v0, 1
	v_add_co_ci_u32_e32 v1, vcc_lo, 0, v1, vcc_lo
	v_add_co_u32 v22, vcc_lo, v22, s10
	v_add_co_ci_u32_e32 v23, vcc_lo, s11, v23, vcc_lo
	s_delay_alu instid0(VALU_DEP_3) | instskip(SKIP_1) | instid1(VALU_DEP_1)
	v_cmp_ge_i64_e32 vcc_lo, v[0:1], v[2:3]
	v_add_co_u32 v24, s0, v24, s10
	v_add_co_ci_u32_e64 v25, s0, s11, v25, s0
	s_or_b32 s28, vcc_lo, s28
	s_delay_alu instid0(SALU_CYCLE_1)
	s_and_not1_b32 exec_lo, exec_lo, s28
	s_cbranch_execz .LBB95_16
.LBB95_20:                              ;   Parent Loop BB95_17 Depth=1
                                        ; =>  This Loop Header: Depth=2
                                        ;       Child Loop BB95_27 Depth 3
                                        ;       Child Loop BB95_23 Depth 3
                                        ;       Child Loop BB95_30 Depth 3
	s_and_saveexec_b32 s29, s48
	s_cbranch_execz .LBB95_19
; %bb.21:                               ;   in Loop: Header=BB95_20 Depth=2
	v_lshlrev_b64 v[26:27], 3, v[0:1]
	s_delay_alu instid0(VALU_DEP_1) | instskip(NEXT) | instid1(VALU_DEP_2)
	v_add_co_u32 v26, vcc_lo, s44, v26
	v_add_co_ci_u32_e32 v27, vcc_lo, s45, v27, vcc_lo
	s_and_not1_b32 vcc_lo, exec_lo, s35
	global_load_b64 v[26:27], v[26:27], off
	s_cbranch_vccnz .LBB95_25
; %bb.22:                               ;   in Loop: Header=BB95_20 Depth=2
	v_mov_b32_e32 v29, v19
	v_dual_mov_b32 v31, v23 :: v_dual_mov_b32 v30, v22
	v_dual_mov_b32 v7, 0 :: v_dual_mov_b32 v28, v18
	s_mov_b64 s[0:1], s[8:9]
.LBB95_23:                              ;   Parent Loop BB95_17 Depth=1
                                        ;     Parent Loop BB95_20 Depth=2
                                        ; =>    This Inner Loop Header: Depth=3
	global_load_b32 v38, v[28:29], off
	global_load_b32 v39, v[30:31], off
	v_add_co_u32 v30, vcc_lo, v30, 4
	v_add_co_ci_u32_e32 v31, vcc_lo, 0, v31, vcc_lo
	v_add_co_u32 v28, vcc_lo, v28, s4
	s_add_u32 s0, s0, -1
	v_add_co_ci_u32_e32 v29, vcc_lo, s5, v29, vcc_lo
	s_addc_u32 s1, s1, -1
	s_delay_alu instid0(SALU_CYCLE_1)
	s_cmp_lg_u64 s[0:1], 0
	s_waitcnt vmcnt(0)
	v_fmac_f32_e32 v7, v38, v39
	s_cbranch_scc1 .LBB95_23
; %bb.24:                               ;   in Loop: Header=BB95_20 Depth=2
	s_branch .LBB95_28
.LBB95_25:                              ;   in Loop: Header=BB95_20 Depth=2
                                        ; implicit-def: $vgpr7
	s_cbranch_execz .LBB95_28
; %bb.26:                               ;   in Loop: Header=BB95_20 Depth=2
	v_mov_b32_e32 v29, v25
	v_dual_mov_b32 v31, v17 :: v_dual_mov_b32 v30, v16
	v_dual_mov_b32 v7, 0 :: v_dual_mov_b32 v28, v24
	s_mov_b64 s[0:1], s[8:9]
.LBB95_27:                              ;   Parent Loop BB95_17 Depth=1
                                        ;     Parent Loop BB95_20 Depth=2
                                        ; =>    This Inner Loop Header: Depth=3
	global_load_b32 v38, v[30:31], off
	global_load_b32 v39, v[28:29], off
	v_add_co_u32 v30, vcc_lo, v30, 4
	v_add_co_ci_u32_e32 v31, vcc_lo, 0, v31, vcc_lo
	v_add_co_u32 v28, vcc_lo, v28, s4
	s_add_u32 s0, s0, -1
	v_add_co_ci_u32_e32 v29, vcc_lo, s5, v29, vcc_lo
	s_addc_u32 s1, s1, -1
	s_delay_alu instid0(SALU_CYCLE_1)
	s_cmp_eq_u64 s[0:1], 0
	s_waitcnt vmcnt(0)
	v_fmac_f32_e32 v7, v38, v39
	s_cbranch_scc0 .LBB95_27
.LBB95_28:                              ;   in Loop: Header=BB95_20 Depth=2
	s_waitcnt vmcnt(0)
	v_sub_co_u32 v26, vcc_lo, v26, s37
	v_subrev_co_ci_u32_e32 v27, vcc_lo, 0, v27, vcc_lo
	s_delay_alu instid0(VALU_DEP_2)
	v_dual_mul_f32 v7, v37, v7 :: v_dual_and_b32 v30, 7, v26
	s_mov_b32 s0, 0
	s_branch .LBB95_30
.LBB95_29:                              ;   in Loop: Header=BB95_30 Depth=3
	s_or_b32 exec_lo, exec_lo, s1
	s_xor_b32 s1, s49, -1
	s_delay_alu instid0(SALU_CYCLE_1) | instskip(NEXT) | instid1(SALU_CYCLE_1)
	s_and_b32 s1, exec_lo, s1
	s_or_b32 s0, s1, s0
	s_delay_alu instid0(SALU_CYCLE_1)
	s_and_not1_b32 exec_lo, exec_lo, s0
	s_cbranch_execz .LBB95_19
.LBB95_30:                              ;   Parent Loop BB95_17 Depth=1
                                        ;     Parent Loop BB95_20 Depth=2
                                        ; =>    This Inner Loop Header: Depth=3
	s_delay_alu instid0(VALU_DEP_1)
	v_lshl_add_u32 v31, v30, 3, v32
	s_mov_b32 s1, exec_lo
                                        ; implicit-def: $sgpr49
	ds_load_b64 v[28:29], v31
	s_waitcnt lgkmcnt(0)
	v_cmpx_ne_u64_e64 v[28:29], v[26:27]
	s_xor_b32 s1, exec_lo, s1
	s_cbranch_execz .LBB95_38
; %bb.31:                               ;   in Loop: Header=BB95_30 Depth=3
	s_mov_b32 s50, exec_lo
                                        ; implicit-def: $sgpr49
	v_cmpx_ne_u64_e64 s[6:7], v[28:29]
	s_xor_b32 s50, exec_lo, s50
; %bb.32:                               ;   in Loop: Header=BB95_30 Depth=3
	v_add_nc_u32_e32 v28, 1, v30
	s_mov_b32 s49, -1
                                        ; implicit-def: $vgpr31
	s_delay_alu instid0(VALU_DEP_1)
	v_and_b32_e32 v30, 7, v28
; %bb.33:                               ;   in Loop: Header=BB95_30 Depth=3
	s_and_not1_saveexec_b32 s50, s50
	s_cbranch_execz .LBB95_37
; %bb.34:                               ;   in Loop: Header=BB95_30 Depth=3
	v_dual_mov_b32 v29, s7 :: v_dual_mov_b32 v28, s6
	s_mov_b32 s51, -1
	s_mov_b32 s52, exec_lo
	ds_cmpstore_rtn_b64 v[28:29], v31, v[26:27], v[28:29]
	s_waitcnt lgkmcnt(0)
	v_cmpx_eq_u64_e64 s[6:7], v[28:29]
	s_cbranch_execz .LBB95_36
; %bb.35:                               ;   in Loop: Header=BB95_30 Depth=3
	v_lshl_add_u32 v28, v30, 6, v5
	s_xor_b32 s51, exec_lo, -1
	ds_add_f32 v28, v7
.LBB95_36:                              ;   in Loop: Header=BB95_30 Depth=3
	s_or_b32 exec_lo, exec_lo, s52
	s_delay_alu instid0(SALU_CYCLE_1) | instskip(SKIP_1) | instid1(SALU_CYCLE_1)
	s_and_not1_b32 s49, s49, exec_lo
	s_and_b32 s51, s51, exec_lo
	s_or_b32 s49, s49, s51
.LBB95_37:                              ;   in Loop: Header=BB95_30 Depth=3
	s_or_b32 exec_lo, exec_lo, s50
	s_delay_alu instid0(SALU_CYCLE_1)
	s_and_b32 s49, s49, exec_lo
.LBB95_38:                              ;   in Loop: Header=BB95_30 Depth=3
	s_and_not1_saveexec_b32 s1, s1
	s_cbranch_execz .LBB95_29
; %bb.39:                               ;   in Loop: Header=BB95_30 Depth=3
	v_lshl_add_u32 v28, v30, 6, v5
	s_and_not1_b32 s49, s49, exec_lo
	ds_add_f32 v28, v7
	s_branch .LBB95_29
.LBB95_40:
	s_or_b32 exec_lo, exec_lo, s24
.LBB95_41:
	s_delay_alu instid0(SALU_CYCLE_1)
	s_and_not1_b32 vcc_lo, exec_lo, s34
	s_waitcnt lgkmcnt(0)
	s_barrier
	buffer_gl0_inv
	s_cbranch_vccnz .LBB95_59
; %bb.42:
	v_add_co_u32 v0, vcc_lo, s16, v8
	v_add_co_ci_u32_e32 v1, vcc_lo, s17, v9, vcc_lo
	v_sub_co_u32 v2, s0, v36, s39
	s_delay_alu instid0(VALU_DEP_1)
	v_sub_co_ci_u32_e64 v3, null, 0, 0, s0
	global_load_b128 v[10:13], v[0:1], off
	s_mov_b32 s3, 0
	s_mov_b32 s4, exec_lo
	s_waitcnt vmcnt(0)
	v_sub_co_u32 v0, vcc_lo, v12, s39
	v_subrev_co_ci_u32_e32 v1, vcc_lo, 0, v13, vcc_lo
	v_add_co_u32 v2, vcc_lo, v10, v2
	v_add_co_ci_u32_e32 v3, vcc_lo, v11, v3, vcc_lo
	s_delay_alu instid0(VALU_DEP_1)
	v_cmpx_lt_i64_e64 v[2:3], v[0:1]
	s_cbranch_execz .LBB95_58
; %bb.43:
	v_mad_u64_u32 v[10:11], null, v6, s8, 0
	v_mad_u64_u32 v[12:13], null, v4, s8, 0
	v_lshlrev_b32_e32 v17, 4, v4
	s_cmp_eq_u32 s33, 0
	s_mov_b32 s5, s39
	s_cselect_b32 s1, -1, 0
	s_delay_alu instid0(VALU_DEP_3) | instskip(NEXT) | instid1(VALU_DEP_3)
	v_dual_mov_b32 v5, v11 :: v_dual_lshlrev_b32 v16, 2, v6
	v_mov_b32_e32 v7, v13
	s_add_i32 s10, s15, s14
	s_delay_alu instid0(VALU_DEP_2) | instskip(NEXT) | instid1(VALU_DEP_2)
	v_mad_u64_u32 v[13:14], null, v6, s9, v[5:6]
	v_mad_u64_u32 v[14:15], null, v4, s9, v[7:8]
	v_mov_b32_e32 v7, 0
	s_delay_alu instid0(VALU_DEP_3) | instskip(NEXT) | instid1(VALU_DEP_2)
	v_mov_b32_e32 v11, v13
	v_mov_b32_e32 v5, v7
	s_delay_alu instid0(VALU_DEP_4) | instskip(SKIP_1) | instid1(VALU_DEP_4)
	v_mov_b32_e32 v13, v14
	v_cmp_gt_i64_e32 vcc_lo, s[8:9], v[6:7]
	v_lshlrev_b64 v[10:11], 2, v[10:11]
	s_delay_alu instid0(VALU_DEP_4) | instskip(NEXT) | instid1(VALU_DEP_4)
	v_lshlrev_b64 v[14:15], 2, v[4:5]
	v_lshlrev_b64 v[12:13], 2, v[12:13]
	s_delay_alu instid0(VALU_DEP_3) | instskip(NEXT) | instid1(VALU_DEP_1)
	v_add_co_u32 v7, s0, s20, v10
	v_add_co_ci_u32_e64 v10, s0, s21, v11, s0
	s_delay_alu instid0(VALU_DEP_3) | instskip(NEXT) | instid1(VALU_DEP_1)
	v_add_co_u32 v11, s0, s20, v12
	v_add_co_ci_u32_e64 v12, s0, s21, v13, s0
	s_delay_alu instid0(VALU_DEP_4) | instskip(NEXT) | instid1(VALU_DEP_1)
	v_add_co_u32 v13, s0, v7, v14
	v_add_co_ci_u32_e64 v10, s0, v10, v15, s0
	s_delay_alu instid0(VALU_DEP_4) | instskip(NEXT) | instid1(VALU_DEP_1)
	v_add_co_u32 v11, s0, v11, v16
	v_add_co_ci_u32_e64 v12, s0, 0, v12, s0
	v_cmp_gt_u64_e64 s0, s[8:9], v[4:5]
	v_add3_u32 v7, v34, v16, v17
	s_delay_alu instid0(VALU_DEP_4) | instskip(NEXT) | instid1(VALU_DEP_4)
	v_cndmask_b32_e64 v14, v13, v11, s1
	v_cndmask_b32_e64 v5, v10, v12, s1
	s_add_i32 s1, s10, s14
	s_delay_alu instid0(VALU_DEP_4)
	s_and_b32 s0, vcc_lo, s0
	s_branch .LBB95_45
.LBB95_44:                              ;   in Loop: Header=BB95_45 Depth=1
	s_or_b32 exec_lo, exec_lo, s10
	v_add_co_u32 v2, vcc_lo, v2, 4
	v_add_co_ci_u32_e32 v3, vcc_lo, 0, v3, vcc_lo
	s_delay_alu instid0(VALU_DEP_1) | instskip(SKIP_1) | instid1(SALU_CYCLE_1)
	v_cmp_ge_i64_e32 vcc_lo, v[2:3], v[0:1]
	s_or_b32 s3, vcc_lo, s3
	s_and_not1_b32 exec_lo, exec_lo, s3
	s_cbranch_execz .LBB95_58
.LBB95_45:                              ; =>This Loop Header: Depth=1
                                        ;     Child Loop BB95_48 Depth 2
	s_and_saveexec_b32 s10, s0
	s_cbranch_execz .LBB95_44
; %bb.46:                               ;   in Loop: Header=BB95_45 Depth=1
	v_mul_lo_u32 v12, s1, v2
	v_mul_lo_u32 v13, s2, v3
	v_mad_u64_u32 v[10:11], null, s2, v2, 0
	s_mov_b32 s11, 0
	s_delay_alu instid0(VALU_DEP_1) | instskip(SKIP_1) | instid1(VALU_DEP_2)
	v_add3_u32 v11, v11, v13, v12
	v_lshlrev_b64 v[12:13], 3, v[2:3]
	v_lshlrev_b64 v[10:11], 2, v[10:11]
	s_delay_alu instid0(VALU_DEP_2) | instskip(NEXT) | instid1(VALU_DEP_3)
	v_add_co_u32 v12, vcc_lo, s18, v12
	v_add_co_ci_u32_e32 v13, vcc_lo, s19, v13, vcc_lo
	s_delay_alu instid0(VALU_DEP_3) | instskip(NEXT) | instid1(VALU_DEP_4)
	v_add_co_u32 v10, vcc_lo, v14, v10
	v_add_co_ci_u32_e32 v11, vcc_lo, v5, v11, vcc_lo
	global_load_b64 v[12:13], v[12:13], off
	global_load_b32 v15, v[10:11], off
	s_waitcnt vmcnt(1)
	v_sub_co_u32 v10, vcc_lo, v12, s5
	v_subrev_co_ci_u32_e32 v11, vcc_lo, 0, v13, vcc_lo
	s_waitcnt vmcnt(0)
	s_delay_alu instid0(VALU_DEP_2)
	v_dual_mul_f32 v15, v35, v15 :: v_dual_and_b32 v16, 7, v10
	s_branch .LBB95_48
.LBB95_47:                              ;   in Loop: Header=BB95_48 Depth=2
	s_or_b32 exec_lo, exec_lo, s12
	s_xor_b32 s12, s13, -1
	s_delay_alu instid0(SALU_CYCLE_1) | instskip(NEXT) | instid1(SALU_CYCLE_1)
	s_and_b32 s12, exec_lo, s12
	s_or_b32 s11, s12, s11
	s_delay_alu instid0(SALU_CYCLE_1)
	s_and_not1_b32 exec_lo, exec_lo, s11
	s_cbranch_execz .LBB95_44
.LBB95_48:                              ;   Parent Loop BB95_45 Depth=1
                                        ; =>  This Inner Loop Header: Depth=2
	s_delay_alu instid0(VALU_DEP_1)
	v_lshl_add_u32 v17, v16, 3, v32
	s_mov_b32 s12, exec_lo
                                        ; implicit-def: $sgpr13
	ds_load_b64 v[12:13], v17
	s_waitcnt lgkmcnt(0)
	v_cmpx_ne_u64_e64 v[12:13], v[10:11]
	s_xor_b32 s12, exec_lo, s12
	s_cbranch_execz .LBB95_56
; %bb.49:                               ;   in Loop: Header=BB95_48 Depth=2
	s_mov_b32 s16, exec_lo
                                        ; implicit-def: $sgpr13
	v_cmpx_ne_u64_e64 s[6:7], v[12:13]
	s_xor_b32 s16, exec_lo, s16
; %bb.50:                               ;   in Loop: Header=BB95_48 Depth=2
	v_add_nc_u32_e32 v12, 1, v16
	s_mov_b32 s13, -1
                                        ; implicit-def: $vgpr17
	s_delay_alu instid0(VALU_DEP_1)
	v_and_b32_e32 v16, 7, v12
; %bb.51:                               ;   in Loop: Header=BB95_48 Depth=2
	s_and_not1_saveexec_b32 s16, s16
	s_cbranch_execz .LBB95_55
; %bb.52:                               ;   in Loop: Header=BB95_48 Depth=2
	v_dual_mov_b32 v13, s7 :: v_dual_mov_b32 v12, s6
	s_mov_b32 s17, -1
	s_mov_b32 s20, exec_lo
	ds_cmpstore_rtn_b64 v[12:13], v17, v[10:11], v[12:13]
	s_waitcnt lgkmcnt(0)
	v_cmpx_eq_u64_e64 s[6:7], v[12:13]
	s_cbranch_execz .LBB95_54
; %bb.53:                               ;   in Loop: Header=BB95_48 Depth=2
	v_lshl_add_u32 v12, v16, 6, v7
	s_xor_b32 s17, exec_lo, -1
	ds_add_f32 v12, v15
.LBB95_54:                              ;   in Loop: Header=BB95_48 Depth=2
	s_or_b32 exec_lo, exec_lo, s20
	s_delay_alu instid0(SALU_CYCLE_1) | instskip(SKIP_1) | instid1(SALU_CYCLE_1)
	s_and_not1_b32 s13, s13, exec_lo
	s_and_b32 s17, s17, exec_lo
	s_or_b32 s13, s13, s17
.LBB95_55:                              ;   in Loop: Header=BB95_48 Depth=2
	s_or_b32 exec_lo, exec_lo, s16
	s_delay_alu instid0(SALU_CYCLE_1)
	s_and_b32 s13, s13, exec_lo
.LBB95_56:                              ;   in Loop: Header=BB95_48 Depth=2
	s_and_not1_saveexec_b32 s12, s12
	s_cbranch_execz .LBB95_47
; %bb.57:                               ;   in Loop: Header=BB95_48 Depth=2
	v_lshl_add_u32 v12, v16, 6, v7
	s_and_not1_b32 s13, s13, exec_lo
	ds_add_f32 v12, v15
	s_branch .LBB95_47
.LBB95_58:
	s_or_b32 exec_lo, exec_lo, s4
.LBB95_59:
	v_add_co_u32 v0, vcc_lo, s22, v8
	v_add_co_ci_u32_e32 v1, vcc_lo, s23, v9, vcc_lo
	s_waitcnt lgkmcnt(0)
	s_barrier
	buffer_gl0_inv
	global_load_b64 v[0:1], v[0:1], off
	v_mad_u64_u32 v[2:3], null, v4, s8, 0
	s_cmp_eq_u32 s33, 0
	v_lshlrev_b32_e32 v11, 2, v6
	s_cselect_b32 vcc_lo, -1, 0
	v_lshlrev_b32_e32 v13, 6, v33
	v_or_b32_e32 v8, -4, v36
	s_add_i32 s3, s15, s14
	s_delay_alu instid0(VALU_DEP_4) | instskip(SKIP_3) | instid1(VALU_DEP_2)
	v_mad_u64_u32 v[9:10], null, v4, s9, v[3:4]
	v_dual_cndmask_b32 v10, v6, v4 :: v_dual_cndmask_b32 v3, v4, v6
	v_dual_mov_b32 v7, 0 :: v_dual_lshlrev_b32 v14, 3, v36
	s_add_i32 s3, s3, s14
	v_dual_mov_b32 v3, v9 :: v_dual_lshlrev_b32 v12, 2, v3
	s_delay_alu instid0(VALU_DEP_2) | instskip(SKIP_1) | instid1(VALU_DEP_3)
	v_mov_b32_e32 v5, v7
	v_cmp_gt_i64_e32 vcc_lo, s[8:9], v[6:7]
	v_lshl_or_b32 v9, v36, 6, v12
	s_delay_alu instid0(VALU_DEP_4) | instskip(NEXT) | instid1(VALU_DEP_4)
	v_lshlrev_b64 v[2:3], 2, v[2:3]
	v_cmp_gt_u64_e64 s0, s[8:9], v[4:5]
	s_delay_alu instid0(VALU_DEP_3) | instskip(SKIP_1) | instid1(VALU_DEP_4)
	v_lshl_or_b32 v4, v10, 4, v9
	v_or3_b32 v10, v13, v14, 0x800
	v_add_co_u32 v2, s1, s42, v2
	s_delay_alu instid0(VALU_DEP_1) | instskip(NEXT) | instid1(VALU_DEP_4)
	v_add_co_ci_u32_e64 v3, s1, s43, v3, s1
	v_add_nc_u32_e32 v4, v34, v4
	s_delay_alu instid0(VALU_DEP_3) | instskip(NEXT) | instid1(VALU_DEP_1)
	v_add_co_u32 v5, s1, v2, v11
	v_add_co_ci_u32_e64 v6, s1, 0, v3, s1
	s_and_b32 s0, vcc_lo, s0
	s_waitcnt vmcnt(0)
	v_sub_co_u32 v7, s1, v0, s38
	s_delay_alu instid0(VALU_DEP_1)
	v_subrev_co_ci_u32_e64 v9, s1, 0, v1, s1
	s_mov_b32 s1, 0
	s_branch .LBB95_61
.LBB95_60:                              ;   in Loop: Header=BB95_61 Depth=1
	s_or_b32 exec_lo, exec_lo, s4
	v_add_co_u32 v8, s4, v8, 4
	s_delay_alu instid0(VALU_DEP_1) | instskip(SKIP_3) | instid1(SALU_CYCLE_1)
	s_xor_b32 s4, s4, -1
	v_add_nc_u32_e32 v4, 0x100, v4
	v_add_nc_u32_e32 v10, 32, v10
	s_and_b32 s4, exec_lo, s4
	s_or_b32 s1, s4, s1
	s_delay_alu instid0(SALU_CYCLE_1)
	s_and_not1_b32 exec_lo, exec_lo, s1
	s_cbranch_execz .LBB95_64
.LBB95_61:                              ; =>This Inner Loop Header: Depth=1
	ds_load_b64 v[0:1], v10
	s_mov_b32 s4, exec_lo
	s_waitcnt lgkmcnt(0)
	v_cmpx_gt_i64_e64 s[6:7], v[0:1]
	s_cbranch_execz .LBB95_60
; %bb.62:                               ;   in Loop: Header=BB95_61 Depth=1
	ds_load_b128 v[11:14], v32
	ds_load_b128 v[15:18], v32 offset:16
	ds_load_b128 v[19:22], v32 offset:32
	;; [unrolled: 1-line block ×3, first 2 shown]
	s_waitcnt lgkmcnt(3)
	v_cmp_gt_i64_e32 vcc_lo, v[0:1], v[11:12]
	v_cndmask_b32_e64 v2, 0, 1, vcc_lo
	v_cmp_gt_i64_e32 vcc_lo, v[0:1], v[13:14]
	v_cndmask_b32_e64 v3, 0, 1, vcc_lo
	s_delay_alu instid0(VALU_DEP_3)
	v_add_co_u32 v2, vcc_lo, v7, v2
	v_add_co_ci_u32_e32 v11, vcc_lo, 0, v9, vcc_lo
	s_waitcnt lgkmcnt(2)
	v_cmp_gt_i64_e32 vcc_lo, v[0:1], v[15:16]
	v_cndmask_b32_e64 v12, 0, 1, vcc_lo
	v_add_co_u32 v2, vcc_lo, v2, v3
	v_add_co_ci_u32_e32 v3, vcc_lo, 0, v11, vcc_lo
	v_cmp_gt_i64_e32 vcc_lo, v[0:1], v[17:18]
	v_cndmask_b32_e64 v11, 0, 1, vcc_lo
	s_delay_alu instid0(VALU_DEP_4) | instskip(NEXT) | instid1(VALU_DEP_4)
	v_add_co_u32 v2, vcc_lo, v2, v12
	v_add_co_ci_u32_e32 v3, vcc_lo, 0, v3, vcc_lo
	s_waitcnt lgkmcnt(1)
	v_cmp_gt_i64_e32 vcc_lo, v[0:1], v[19:20]
	v_cndmask_b32_e64 v12, 0, 1, vcc_lo
	v_add_co_u32 v2, vcc_lo, v2, v11
	v_add_co_ci_u32_e32 v3, vcc_lo, 0, v3, vcc_lo
	v_cmp_gt_i64_e32 vcc_lo, v[0:1], v[21:22]
	v_cndmask_b32_e64 v11, 0, 1, vcc_lo
	s_delay_alu instid0(VALU_DEP_4) | instskip(NEXT) | instid1(VALU_DEP_4)
	;; [unrolled: 10-line block ×3, first 2 shown]
	v_add_co_u32 v2, vcc_lo, v2, v12
	v_add_co_ci_u32_e32 v3, vcc_lo, 0, v3, vcc_lo
	s_delay_alu instid0(VALU_DEP_2) | instskip(NEXT) | instid1(VALU_DEP_2)
	v_add_co_u32 v2, vcc_lo, v2, v11
	v_add_co_ci_u32_e32 v3, vcc_lo, 0, v3, vcc_lo
	v_add_co_u32 v0, vcc_lo, v0, s38
	v_add_co_ci_u32_e32 v1, vcc_lo, 0, v1, vcc_lo
	s_delay_alu instid0(VALU_DEP_3) | instskip(NEXT) | instid1(VALU_DEP_1)
	v_lshlrev_b64 v[11:12], 3, v[2:3]
	v_add_co_u32 v11, vcc_lo, s40, v11
	s_delay_alu instid0(VALU_DEP_2)
	v_add_co_ci_u32_e32 v12, vcc_lo, s41, v12, vcc_lo
	global_store_b64 v[11:12], v[0:1], off
	s_and_b32 exec_lo, exec_lo, s0
	s_cbranch_execz .LBB95_60
; %bb.63:                               ;   in Loop: Header=BB95_61 Depth=1
	v_mul_lo_u32 v11, s3, v2
	v_mul_lo_u32 v3, s2, v3
	v_mad_u64_u32 v[0:1], null, s2, v2, 0
	ds_load_b32 v2, v4
	v_add3_u32 v1, v1, v3, v11
	s_delay_alu instid0(VALU_DEP_1) | instskip(NEXT) | instid1(VALU_DEP_1)
	v_lshlrev_b64 v[0:1], 2, v[0:1]
	v_add_co_u32 v0, vcc_lo, v5, v0
	s_delay_alu instid0(VALU_DEP_2)
	v_add_co_ci_u32_e32 v1, vcc_lo, v6, v1, vcc_lo
	s_waitcnt lgkmcnt(0)
	global_store_b32 v[0:1], v2, off
	s_branch .LBB95_60
.LBB95_64:
	s_nop 0
	s_sendmsg sendmsg(MSG_DEALLOC_VGPRS)
	s_endpgm
	.section	.rodata,"a",@progbits
	.p2align	6, 0x0
	.amdhsa_kernel _ZN9rocsparseL23bsrgemm_fill_wf_per_rowILj256ELj64ELj8ELj137ELj4EllfEEv20rocsparse_direction_T5_S2_S2_PKS2_S4_NS_24const_host_device_scalarIT6_EEPKT4_S4_PKS6_SA_S4_SC_S7_SA_S4_SC_SA_PS2_PS6_21rocsparse_index_base_SF_SF_SF_bbb
		.amdhsa_group_segment_fixed_size 2304
		.amdhsa_private_segment_fixed_size 0
		.amdhsa_kernarg_size 180
		.amdhsa_user_sgpr_count 15
		.amdhsa_user_sgpr_dispatch_ptr 0
		.amdhsa_user_sgpr_queue_ptr 0
		.amdhsa_user_sgpr_kernarg_segment_ptr 1
		.amdhsa_user_sgpr_dispatch_id 0
		.amdhsa_user_sgpr_private_segment_size 0
		.amdhsa_wavefront_size32 1
		.amdhsa_uses_dynamic_stack 0
		.amdhsa_enable_private_segment 0
		.amdhsa_system_sgpr_workgroup_id_x 1
		.amdhsa_system_sgpr_workgroup_id_y 0
		.amdhsa_system_sgpr_workgroup_id_z 0
		.amdhsa_system_sgpr_workgroup_info 0
		.amdhsa_system_vgpr_workitem_id 0
		.amdhsa_next_free_vgpr 40
		.amdhsa_next_free_sgpr 53
		.amdhsa_reserve_vcc 1
		.amdhsa_float_round_mode_32 0
		.amdhsa_float_round_mode_16_64 0
		.amdhsa_float_denorm_mode_32 3
		.amdhsa_float_denorm_mode_16_64 3
		.amdhsa_dx10_clamp 1
		.amdhsa_ieee_mode 1
		.amdhsa_fp16_overflow 0
		.amdhsa_workgroup_processor_mode 1
		.amdhsa_memory_ordered 1
		.amdhsa_forward_progress 0
		.amdhsa_shared_vgpr_count 0
		.amdhsa_exception_fp_ieee_invalid_op 0
		.amdhsa_exception_fp_denorm_src 0
		.amdhsa_exception_fp_ieee_div_zero 0
		.amdhsa_exception_fp_ieee_overflow 0
		.amdhsa_exception_fp_ieee_underflow 0
		.amdhsa_exception_fp_ieee_inexact 0
		.amdhsa_exception_int_div_zero 0
	.end_amdhsa_kernel
	.section	.text._ZN9rocsparseL23bsrgemm_fill_wf_per_rowILj256ELj64ELj8ELj137ELj4EllfEEv20rocsparse_direction_T5_S2_S2_PKS2_S4_NS_24const_host_device_scalarIT6_EEPKT4_S4_PKS6_SA_S4_SC_S7_SA_S4_SC_SA_PS2_PS6_21rocsparse_index_base_SF_SF_SF_bbb,"axG",@progbits,_ZN9rocsparseL23bsrgemm_fill_wf_per_rowILj256ELj64ELj8ELj137ELj4EllfEEv20rocsparse_direction_T5_S2_S2_PKS2_S4_NS_24const_host_device_scalarIT6_EEPKT4_S4_PKS6_SA_S4_SC_S7_SA_S4_SC_SA_PS2_PS6_21rocsparse_index_base_SF_SF_SF_bbb,comdat
.Lfunc_end95:
	.size	_ZN9rocsparseL23bsrgemm_fill_wf_per_rowILj256ELj64ELj8ELj137ELj4EllfEEv20rocsparse_direction_T5_S2_S2_PKS2_S4_NS_24const_host_device_scalarIT6_EEPKT4_S4_PKS6_SA_S4_SC_S7_SA_S4_SC_SA_PS2_PS6_21rocsparse_index_base_SF_SF_SF_bbb, .Lfunc_end95-_ZN9rocsparseL23bsrgemm_fill_wf_per_rowILj256ELj64ELj8ELj137ELj4EllfEEv20rocsparse_direction_T5_S2_S2_PKS2_S4_NS_24const_host_device_scalarIT6_EEPKT4_S4_PKS6_SA_S4_SC_S7_SA_S4_SC_SA_PS2_PS6_21rocsparse_index_base_SF_SF_SF_bbb
                                        ; -- End function
	.section	.AMDGPU.csdata,"",@progbits
; Kernel info:
; codeLenInByte = 3352
; NumSgprs: 55
; NumVgprs: 40
; ScratchSize: 0
; MemoryBound: 0
; FloatMode: 240
; IeeeMode: 1
; LDSByteSize: 2304 bytes/workgroup (compile time only)
; SGPRBlocks: 6
; VGPRBlocks: 4
; NumSGPRsForWavesPerEU: 55
; NumVGPRsForWavesPerEU: 40
; Occupancy: 16
; WaveLimiterHint : 1
; COMPUTE_PGM_RSRC2:SCRATCH_EN: 0
; COMPUTE_PGM_RSRC2:USER_SGPR: 15
; COMPUTE_PGM_RSRC2:TRAP_HANDLER: 0
; COMPUTE_PGM_RSRC2:TGID_X_EN: 1
; COMPUTE_PGM_RSRC2:TGID_Y_EN: 0
; COMPUTE_PGM_RSRC2:TGID_Z_EN: 0
; COMPUTE_PGM_RSRC2:TIDIG_COMP_CNT: 0
	.section	.text._ZN9rocsparseL23bsrgemm_fill_wf_per_rowILj256ELj64ELj16ELj137ELj4EllfEEv20rocsparse_direction_T5_S2_S2_PKS2_S4_NS_24const_host_device_scalarIT6_EEPKT4_S4_PKS6_SA_S4_SC_S7_SA_S4_SC_SA_PS2_PS6_21rocsparse_index_base_SF_SF_SF_bbb,"axG",@progbits,_ZN9rocsparseL23bsrgemm_fill_wf_per_rowILj256ELj64ELj16ELj137ELj4EllfEEv20rocsparse_direction_T5_S2_S2_PKS2_S4_NS_24const_host_device_scalarIT6_EEPKT4_S4_PKS6_SA_S4_SC_S7_SA_S4_SC_SA_PS2_PS6_21rocsparse_index_base_SF_SF_SF_bbb,comdat
	.globl	_ZN9rocsparseL23bsrgemm_fill_wf_per_rowILj256ELj64ELj16ELj137ELj4EllfEEv20rocsparse_direction_T5_S2_S2_PKS2_S4_NS_24const_host_device_scalarIT6_EEPKT4_S4_PKS6_SA_S4_SC_S7_SA_S4_SC_SA_PS2_PS6_21rocsparse_index_base_SF_SF_SF_bbb ; -- Begin function _ZN9rocsparseL23bsrgemm_fill_wf_per_rowILj256ELj64ELj16ELj137ELj4EllfEEv20rocsparse_direction_T5_S2_S2_PKS2_S4_NS_24const_host_device_scalarIT6_EEPKT4_S4_PKS6_SA_S4_SC_S7_SA_S4_SC_SA_PS2_PS6_21rocsparse_index_base_SF_SF_SF_bbb
	.p2align	8
	.type	_ZN9rocsparseL23bsrgemm_fill_wf_per_rowILj256ELj64ELj16ELj137ELj4EllfEEv20rocsparse_direction_T5_S2_S2_PKS2_S4_NS_24const_host_device_scalarIT6_EEPKT4_S4_PKS6_SA_S4_SC_S7_SA_S4_SC_SA_PS2_PS6_21rocsparse_index_base_SF_SF_SF_bbb,@function
_ZN9rocsparseL23bsrgemm_fill_wf_per_rowILj256ELj64ELj16ELj137ELj4EllfEEv20rocsparse_direction_T5_S2_S2_PKS2_S4_NS_24const_host_device_scalarIT6_EEPKT4_S4_PKS6_SA_S4_SC_S7_SA_S4_SC_SA_PS2_PS6_21rocsparse_index_base_SF_SF_SF_bbb: ; @_ZN9rocsparseL23bsrgemm_fill_wf_per_rowILj256ELj64ELj16ELj137ELj4EllfEEv20rocsparse_direction_T5_S2_S2_PKS2_S4_NS_24const_host_device_scalarIT6_EEPKT4_S4_PKS6_SA_S4_SC_S7_SA_S4_SC_SA_PS2_PS6_21rocsparse_index_base_SF_SF_SF_bbb
; %bb.0:
	s_clause 0x2
	s_load_b32 s6, s[0:1], 0xb0
	s_load_b64 s[4:5], s[0:1], 0x30
	s_load_b64 s[2:3], s[0:1], 0x68
	s_waitcnt lgkmcnt(0)
	s_bitcmp1_b32 s6, 0
	s_cselect_b32 s12, -1, 0
	s_bitcmp1_b32 s6, 16
	s_cselect_b32 s7, -1, 0
	s_xor_b32 s8, s12, -1
	s_delay_alu instid0(SALU_CYCLE_1) | instskip(NEXT) | instid1(SALU_CYCLE_1)
	s_or_b32 s8, s8, s7
	s_and_b32 vcc_lo, exec_lo, s8
	s_cbranch_vccnz .LBB96_2
; %bb.1:
	s_load_b32 s4, s[4:5], 0x0
	s_waitcnt lgkmcnt(0)
	v_mov_b32_e32 v37, s4
	s_branch .LBB96_3
.LBB96_2:
	v_cndmask_b32_e64 v37, 0, s4, s12
.LBB96_3:
	s_load_b128 s[36:39], s[0:1], 0xa0
	s_bitcmp1_b32 s6, 8
	s_cselect_b32 s34, -1, 0
	s_delay_alu instid0(SALU_CYCLE_1) | instskip(NEXT) | instid1(SALU_CYCLE_1)
	s_xor_b32 s4, s34, -1
	s_or_b32 s4, s4, s7
	s_delay_alu instid0(SALU_CYCLE_1)
	s_and_b32 vcc_lo, exec_lo, s4
	s_cbranch_vccnz .LBB96_5
; %bb.4:
	s_load_b32 s2, s[2:3], 0x0
	s_waitcnt lgkmcnt(0)
	v_mov_b32_e32 v35, s2
	s_branch .LBB96_6
.LBB96_5:
	v_cndmask_b32_e64 v35, 0, s2, s34
.LBB96_6:
	s_clause 0x5
	s_load_b128 s[40:43], s[0:1], 0x90
	s_load_b256 s[16:23], s[0:1], 0x70
	s_load_b128 s[44:47], s[0:1], 0x58
	s_load_b256 s[4:11], s[0:1], 0x8
	s_load_b64 s[2:3], s[0:1], 0x28
	s_load_b256 s[24:31], s[0:1], 0x38
	v_lshrrev_b32_e32 v33, 6, v0
	v_and_b32_e32 v3, 63, v0
	s_mov_b32 s13, exec_lo
	s_delay_alu instid0(VALU_DEP_2) | instskip(NEXT) | instid1(VALU_DEP_2)
	v_lshl_or_b32 v32, v33, 7, 0x1000
	v_cmpx_gt_u32_e32 16, v3
	s_cbranch_execz .LBB96_8
; %bb.7:
	s_delay_alu instid0(VALU_DEP_2)
	v_lshl_add_u32 v4, v3, 3, v32
	s_waitcnt lgkmcnt(0)
	v_dual_mov_b32 v1, s6 :: v_dual_mov_b32 v2, s7
	ds_store_b64 v4, v[1:2]
.LBB96_8:
	s_or_b32 exec_lo, exec_lo, s13
	v_lshlrev_b32_e32 v34, 10, v33
	v_or_b32_e32 v1, 0xffffffc0, v3
	v_mov_b32_e32 v4, 0
	s_mov_b32 s13, 0
	s_delay_alu instid0(VALU_DEP_3)
	v_lshl_or_b32 v2, v3, 2, v34
.LBB96_9:                               ; =>This Inner Loop Header: Depth=1
	s_delay_alu instid0(VALU_DEP_3) | instskip(SKIP_4) | instid1(SALU_CYCLE_1)
	v_add_nc_u32_e32 v1, 64, v1
	ds_store_b32 v2, v4
	v_add_nc_u32_e32 v2, 0x100, v2
	v_cmp_lt_u32_e32 vcc_lo, 0xbf, v1
	s_or_b32 s13, vcc_lo, s13
	s_and_not1_b32 exec_lo, exec_lo, s13
	s_cbranch_execnz .LBB96_9
; %bb.10:
	s_or_b32 exec_lo, exec_lo, s13
	v_lshl_or_b32 v1, s15, 2, v33
	v_mov_b32_e32 v2, 0
	s_waitcnt lgkmcnt(0)
	s_barrier
	buffer_gl0_inv
	v_cmp_gt_i64_e32 vcc_lo, s[4:5], v[1:2]
	s_and_saveexec_b32 s4, vcc_lo
	s_cbranch_execz .LBB96_64
; %bb.11:
	s_cmp_eq_u64 s[2:3], 0
	s_cbranch_scc1 .LBB96_13
; %bb.12:
	s_load_b64 s[4:5], s[10:11], 0x0
	v_lshlrev_b64 v[1:2], 3, v[1:2]
	s_waitcnt lgkmcnt(0)
	s_lshl_b64 s[4:5], s[4:5], 3
	s_delay_alu instid0(SALU_CYCLE_1) | instskip(SKIP_1) | instid1(VALU_DEP_1)
	s_add_u32 s2, s2, s4
	s_addc_u32 s3, s3, s5
	v_add_co_u32 v1, vcc_lo, s2, v1
	v_add_co_ci_u32_e32 v2, vcc_lo, s3, v2, vcc_lo
	global_load_b64 v[1:2], v[1:2], off
.LBB96_13:
	s_load_b32 s33, s[0:1], 0x0
	s_waitcnt vmcnt(0)
	v_lshlrev_b64 v[8:9], 3, v[1:2]
	v_lshrrev_b32_e32 v36, 4, v3
	v_and_b32_e32 v6, 3, v0
	v_bfe_u32 v4, v0, 2, 2
	s_and_not1_b32 vcc_lo, exec_lo, s12
	s_mul_i32 s14, s8, s9
	s_mul_hi_u32 s15, s8, s8
	s_mul_i32 s2, s8, s8
	s_cbranch_vccnz .LBB96_41
; %bb.14:
	v_add_co_u32 v0, vcc_lo, s24, v8
	v_add_co_ci_u32_e32 v1, vcc_lo, s25, v9, vcc_lo
	v_sub_co_u32 v5, s0, v36, s36
	s_delay_alu instid0(VALU_DEP_1)
	v_sub_co_ci_u32_e64 v7, null, 0, 0, s0
	global_load_b128 v[0:3], v[0:1], off
	s_mov_b32 s25, 0
	s_mov_b32 s24, exec_lo
	s_waitcnt vmcnt(0)
	v_sub_co_u32 v10, vcc_lo, v2, s36
	v_subrev_co_ci_u32_e32 v11, vcc_lo, 0, v3, vcc_lo
	v_add_co_u32 v12, vcc_lo, v0, v5
	v_add_co_ci_u32_e32 v13, vcc_lo, v1, v7, vcc_lo
	s_delay_alu instid0(VALU_DEP_1)
	v_cmpx_lt_i64_e64 v[12:13], v[10:11]
	s_cbranch_execz .LBB96_40
; %bb.15:
	v_mul_lo_u32 v2, s9, v12
	v_mul_lo_u32 v3, s8, v13
	v_mad_u64_u32 v[0:1], null, s8, v12, 0
	s_waitcnt lgkmcnt(0)
	s_cmp_lg_u32 s33, 0
	v_mul_lo_u32 v16, s2, v13
	s_cselect_b32 s35, -1, 0
	s_add_i32 s0, s15, s14
	v_dual_mov_b32 v7, 0 :: v_dual_lshlrev_b32 v14, 2, v6
	s_add_i32 s3, s0, s14
	v_add3_u32 v1, v1, v3, v2
	v_mul_lo_u32 v15, s3, v12
	v_mad_u64_u32 v[2:3], null, s2, v12, 0
	v_dual_mov_b32 v5, v7 :: v_dual_lshlrev_b32 v18, 2, v4
	s_delay_alu instid0(VALU_DEP_4) | instskip(SKIP_2) | instid1(VALU_DEP_3)
	v_lshlrev_b64 v[0:1], 2, v[0:1]
	v_cmp_gt_i64_e32 vcc_lo, s[8:9], v[6:7]
	s_lshl_b64 s[4:5], s[8:9], 2
	v_cmp_gt_u64_e64 s0, s[8:9], v[4:5]
	v_add3_u32 v3, v3, v16, v15
	v_lshlrev_b32_e32 v5, 4, v4
	v_add_co_u32 v15, s1, v0, v18
	s_delay_alu instid0(VALU_DEP_1) | instskip(NEXT) | instid1(VALU_DEP_4)
	v_add_co_ci_u32_e64 v16, s1, 0, v1, s1
	v_lshlrev_b64 v[0:1], 2, v[2:3]
	s_delay_alu instid0(VALU_DEP_3) | instskip(SKIP_1) | instid1(VALU_DEP_3)
	v_mul_lo_u32 v3, s9, v15
	s_and_b32 s48, vcc_lo, s0
	v_mul_lo_u32 v2, s8, v16
	v_mad_u64_u32 v[16:17], null, s8, v15, s[28:29]
	s_delay_alu instid0(VALU_DEP_4) | instskip(SKIP_2) | instid1(VALU_DEP_3)
	v_add_co_u32 v0, vcc_lo, v0, v18
	v_add_co_ci_u32_e32 v1, vcc_lo, 0, v1, vcc_lo
	v_add_co_u32 v20, s0, s46, v14
	v_add_co_u32 v18, vcc_lo, s28, v0
	v_add3_u32 v5, v34, v14, v5
	v_mov_b32_e32 v15, v7
	v_add_co_ci_u32_e32 v19, vcc_lo, s29, v1, vcc_lo
	v_add3_u32 v17, v3, v17, v2
	v_add_co_ci_u32_e64 v21, null, s47, 0, s0
	s_lshl_b64 s[10:11], s[2:3], 2
	s_lshl_b64 s[12:13], s[2:3], 4
	s_branch .LBB96_17
.LBB96_16:                              ;   in Loop: Header=BB96_17 Depth=1
	s_or_b32 exec_lo, exec_lo, s3
	v_add_co_u32 v12, vcc_lo, v12, 4
	v_add_co_ci_u32_e32 v13, vcc_lo, 0, v13, vcc_lo
	v_add_co_u32 v18, vcc_lo, v18, s12
	v_add_co_ci_u32_e32 v19, vcc_lo, s13, v19, vcc_lo
	s_delay_alu instid0(VALU_DEP_3) | instskip(SKIP_1) | instid1(VALU_DEP_1)
	v_cmp_ge_i64_e32 vcc_lo, v[12:13], v[10:11]
	v_add_co_u32 v16, s0, v16, s12
	v_add_co_ci_u32_e64 v17, s0, s13, v17, s0
	s_or_b32 s25, vcc_lo, s25
	s_delay_alu instid0(SALU_CYCLE_1)
	s_and_not1_b32 exec_lo, exec_lo, s25
	s_cbranch_execz .LBB96_40
.LBB96_17:                              ; =>This Loop Header: Depth=1
                                        ;     Child Loop BB96_20 Depth 2
                                        ;       Child Loop BB96_27 Depth 3
                                        ;       Child Loop BB96_23 Depth 3
	;; [unrolled: 1-line block ×3, first 2 shown]
	v_lshlrev_b64 v[0:1], 3, v[12:13]
	s_mov_b32 s3, exec_lo
	s_delay_alu instid0(VALU_DEP_1) | instskip(NEXT) | instid1(VALU_DEP_2)
	v_add_co_u32 v0, vcc_lo, s26, v0
	v_add_co_ci_u32_e32 v1, vcc_lo, s27, v1, vcc_lo
	global_load_b64 v[0:1], v[0:1], off
	s_waitcnt vmcnt(0)
	v_sub_co_u32 v0, vcc_lo, v0, s36
	v_subrev_co_ci_u32_e32 v1, vcc_lo, 0, v1, vcc_lo
	s_delay_alu instid0(VALU_DEP_1) | instskip(NEXT) | instid1(VALU_DEP_1)
	v_lshlrev_b64 v[0:1], 3, v[0:1]
	v_add_co_u32 v0, vcc_lo, s30, v0
	s_delay_alu instid0(VALU_DEP_2)
	v_add_co_ci_u32_e32 v1, vcc_lo, s31, v1, vcc_lo
	global_load_b128 v[0:3], v[0:1], off
	s_waitcnt vmcnt(0)
	v_cmpx_lt_i64_e64 v[0:1], v[2:3]
	s_cbranch_execz .LBB96_16
; %bb.18:                               ;   in Loop: Header=BB96_17 Depth=1
	v_sub_co_u32 v0, vcc_lo, v0, s37
	v_subrev_co_ci_u32_e32 v1, vcc_lo, 0, v1, vcc_lo
	v_sub_co_u32 v2, vcc_lo, v2, s37
	s_delay_alu instid0(VALU_DEP_3) | instskip(NEXT) | instid1(VALU_DEP_3)
	v_mul_lo_u32 v22, s5, v0
	v_mul_lo_u32 v7, s4, v1
	v_mad_u64_u32 v[24:25], null, s4, v0, v[14:15]
	v_mul_lo_u32 v26, s10, v1
	v_mul_lo_u32 v27, s11, v0
	v_subrev_co_ci_u32_e32 v3, vcc_lo, 0, v3, vcc_lo
	s_mov_b32 s28, 0
	s_delay_alu instid0(VALU_DEP_4) | instskip(SKIP_3) | instid1(VALU_DEP_4)
	v_add3_u32 v7, v22, v25, v7
	v_mul_lo_u32 v28, s9, v24
	v_mad_u64_u32 v[22:23], null, s8, v24, s[46:47]
	v_mad_u64_u32 v[24:25], null, s10, v0, v[20:21]
	v_mul_lo_u32 v7, s8, v7
	s_delay_alu instid0(VALU_DEP_2) | instskip(NEXT) | instid1(VALU_DEP_2)
	v_add3_u32 v25, v27, v25, v26
	v_add3_u32 v23, v28, v23, v7
	s_branch .LBB96_20
.LBB96_19:                              ;   in Loop: Header=BB96_20 Depth=2
	s_or_b32 exec_lo, exec_lo, s29
	v_add_co_u32 v0, vcc_lo, v0, 1
	v_add_co_ci_u32_e32 v1, vcc_lo, 0, v1, vcc_lo
	v_add_co_u32 v22, vcc_lo, v22, s10
	v_add_co_ci_u32_e32 v23, vcc_lo, s11, v23, vcc_lo
	s_delay_alu instid0(VALU_DEP_3) | instskip(SKIP_1) | instid1(VALU_DEP_1)
	v_cmp_ge_i64_e32 vcc_lo, v[0:1], v[2:3]
	v_add_co_u32 v24, s0, v24, s10
	v_add_co_ci_u32_e64 v25, s0, s11, v25, s0
	s_or_b32 s28, vcc_lo, s28
	s_delay_alu instid0(SALU_CYCLE_1)
	s_and_not1_b32 exec_lo, exec_lo, s28
	s_cbranch_execz .LBB96_16
.LBB96_20:                              ;   Parent Loop BB96_17 Depth=1
                                        ; =>  This Loop Header: Depth=2
                                        ;       Child Loop BB96_27 Depth 3
                                        ;       Child Loop BB96_23 Depth 3
	;; [unrolled: 1-line block ×3, first 2 shown]
	s_and_saveexec_b32 s29, s48
	s_cbranch_execz .LBB96_19
; %bb.21:                               ;   in Loop: Header=BB96_20 Depth=2
	v_lshlrev_b64 v[26:27], 3, v[0:1]
	s_delay_alu instid0(VALU_DEP_1) | instskip(NEXT) | instid1(VALU_DEP_2)
	v_add_co_u32 v26, vcc_lo, s44, v26
	v_add_co_ci_u32_e32 v27, vcc_lo, s45, v27, vcc_lo
	s_and_not1_b32 vcc_lo, exec_lo, s35
	global_load_b64 v[26:27], v[26:27], off
	s_cbranch_vccnz .LBB96_25
; %bb.22:                               ;   in Loop: Header=BB96_20 Depth=2
	v_mov_b32_e32 v29, v19
	v_dual_mov_b32 v31, v23 :: v_dual_mov_b32 v30, v22
	v_dual_mov_b32 v7, 0 :: v_dual_mov_b32 v28, v18
	s_mov_b64 s[0:1], s[8:9]
.LBB96_23:                              ;   Parent Loop BB96_17 Depth=1
                                        ;     Parent Loop BB96_20 Depth=2
                                        ; =>    This Inner Loop Header: Depth=3
	global_load_b32 v38, v[28:29], off
	global_load_b32 v39, v[30:31], off
	v_add_co_u32 v30, vcc_lo, v30, 4
	v_add_co_ci_u32_e32 v31, vcc_lo, 0, v31, vcc_lo
	v_add_co_u32 v28, vcc_lo, v28, s4
	s_add_u32 s0, s0, -1
	v_add_co_ci_u32_e32 v29, vcc_lo, s5, v29, vcc_lo
	s_addc_u32 s1, s1, -1
	s_delay_alu instid0(SALU_CYCLE_1)
	s_cmp_lg_u64 s[0:1], 0
	s_waitcnt vmcnt(0)
	v_fmac_f32_e32 v7, v38, v39
	s_cbranch_scc1 .LBB96_23
; %bb.24:                               ;   in Loop: Header=BB96_20 Depth=2
	s_branch .LBB96_28
.LBB96_25:                              ;   in Loop: Header=BB96_20 Depth=2
                                        ; implicit-def: $vgpr7
	s_cbranch_execz .LBB96_28
; %bb.26:                               ;   in Loop: Header=BB96_20 Depth=2
	v_mov_b32_e32 v29, v25
	v_dual_mov_b32 v31, v17 :: v_dual_mov_b32 v30, v16
	v_dual_mov_b32 v7, 0 :: v_dual_mov_b32 v28, v24
	s_mov_b64 s[0:1], s[8:9]
.LBB96_27:                              ;   Parent Loop BB96_17 Depth=1
                                        ;     Parent Loop BB96_20 Depth=2
                                        ; =>    This Inner Loop Header: Depth=3
	global_load_b32 v38, v[30:31], off
	global_load_b32 v39, v[28:29], off
	v_add_co_u32 v30, vcc_lo, v30, 4
	v_add_co_ci_u32_e32 v31, vcc_lo, 0, v31, vcc_lo
	v_add_co_u32 v28, vcc_lo, v28, s4
	s_add_u32 s0, s0, -1
	v_add_co_ci_u32_e32 v29, vcc_lo, s5, v29, vcc_lo
	s_addc_u32 s1, s1, -1
	s_delay_alu instid0(SALU_CYCLE_1)
	s_cmp_eq_u64 s[0:1], 0
	s_waitcnt vmcnt(0)
	v_fmac_f32_e32 v7, v38, v39
	s_cbranch_scc0 .LBB96_27
.LBB96_28:                              ;   in Loop: Header=BB96_20 Depth=2
	s_waitcnt vmcnt(0)
	v_sub_co_u32 v26, vcc_lo, v26, s37
	v_subrev_co_ci_u32_e32 v27, vcc_lo, 0, v27, vcc_lo
	s_mov_b32 s0, 0
	s_delay_alu instid0(VALU_DEP_2) | instskip(NEXT) | instid1(VALU_DEP_1)
	v_lshl_add_u32 v28, v26, 3, v26
	v_dual_mul_f32 v7, v37, v7 :: v_dual_and_b32 v30, 15, v28
	s_branch .LBB96_30
.LBB96_29:                              ;   in Loop: Header=BB96_30 Depth=3
	s_or_b32 exec_lo, exec_lo, s1
	s_xor_b32 s1, s49, -1
	s_delay_alu instid0(SALU_CYCLE_1) | instskip(NEXT) | instid1(SALU_CYCLE_1)
	s_and_b32 s1, exec_lo, s1
	s_or_b32 s0, s1, s0
	s_delay_alu instid0(SALU_CYCLE_1)
	s_and_not1_b32 exec_lo, exec_lo, s0
	s_cbranch_execz .LBB96_19
.LBB96_30:                              ;   Parent Loop BB96_17 Depth=1
                                        ;     Parent Loop BB96_20 Depth=2
                                        ; =>    This Inner Loop Header: Depth=3
	s_delay_alu instid0(VALU_DEP_1)
	v_lshl_add_u32 v31, v30, 3, v32
	s_mov_b32 s1, exec_lo
                                        ; implicit-def: $sgpr49
	ds_load_b64 v[28:29], v31
	s_waitcnt lgkmcnt(0)
	v_cmpx_ne_u64_e64 v[28:29], v[26:27]
	s_xor_b32 s1, exec_lo, s1
	s_cbranch_execz .LBB96_38
; %bb.31:                               ;   in Loop: Header=BB96_30 Depth=3
	s_mov_b32 s50, exec_lo
                                        ; implicit-def: $sgpr49
	v_cmpx_ne_u64_e64 s[6:7], v[28:29]
	s_xor_b32 s50, exec_lo, s50
; %bb.32:                               ;   in Loop: Header=BB96_30 Depth=3
	v_add_nc_u32_e32 v28, 1, v30
	s_mov_b32 s49, -1
                                        ; implicit-def: $vgpr31
	s_delay_alu instid0(VALU_DEP_1)
	v_and_b32_e32 v30, 15, v28
; %bb.33:                               ;   in Loop: Header=BB96_30 Depth=3
	s_and_not1_saveexec_b32 s50, s50
	s_cbranch_execz .LBB96_37
; %bb.34:                               ;   in Loop: Header=BB96_30 Depth=3
	v_dual_mov_b32 v29, s7 :: v_dual_mov_b32 v28, s6
	s_mov_b32 s51, -1
	s_mov_b32 s52, exec_lo
	ds_cmpstore_rtn_b64 v[28:29], v31, v[26:27], v[28:29]
	s_waitcnt lgkmcnt(0)
	v_cmpx_eq_u64_e64 s[6:7], v[28:29]
	s_cbranch_execz .LBB96_36
; %bb.35:                               ;   in Loop: Header=BB96_30 Depth=3
	v_lshl_add_u32 v28, v30, 6, v5
	s_xor_b32 s51, exec_lo, -1
	ds_add_f32 v28, v7
.LBB96_36:                              ;   in Loop: Header=BB96_30 Depth=3
	s_or_b32 exec_lo, exec_lo, s52
	s_delay_alu instid0(SALU_CYCLE_1) | instskip(SKIP_1) | instid1(SALU_CYCLE_1)
	s_and_not1_b32 s49, s49, exec_lo
	s_and_b32 s51, s51, exec_lo
	s_or_b32 s49, s49, s51
.LBB96_37:                              ;   in Loop: Header=BB96_30 Depth=3
	s_or_b32 exec_lo, exec_lo, s50
	s_delay_alu instid0(SALU_CYCLE_1)
	s_and_b32 s49, s49, exec_lo
.LBB96_38:                              ;   in Loop: Header=BB96_30 Depth=3
	s_and_not1_saveexec_b32 s1, s1
	s_cbranch_execz .LBB96_29
; %bb.39:                               ;   in Loop: Header=BB96_30 Depth=3
	v_lshl_add_u32 v28, v30, 6, v5
	s_and_not1_b32 s49, s49, exec_lo
	ds_add_f32 v28, v7
	s_branch .LBB96_29
.LBB96_40:
	s_or_b32 exec_lo, exec_lo, s24
.LBB96_41:
	s_delay_alu instid0(SALU_CYCLE_1)
	s_and_not1_b32 vcc_lo, exec_lo, s34
	s_waitcnt lgkmcnt(0)
	s_barrier
	buffer_gl0_inv
	s_cbranch_vccnz .LBB96_59
; %bb.42:
	v_add_co_u32 v0, vcc_lo, s16, v8
	v_add_co_ci_u32_e32 v1, vcc_lo, s17, v9, vcc_lo
	v_sub_co_u32 v2, s0, v36, s39
	s_delay_alu instid0(VALU_DEP_1)
	v_sub_co_ci_u32_e64 v3, null, 0, 0, s0
	global_load_b128 v[10:13], v[0:1], off
	s_mov_b32 s3, 0
	s_mov_b32 s4, exec_lo
	s_waitcnt vmcnt(0)
	v_sub_co_u32 v0, vcc_lo, v12, s39
	v_subrev_co_ci_u32_e32 v1, vcc_lo, 0, v13, vcc_lo
	v_add_co_u32 v2, vcc_lo, v10, v2
	v_add_co_ci_u32_e32 v3, vcc_lo, v11, v3, vcc_lo
	s_delay_alu instid0(VALU_DEP_1)
	v_cmpx_lt_i64_e64 v[2:3], v[0:1]
	s_cbranch_execz .LBB96_58
; %bb.43:
	v_mad_u64_u32 v[10:11], null, v6, s8, 0
	v_mad_u64_u32 v[12:13], null, v4, s8, 0
	v_lshlrev_b32_e32 v17, 4, v4
	s_cmp_eq_u32 s33, 0
	s_mov_b32 s5, s39
	s_cselect_b32 s1, -1, 0
	s_delay_alu instid0(VALU_DEP_3) | instskip(NEXT) | instid1(VALU_DEP_3)
	v_dual_mov_b32 v5, v11 :: v_dual_lshlrev_b32 v16, 2, v6
	v_mov_b32_e32 v7, v13
	s_add_i32 s10, s15, s14
	s_delay_alu instid0(VALU_DEP_2) | instskip(NEXT) | instid1(VALU_DEP_2)
	v_mad_u64_u32 v[13:14], null, v6, s9, v[5:6]
	v_mad_u64_u32 v[14:15], null, v4, s9, v[7:8]
	v_mov_b32_e32 v7, 0
	s_delay_alu instid0(VALU_DEP_3) | instskip(NEXT) | instid1(VALU_DEP_2)
	v_mov_b32_e32 v11, v13
	v_mov_b32_e32 v5, v7
	s_delay_alu instid0(VALU_DEP_4) | instskip(SKIP_1) | instid1(VALU_DEP_4)
	v_mov_b32_e32 v13, v14
	v_cmp_gt_i64_e32 vcc_lo, s[8:9], v[6:7]
	v_lshlrev_b64 v[10:11], 2, v[10:11]
	s_delay_alu instid0(VALU_DEP_4) | instskip(NEXT) | instid1(VALU_DEP_4)
	v_lshlrev_b64 v[14:15], 2, v[4:5]
	v_lshlrev_b64 v[12:13], 2, v[12:13]
	s_delay_alu instid0(VALU_DEP_3) | instskip(NEXT) | instid1(VALU_DEP_1)
	v_add_co_u32 v7, s0, s20, v10
	v_add_co_ci_u32_e64 v10, s0, s21, v11, s0
	s_delay_alu instid0(VALU_DEP_3) | instskip(NEXT) | instid1(VALU_DEP_1)
	v_add_co_u32 v11, s0, s20, v12
	v_add_co_ci_u32_e64 v12, s0, s21, v13, s0
	s_delay_alu instid0(VALU_DEP_4) | instskip(NEXT) | instid1(VALU_DEP_1)
	v_add_co_u32 v13, s0, v7, v14
	v_add_co_ci_u32_e64 v10, s0, v10, v15, s0
	s_delay_alu instid0(VALU_DEP_4) | instskip(NEXT) | instid1(VALU_DEP_1)
	v_add_co_u32 v11, s0, v11, v16
	v_add_co_ci_u32_e64 v12, s0, 0, v12, s0
	v_cmp_gt_u64_e64 s0, s[8:9], v[4:5]
	v_add3_u32 v7, v34, v16, v17
	s_delay_alu instid0(VALU_DEP_4) | instskip(NEXT) | instid1(VALU_DEP_4)
	v_cndmask_b32_e64 v14, v13, v11, s1
	v_cndmask_b32_e64 v5, v10, v12, s1
	s_add_i32 s1, s10, s14
	s_delay_alu instid0(VALU_DEP_4)
	s_and_b32 s0, vcc_lo, s0
	s_branch .LBB96_45
.LBB96_44:                              ;   in Loop: Header=BB96_45 Depth=1
	s_or_b32 exec_lo, exec_lo, s10
	v_add_co_u32 v2, vcc_lo, v2, 4
	v_add_co_ci_u32_e32 v3, vcc_lo, 0, v3, vcc_lo
	s_delay_alu instid0(VALU_DEP_1) | instskip(SKIP_1) | instid1(SALU_CYCLE_1)
	v_cmp_ge_i64_e32 vcc_lo, v[2:3], v[0:1]
	s_or_b32 s3, vcc_lo, s3
	s_and_not1_b32 exec_lo, exec_lo, s3
	s_cbranch_execz .LBB96_58
.LBB96_45:                              ; =>This Loop Header: Depth=1
                                        ;     Child Loop BB96_48 Depth 2
	s_and_saveexec_b32 s10, s0
	s_cbranch_execz .LBB96_44
; %bb.46:                               ;   in Loop: Header=BB96_45 Depth=1
	v_mul_lo_u32 v15, s1, v2
	v_mul_lo_u32 v16, s2, v3
	v_mad_u64_u32 v[10:11], null, s2, v2, 0
	v_lshlrev_b64 v[12:13], 3, v[2:3]
	s_mov_b32 s11, 0
	s_delay_alu instid0(VALU_DEP_1) | instskip(NEXT) | instid1(VALU_DEP_3)
	v_add_co_u32 v12, vcc_lo, s18, v12
	v_add3_u32 v11, v11, v16, v15
	s_delay_alu instid0(VALU_DEP_3) | instskip(NEXT) | instid1(VALU_DEP_2)
	v_add_co_ci_u32_e32 v13, vcc_lo, s19, v13, vcc_lo
	v_lshlrev_b64 v[10:11], 2, v[10:11]
	global_load_b64 v[12:13], v[12:13], off
	v_add_co_u32 v10, vcc_lo, v14, v10
	v_add_co_ci_u32_e32 v11, vcc_lo, v5, v11, vcc_lo
	global_load_b32 v15, v[10:11], off
	s_waitcnt vmcnt(1)
	v_sub_co_u32 v10, vcc_lo, v12, s5
	v_subrev_co_ci_u32_e32 v11, vcc_lo, 0, v13, vcc_lo
	s_delay_alu instid0(VALU_DEP_2) | instskip(SKIP_1) | instid1(VALU_DEP_1)
	v_lshl_add_u32 v12, v10, 3, v10
	s_waitcnt vmcnt(0)
	v_dual_mul_f32 v15, v35, v15 :: v_dual_and_b32 v16, 15, v12
	s_branch .LBB96_48
.LBB96_47:                              ;   in Loop: Header=BB96_48 Depth=2
	s_or_b32 exec_lo, exec_lo, s12
	s_xor_b32 s12, s13, -1
	s_delay_alu instid0(SALU_CYCLE_1) | instskip(NEXT) | instid1(SALU_CYCLE_1)
	s_and_b32 s12, exec_lo, s12
	s_or_b32 s11, s12, s11
	s_delay_alu instid0(SALU_CYCLE_1)
	s_and_not1_b32 exec_lo, exec_lo, s11
	s_cbranch_execz .LBB96_44
.LBB96_48:                              ;   Parent Loop BB96_45 Depth=1
                                        ; =>  This Inner Loop Header: Depth=2
	s_delay_alu instid0(VALU_DEP_1)
	v_lshl_add_u32 v17, v16, 3, v32
	s_mov_b32 s12, exec_lo
                                        ; implicit-def: $sgpr13
	ds_load_b64 v[12:13], v17
	s_waitcnt lgkmcnt(0)
	v_cmpx_ne_u64_e64 v[12:13], v[10:11]
	s_xor_b32 s12, exec_lo, s12
	s_cbranch_execz .LBB96_56
; %bb.49:                               ;   in Loop: Header=BB96_48 Depth=2
	s_mov_b32 s16, exec_lo
                                        ; implicit-def: $sgpr13
	v_cmpx_ne_u64_e64 s[6:7], v[12:13]
	s_xor_b32 s16, exec_lo, s16
; %bb.50:                               ;   in Loop: Header=BB96_48 Depth=2
	v_add_nc_u32_e32 v12, 1, v16
	s_mov_b32 s13, -1
                                        ; implicit-def: $vgpr17
	s_delay_alu instid0(VALU_DEP_1)
	v_and_b32_e32 v16, 15, v12
; %bb.51:                               ;   in Loop: Header=BB96_48 Depth=2
	s_and_not1_saveexec_b32 s16, s16
	s_cbranch_execz .LBB96_55
; %bb.52:                               ;   in Loop: Header=BB96_48 Depth=2
	v_dual_mov_b32 v13, s7 :: v_dual_mov_b32 v12, s6
	s_mov_b32 s17, -1
	s_mov_b32 s20, exec_lo
	ds_cmpstore_rtn_b64 v[12:13], v17, v[10:11], v[12:13]
	s_waitcnt lgkmcnt(0)
	v_cmpx_eq_u64_e64 s[6:7], v[12:13]
	s_cbranch_execz .LBB96_54
; %bb.53:                               ;   in Loop: Header=BB96_48 Depth=2
	v_lshl_add_u32 v12, v16, 6, v7
	s_xor_b32 s17, exec_lo, -1
	ds_add_f32 v12, v15
.LBB96_54:                              ;   in Loop: Header=BB96_48 Depth=2
	s_or_b32 exec_lo, exec_lo, s20
	s_delay_alu instid0(SALU_CYCLE_1) | instskip(SKIP_1) | instid1(SALU_CYCLE_1)
	s_and_not1_b32 s13, s13, exec_lo
	s_and_b32 s17, s17, exec_lo
	s_or_b32 s13, s13, s17
.LBB96_55:                              ;   in Loop: Header=BB96_48 Depth=2
	s_or_b32 exec_lo, exec_lo, s16
	s_delay_alu instid0(SALU_CYCLE_1)
	s_and_b32 s13, s13, exec_lo
.LBB96_56:                              ;   in Loop: Header=BB96_48 Depth=2
	s_and_not1_saveexec_b32 s12, s12
	s_cbranch_execz .LBB96_47
; %bb.57:                               ;   in Loop: Header=BB96_48 Depth=2
	v_lshl_add_u32 v12, v16, 6, v7
	s_and_not1_b32 s13, s13, exec_lo
	ds_add_f32 v12, v15
	s_branch .LBB96_47
.LBB96_58:
	s_or_b32 exec_lo, exec_lo, s4
.LBB96_59:
	v_add_co_u32 v0, vcc_lo, s22, v8
	v_add_co_ci_u32_e32 v1, vcc_lo, s23, v9, vcc_lo
	s_waitcnt lgkmcnt(0)
	s_barrier
	buffer_gl0_inv
	global_load_b64 v[0:1], v[0:1], off
	v_mad_u64_u32 v[2:3], null, v4, s8, 0
	s_cmp_eq_u32 s33, 0
	v_lshlrev_b32_e32 v11, 2, v6
	s_cselect_b32 vcc_lo, -1, 0
	v_lshlrev_b32_e32 v13, 7, v33
	v_or_b32_e32 v8, -4, v36
	s_add_i32 s3, s15, s14
	s_delay_alu instid0(VALU_DEP_4) | instskip(SKIP_3) | instid1(VALU_DEP_2)
	v_mad_u64_u32 v[9:10], null, v4, s9, v[3:4]
	v_dual_cndmask_b32 v10, v6, v4 :: v_dual_cndmask_b32 v3, v4, v6
	v_dual_mov_b32 v7, 0 :: v_dual_lshlrev_b32 v14, 3, v36
	s_add_i32 s3, s3, s14
	v_dual_mov_b32 v3, v9 :: v_dual_lshlrev_b32 v12, 2, v3
	s_delay_alu instid0(VALU_DEP_2) | instskip(SKIP_1) | instid1(VALU_DEP_3)
	v_mov_b32_e32 v5, v7
	v_cmp_gt_i64_e32 vcc_lo, s[8:9], v[6:7]
	v_lshl_or_b32 v9, v36, 6, v12
	s_delay_alu instid0(VALU_DEP_4) | instskip(NEXT) | instid1(VALU_DEP_4)
	v_lshlrev_b64 v[2:3], 2, v[2:3]
	v_cmp_gt_u64_e64 s0, s[8:9], v[4:5]
	s_delay_alu instid0(VALU_DEP_3) | instskip(SKIP_1) | instid1(VALU_DEP_4)
	v_lshl_or_b32 v4, v10, 4, v9
	v_or3_b32 v10, v13, v14, 0x1000
	v_add_co_u32 v2, s1, s42, v2
	s_delay_alu instid0(VALU_DEP_1) | instskip(NEXT) | instid1(VALU_DEP_4)
	v_add_co_ci_u32_e64 v3, s1, s43, v3, s1
	v_add_nc_u32_e32 v4, v34, v4
	s_delay_alu instid0(VALU_DEP_3) | instskip(NEXT) | instid1(VALU_DEP_1)
	v_add_co_u32 v5, s1, v2, v11
	v_add_co_ci_u32_e64 v6, s1, 0, v3, s1
	s_and_b32 s0, vcc_lo, s0
	s_waitcnt vmcnt(0)
	v_sub_co_u32 v7, s1, v0, s38
	s_delay_alu instid0(VALU_DEP_1)
	v_subrev_co_ci_u32_e64 v9, s1, 0, v1, s1
	s_mov_b32 s1, 0
	s_branch .LBB96_61
.LBB96_60:                              ;   in Loop: Header=BB96_61 Depth=1
	s_or_b32 exec_lo, exec_lo, s4
	v_add_nc_u32_e32 v8, 4, v8
	v_add_nc_u32_e32 v4, 0x100, v4
	;; [unrolled: 1-line block ×3, first 2 shown]
	s_delay_alu instid0(VALU_DEP_3) | instskip(SKIP_1) | instid1(SALU_CYCLE_1)
	v_cmp_lt_u32_e32 vcc_lo, 11, v8
	s_or_b32 s1, vcc_lo, s1
	s_and_not1_b32 exec_lo, exec_lo, s1
	s_cbranch_execz .LBB96_64
.LBB96_61:                              ; =>This Inner Loop Header: Depth=1
	ds_load_b64 v[0:1], v10
	s_mov_b32 s4, exec_lo
	s_waitcnt lgkmcnt(0)
	v_cmpx_gt_i64_e64 s[6:7], v[0:1]
	s_cbranch_execz .LBB96_60
; %bb.62:                               ;   in Loop: Header=BB96_61 Depth=1
	ds_load_b128 v[11:14], v32
	ds_load_b128 v[15:18], v32 offset:16
	ds_load_b128 v[19:22], v32 offset:32
	ds_load_b128 v[23:26], v32 offset:48
	ds_load_b128 v[27:30], v32 offset:64
	ds_load_b128 v[33:36], v32 offset:80
	ds_load_b128 v[37:40], v32 offset:96
	ds_load_b128 v[41:44], v32 offset:112
	s_waitcnt lgkmcnt(7)
	v_cmp_gt_i64_e32 vcc_lo, v[0:1], v[11:12]
	v_cndmask_b32_e64 v2, 0, 1, vcc_lo
	v_cmp_gt_i64_e32 vcc_lo, v[0:1], v[13:14]
	v_cndmask_b32_e64 v3, 0, 1, vcc_lo
	s_delay_alu instid0(VALU_DEP_3)
	v_add_co_u32 v2, vcc_lo, v7, v2
	v_add_co_ci_u32_e32 v11, vcc_lo, 0, v9, vcc_lo
	s_waitcnt lgkmcnt(6)
	v_cmp_gt_i64_e32 vcc_lo, v[0:1], v[15:16]
	v_cndmask_b32_e64 v12, 0, 1, vcc_lo
	v_add_co_u32 v2, vcc_lo, v2, v3
	v_add_co_ci_u32_e32 v3, vcc_lo, 0, v11, vcc_lo
	v_cmp_gt_i64_e32 vcc_lo, v[0:1], v[17:18]
	v_cndmask_b32_e64 v11, 0, 1, vcc_lo
	s_delay_alu instid0(VALU_DEP_4) | instskip(NEXT) | instid1(VALU_DEP_4)
	v_add_co_u32 v2, vcc_lo, v2, v12
	v_add_co_ci_u32_e32 v3, vcc_lo, 0, v3, vcc_lo
	s_waitcnt lgkmcnt(5)
	v_cmp_gt_i64_e32 vcc_lo, v[0:1], v[19:20]
	v_cndmask_b32_e64 v12, 0, 1, vcc_lo
	v_add_co_u32 v2, vcc_lo, v2, v11
	v_add_co_ci_u32_e32 v3, vcc_lo, 0, v3, vcc_lo
	v_cmp_gt_i64_e32 vcc_lo, v[0:1], v[21:22]
	v_cndmask_b32_e64 v11, 0, 1, vcc_lo
	s_delay_alu instid0(VALU_DEP_4) | instskip(NEXT) | instid1(VALU_DEP_4)
	v_add_co_u32 v2, vcc_lo, v2, v12
	v_add_co_ci_u32_e32 v3, vcc_lo, 0, v3, vcc_lo
	s_waitcnt lgkmcnt(4)
	v_cmp_gt_i64_e32 vcc_lo, v[0:1], v[23:24]
	v_cndmask_b32_e64 v12, 0, 1, vcc_lo
	v_add_co_u32 v2, vcc_lo, v2, v11
	v_add_co_ci_u32_e32 v3, vcc_lo, 0, v3, vcc_lo
	v_cmp_gt_i64_e32 vcc_lo, v[0:1], v[25:26]
	v_cndmask_b32_e64 v11, 0, 1, vcc_lo
	s_delay_alu instid0(VALU_DEP_4) | instskip(NEXT) | instid1(VALU_DEP_4)
	v_add_co_u32 v2, vcc_lo, v2, v12
	v_add_co_ci_u32_e32 v3, vcc_lo, 0, v3, vcc_lo
	s_waitcnt lgkmcnt(3)
	v_cmp_gt_i64_e32 vcc_lo, v[0:1], v[27:28]
	v_cndmask_b32_e64 v12, 0, 1, vcc_lo
	v_add_co_u32 v2, vcc_lo, v2, v11
	v_add_co_ci_u32_e32 v3, vcc_lo, 0, v3, vcc_lo
	v_cmp_gt_i64_e32 vcc_lo, v[0:1], v[29:30]
	v_cndmask_b32_e64 v11, 0, 1, vcc_lo
	s_delay_alu instid0(VALU_DEP_4) | instskip(NEXT) | instid1(VALU_DEP_4)
	v_add_co_u32 v2, vcc_lo, v2, v12
	v_add_co_ci_u32_e32 v3, vcc_lo, 0, v3, vcc_lo
	s_waitcnt lgkmcnt(2)
	v_cmp_gt_i64_e32 vcc_lo, v[0:1], v[33:34]
	v_cndmask_b32_e64 v12, 0, 1, vcc_lo
	v_add_co_u32 v2, vcc_lo, v2, v11
	v_add_co_ci_u32_e32 v3, vcc_lo, 0, v3, vcc_lo
	v_cmp_gt_i64_e32 vcc_lo, v[0:1], v[35:36]
	v_cndmask_b32_e64 v11, 0, 1, vcc_lo
	s_delay_alu instid0(VALU_DEP_4) | instskip(NEXT) | instid1(VALU_DEP_4)
	v_add_co_u32 v2, vcc_lo, v2, v12
	v_add_co_ci_u32_e32 v3, vcc_lo, 0, v3, vcc_lo
	s_waitcnt lgkmcnt(1)
	v_cmp_gt_i64_e32 vcc_lo, v[0:1], v[37:38]
	v_cndmask_b32_e64 v12, 0, 1, vcc_lo
	v_add_co_u32 v2, vcc_lo, v2, v11
	v_add_co_ci_u32_e32 v3, vcc_lo, 0, v3, vcc_lo
	v_cmp_gt_i64_e32 vcc_lo, v[0:1], v[39:40]
	v_cndmask_b32_e64 v11, 0, 1, vcc_lo
	s_delay_alu instid0(VALU_DEP_4) | instskip(NEXT) | instid1(VALU_DEP_4)
	v_add_co_u32 v2, vcc_lo, v2, v12
	v_add_co_ci_u32_e32 v3, vcc_lo, 0, v3, vcc_lo
	s_waitcnt lgkmcnt(0)
	v_cmp_gt_i64_e32 vcc_lo, v[0:1], v[41:42]
	v_cndmask_b32_e64 v12, 0, 1, vcc_lo
	v_add_co_u32 v2, vcc_lo, v2, v11
	v_add_co_ci_u32_e32 v3, vcc_lo, 0, v3, vcc_lo
	v_cmp_gt_i64_e32 vcc_lo, v[0:1], v[43:44]
	v_cndmask_b32_e64 v11, 0, 1, vcc_lo
	s_delay_alu instid0(VALU_DEP_4) | instskip(NEXT) | instid1(VALU_DEP_4)
	v_add_co_u32 v2, vcc_lo, v2, v12
	v_add_co_ci_u32_e32 v3, vcc_lo, 0, v3, vcc_lo
	s_delay_alu instid0(VALU_DEP_2) | instskip(NEXT) | instid1(VALU_DEP_2)
	v_add_co_u32 v2, vcc_lo, v2, v11
	v_add_co_ci_u32_e32 v3, vcc_lo, 0, v3, vcc_lo
	v_add_co_u32 v0, vcc_lo, v0, s38
	v_add_co_ci_u32_e32 v1, vcc_lo, 0, v1, vcc_lo
	s_delay_alu instid0(VALU_DEP_3) | instskip(NEXT) | instid1(VALU_DEP_1)
	v_lshlrev_b64 v[11:12], 3, v[2:3]
	v_add_co_u32 v11, vcc_lo, s40, v11
	s_delay_alu instid0(VALU_DEP_2)
	v_add_co_ci_u32_e32 v12, vcc_lo, s41, v12, vcc_lo
	global_store_b64 v[11:12], v[0:1], off
	s_and_b32 exec_lo, exec_lo, s0
	s_cbranch_execz .LBB96_60
; %bb.63:                               ;   in Loop: Header=BB96_61 Depth=1
	v_mul_lo_u32 v11, s3, v2
	v_mul_lo_u32 v3, s2, v3
	v_mad_u64_u32 v[0:1], null, s2, v2, 0
	ds_load_b32 v2, v4
	v_add3_u32 v1, v1, v3, v11
	s_delay_alu instid0(VALU_DEP_1) | instskip(NEXT) | instid1(VALU_DEP_1)
	v_lshlrev_b64 v[0:1], 2, v[0:1]
	v_add_co_u32 v0, vcc_lo, v5, v0
	s_delay_alu instid0(VALU_DEP_2)
	v_add_co_ci_u32_e32 v1, vcc_lo, v6, v1, vcc_lo
	s_waitcnt lgkmcnt(0)
	global_store_b32 v[0:1], v2, off
	s_branch .LBB96_60
.LBB96_64:
	s_nop 0
	s_sendmsg sendmsg(MSG_DEALLOC_VGPRS)
	s_endpgm
	.section	.rodata,"a",@progbits
	.p2align	6, 0x0
	.amdhsa_kernel _ZN9rocsparseL23bsrgemm_fill_wf_per_rowILj256ELj64ELj16ELj137ELj4EllfEEv20rocsparse_direction_T5_S2_S2_PKS2_S4_NS_24const_host_device_scalarIT6_EEPKT4_S4_PKS6_SA_S4_SC_S7_SA_S4_SC_SA_PS2_PS6_21rocsparse_index_base_SF_SF_SF_bbb
		.amdhsa_group_segment_fixed_size 4608
		.amdhsa_private_segment_fixed_size 0
		.amdhsa_kernarg_size 180
		.amdhsa_user_sgpr_count 15
		.amdhsa_user_sgpr_dispatch_ptr 0
		.amdhsa_user_sgpr_queue_ptr 0
		.amdhsa_user_sgpr_kernarg_segment_ptr 1
		.amdhsa_user_sgpr_dispatch_id 0
		.amdhsa_user_sgpr_private_segment_size 0
		.amdhsa_wavefront_size32 1
		.amdhsa_uses_dynamic_stack 0
		.amdhsa_enable_private_segment 0
		.amdhsa_system_sgpr_workgroup_id_x 1
		.amdhsa_system_sgpr_workgroup_id_y 0
		.amdhsa_system_sgpr_workgroup_id_z 0
		.amdhsa_system_sgpr_workgroup_info 0
		.amdhsa_system_vgpr_workitem_id 0
		.amdhsa_next_free_vgpr 45
		.amdhsa_next_free_sgpr 53
		.amdhsa_reserve_vcc 1
		.amdhsa_float_round_mode_32 0
		.amdhsa_float_round_mode_16_64 0
		.amdhsa_float_denorm_mode_32 3
		.amdhsa_float_denorm_mode_16_64 3
		.amdhsa_dx10_clamp 1
		.amdhsa_ieee_mode 1
		.amdhsa_fp16_overflow 0
		.amdhsa_workgroup_processor_mode 1
		.amdhsa_memory_ordered 1
		.amdhsa_forward_progress 0
		.amdhsa_shared_vgpr_count 0
		.amdhsa_exception_fp_ieee_invalid_op 0
		.amdhsa_exception_fp_denorm_src 0
		.amdhsa_exception_fp_ieee_div_zero 0
		.amdhsa_exception_fp_ieee_overflow 0
		.amdhsa_exception_fp_ieee_underflow 0
		.amdhsa_exception_fp_ieee_inexact 0
		.amdhsa_exception_int_div_zero 0
	.end_amdhsa_kernel
	.section	.text._ZN9rocsparseL23bsrgemm_fill_wf_per_rowILj256ELj64ELj16ELj137ELj4EllfEEv20rocsparse_direction_T5_S2_S2_PKS2_S4_NS_24const_host_device_scalarIT6_EEPKT4_S4_PKS6_SA_S4_SC_S7_SA_S4_SC_SA_PS2_PS6_21rocsparse_index_base_SF_SF_SF_bbb,"axG",@progbits,_ZN9rocsparseL23bsrgemm_fill_wf_per_rowILj256ELj64ELj16ELj137ELj4EllfEEv20rocsparse_direction_T5_S2_S2_PKS2_S4_NS_24const_host_device_scalarIT6_EEPKT4_S4_PKS6_SA_S4_SC_S7_SA_S4_SC_SA_PS2_PS6_21rocsparse_index_base_SF_SF_SF_bbb,comdat
.Lfunc_end96:
	.size	_ZN9rocsparseL23bsrgemm_fill_wf_per_rowILj256ELj64ELj16ELj137ELj4EllfEEv20rocsparse_direction_T5_S2_S2_PKS2_S4_NS_24const_host_device_scalarIT6_EEPKT4_S4_PKS6_SA_S4_SC_S7_SA_S4_SC_SA_PS2_PS6_21rocsparse_index_base_SF_SF_SF_bbb, .Lfunc_end96-_ZN9rocsparseL23bsrgemm_fill_wf_per_rowILj256ELj64ELj16ELj137ELj4EllfEEv20rocsparse_direction_T5_S2_S2_PKS2_S4_NS_24const_host_device_scalarIT6_EEPKT4_S4_PKS6_SA_S4_SC_S7_SA_S4_SC_SA_PS2_PS6_21rocsparse_index_base_SF_SF_SF_bbb
                                        ; -- End function
	.section	.AMDGPU.csdata,"",@progbits
; Kernel info:
; codeLenInByte = 3596
; NumSgprs: 55
; NumVgprs: 45
; ScratchSize: 0
; MemoryBound: 0
; FloatMode: 240
; IeeeMode: 1
; LDSByteSize: 4608 bytes/workgroup (compile time only)
; SGPRBlocks: 6
; VGPRBlocks: 5
; NumSGPRsForWavesPerEU: 55
; NumVGPRsForWavesPerEU: 45
; Occupancy: 16
; WaveLimiterHint : 1
; COMPUTE_PGM_RSRC2:SCRATCH_EN: 0
; COMPUTE_PGM_RSRC2:USER_SGPR: 15
; COMPUTE_PGM_RSRC2:TRAP_HANDLER: 0
; COMPUTE_PGM_RSRC2:TGID_X_EN: 1
; COMPUTE_PGM_RSRC2:TGID_Y_EN: 0
; COMPUTE_PGM_RSRC2:TGID_Z_EN: 0
; COMPUTE_PGM_RSRC2:TIDIG_COMP_CNT: 0
	.section	.text._ZN9rocsparseL38bsrgemm_block_per_row_atomic_multipassILj256ELj32ELj4EllfEEv20rocsparse_direction_T3_S2_PKS2_S4_NS_24const_host_device_scalarIT4_EEPKT2_S4_PKS6_SA_S4_SC_S7_SA_S4_SC_SA_PS2_PS6_PS8_21rocsparse_index_base_SG_SG_SG_bbb,"axG",@progbits,_ZN9rocsparseL38bsrgemm_block_per_row_atomic_multipassILj256ELj32ELj4EllfEEv20rocsparse_direction_T3_S2_PKS2_S4_NS_24const_host_device_scalarIT4_EEPKT2_S4_PKS6_SA_S4_SC_S7_SA_S4_SC_SA_PS2_PS6_PS8_21rocsparse_index_base_SG_SG_SG_bbb,comdat
	.globl	_ZN9rocsparseL38bsrgemm_block_per_row_atomic_multipassILj256ELj32ELj4EllfEEv20rocsparse_direction_T3_S2_PKS2_S4_NS_24const_host_device_scalarIT4_EEPKT2_S4_PKS6_SA_S4_SC_S7_SA_S4_SC_SA_PS2_PS6_PS8_21rocsparse_index_base_SG_SG_SG_bbb ; -- Begin function _ZN9rocsparseL38bsrgemm_block_per_row_atomic_multipassILj256ELj32ELj4EllfEEv20rocsparse_direction_T3_S2_PKS2_S4_NS_24const_host_device_scalarIT4_EEPKT2_S4_PKS6_SA_S4_SC_S7_SA_S4_SC_SA_PS2_PS6_PS8_21rocsparse_index_base_SG_SG_SG_bbb
	.p2align	8
	.type	_ZN9rocsparseL38bsrgemm_block_per_row_atomic_multipassILj256ELj32ELj4EllfEEv20rocsparse_direction_T3_S2_PKS2_S4_NS_24const_host_device_scalarIT4_EEPKT2_S4_PKS6_SA_S4_SC_S7_SA_S4_SC_SA_PS2_PS6_PS8_21rocsparse_index_base_SG_SG_SG_bbb,@function
_ZN9rocsparseL38bsrgemm_block_per_row_atomic_multipassILj256ELj32ELj4EllfEEv20rocsparse_direction_T3_S2_PKS2_S4_NS_24const_host_device_scalarIT4_EEPKT2_S4_PKS6_SA_S4_SC_S7_SA_S4_SC_SA_PS2_PS6_PS8_21rocsparse_index_base_SG_SG_SG_bbb: ; @_ZN9rocsparseL38bsrgemm_block_per_row_atomic_multipassILj256ELj32ELj4EllfEEv20rocsparse_direction_T3_S2_PKS2_S4_NS_24const_host_device_scalarIT4_EEPKT2_S4_PKS6_SA_S4_SC_S7_SA_S4_SC_SA_PS2_PS6_PS8_21rocsparse_index_base_SG_SG_SG_bbb
; %bb.0:
	s_clause 0x3
	s_load_b32 s3, s[0:1], 0xb0
	s_load_b128 s[28:31], s[0:1], 0xa0
	s_load_b64 s[6:7], s[0:1], 0x28
	s_load_b64 s[4:5], s[0:1], 0x60
	s_mov_b32 s2, s15
	s_waitcnt lgkmcnt(0)
	s_bitcmp1_b32 s3, 0
	s_cselect_b32 s8, -1, 0
	s_bitcmp1_b32 s3, 16
	s_cselect_b32 s9, -1, 0
	s_xor_b32 s10, s8, -1
	s_delay_alu instid0(SALU_CYCLE_1) | instskip(NEXT) | instid1(SALU_CYCLE_1)
	s_or_b32 s10, s10, s9
	s_and_b32 vcc_lo, exec_lo, s10
	s_cbranch_vccnz .LBB97_2
; %bb.1:
	s_load_b32 s6, s[6:7], 0x0
	s_waitcnt lgkmcnt(0)
	v_mov_b32_e32 v33, s6
	s_branch .LBB97_3
.LBB97_2:
	v_cndmask_b32_e64 v33, 0, s6, s8
.LBB97_3:
	s_load_b64 s[6:7], s[0:1], 0x20
	s_bitcmp1_b32 s3, 8
	s_cselect_b32 s33, -1, 0
	s_delay_alu instid0(SALU_CYCLE_1) | instskip(NEXT) | instid1(SALU_CYCLE_1)
	s_xor_b32 s3, s33, -1
	s_or_b32 s3, s3, s9
	s_delay_alu instid0(SALU_CYCLE_1)
	s_and_b32 vcc_lo, exec_lo, s3
	s_cbranch_vccnz .LBB97_5
; %bb.4:
	s_load_b32 s3, s[4:5], 0x0
	s_waitcnt lgkmcnt(0)
	v_mov_b32_e32 v34, s3
	s_branch .LBB97_6
.LBB97_5:
	v_cndmask_b32_e64 v34, 0, s4, s33
.LBB97_6:
	s_load_b64 s[4:5], s[0:1], 0x30
	s_mov_b64 s[34:35], 0
	s_waitcnt lgkmcnt(0)
	s_cmp_eq_u64 s[6:7], 0
	s_mov_b32 s3, 0
	s_cbranch_scc1 .LBB97_8
; %bb.7:
	s_load_b64 s[10:11], s[0:1], 0x18
	s_waitcnt lgkmcnt(0)
	s_load_b64 s[10:11], s[10:11], 0x0
	s_waitcnt lgkmcnt(0)
	s_lshl_b64 s[10:11], s[10:11], 3
	s_delay_alu instid0(SALU_CYCLE_1) | instskip(SKIP_2) | instid1(SALU_CYCLE_1)
	s_add_u32 s6, s6, s10
	s_addc_u32 s7, s7, s11
	s_lshl_b64 s[2:3], s[2:3], 3
	s_add_u32 s2, s6, s2
	s_addc_u32 s3, s7, s3
	s_load_b64 s[2:3], s[2:3], 0x0
.LBB97_8:
	s_and_not1_b32 vcc_lo, exec_lo, s8
	s_cbranch_vccz .LBB97_11
; %bb.9:
	s_and_not1_b32 vcc_lo, exec_lo, s8
	s_mov_b64 s[44:45], 0
	s_cbranch_vccz .LBB97_12
.LBB97_10:
	s_load_b128 s[36:39], s[0:1], 0x8
	s_waitcnt lgkmcnt(0)
	v_cmp_lt_i64_e64 s4, s[36:37], 1
	s_delay_alu instid0(VALU_DEP_1)
	s_and_b32 vcc_lo, exec_lo, s4
	s_cbranch_vccz .LBB97_13
	s_branch .LBB97_94
.LBB97_11:
	s_waitcnt lgkmcnt(0)
	s_lshl_b64 s[6:7], s[2:3], 3
	s_delay_alu instid0(SALU_CYCLE_1)
	s_add_u32 s6, s4, s6
	s_addc_u32 s7, s5, s7
	s_load_b64 s[6:7], s[6:7], 0x0
	s_waitcnt lgkmcnt(0)
	s_sub_u32 s34, s6, s28
	s_subb_u32 s35, s7, 0
	s_and_not1_b32 vcc_lo, exec_lo, s8
	s_mov_b64 s[44:45], 0
	s_cbranch_vccnz .LBB97_10
.LBB97_12:
	s_waitcnt lgkmcnt(0)
	s_lshl_b64 s[6:7], s[2:3], 3
	s_delay_alu instid0(SALU_CYCLE_1)
	s_add_u32 s4, s4, s6
	s_addc_u32 s5, s5, s7
	s_load_b64 s[4:5], s[4:5], 0x8
	s_waitcnt lgkmcnt(0)
	s_sub_u32 s44, s4, s28
	s_subb_u32 s45, s5, 0
	s_load_b128 s[36:39], s[0:1], 0x8
	s_waitcnt lgkmcnt(0)
	v_cmp_lt_i64_e64 s4, s[36:37], 1
	s_delay_alu instid0(VALU_DEP_1)
	s_and_b32 vcc_lo, exec_lo, s4
	s_cbranch_vccnz .LBB97_94
.LBB97_13:
	v_bfe_u32 v7, v0, 2, 2
	s_clause 0x4
	s_load_b256 s[12:19], s[0:1], 0x68
	s_load_b64 s[46:47], s[0:1], 0x98
	s_load_b128 s[40:43], s[0:1], 0x88
	s_load_b64 s[48:49], s[0:1], 0x58
	s_load_b256 s[20:27], s[0:1], 0x38
	s_lshl_b64 s[6:7], s[2:3], 3
	v_dual_mov_b32 v2, 0 :: v_dual_lshlrev_b32 v35, 2, v0
	v_mad_u64_u32 v[5:6], null, v7, s38, 0
	v_and_b32_e32 v3, 3, v0
	s_mul_i32 s9, s38, s39
	s_mul_hi_u32 s3, s38, s38
	v_and_b32_e32 v18, 31, v0
	s_load_b32 s53, s[0:1], 0x0
	v_lshrrev_b32_e32 v1, 4, v0
	s_delay_alu instid0(VALU_DEP_4)
	v_mov_b32_e32 v4, v6
	v_and_b32_e32 v38, 12, v0
	s_mov_b32 s54, s31
	v_cmp_gt_u32_e64 s0, 32, v0
	s_waitcnt lgkmcnt(0)
	s_add_u32 s4, s18, s6
	v_mad_u64_u32 v[9:10], null, v7, s39, v[4:5]
	s_addc_u32 s5, s19, s7
	v_mad_u64_u32 v[10:11], null, v3, s38, 0
	s_load_b64 s[4:5], s[4:5], 0x0
	v_and_b32_e32 v14, 15, v0
	v_dual_mov_b32 v4, v2 :: v_dual_lshlrev_b32 v19, 2, v18
	s_delay_alu instid0(VALU_DEP_4)
	v_mov_b32_e32 v6, v9
	v_cmp_lt_i64_e64 s18, s[34:35], s[44:45]
	v_mov_b32_e32 v9, v11
	v_cmp_gt_u32_e64 s1, 0x200, v0
	v_cmp_eq_u32_e64 s2, 0, v0
	v_lshlrev_b64 v[12:13], 2, v[5:6]
	v_or_b32_e32 v36, 0x800, v35
	v_mad_u64_u32 v[5:6], null, v3, s39, v[9:10]
	v_mov_b32_e32 v8, v2
	v_dual_mov_b32 v6, v2 :: v_dual_add_nc_u32 v45, 0xbf0, v19
	v_or_b32_e32 v41, 0xc00, v19
	v_or_b32_e32 v43, 0xc00, v35
	v_dual_mov_b32 v55, 1 :: v_dual_add_nc_u32 v46, 0xbe0, v19
	v_mov_b32_e32 v11, v5
	s_waitcnt lgkmcnt(0)
	s_sub_u32 s10, s4, s30
	s_subb_u32 s11, s5, 0
	s_add_i32 s4, s3, s9
	v_add_co_u32 v15, s3, s22, v12
	v_lshlrev_b32_e32 v5, 2, v3
	v_add_co_ci_u32_e64 v16, s3, s23, v13, s3
	s_add_i32 s51, s4, s9
	v_cmp_gt_i64_e64 s4, s[38:39], v[3:4]
	v_cmp_gt_i64_e64 s3, s[38:39], v[7:8]
	v_lshlrev_b64 v[9:10], 2, v[10:11]
	v_add_co_u32 v4, s5, v15, v5
	s_delay_alu instid0(VALU_DEP_1) | instskip(SKIP_2) | instid1(VALU_DEP_4)
	v_add_co_ci_u32_e64 v37, s5, 0, v16, s5
	v_cmp_gt_u64_e32 vcc_lo, s[38:39], v[7:8]
	s_and_b32 s52, s4, s3
	v_add_co_u32 v11, s3, s16, v9
	v_lshlrev_b64 v[7:8], 2, v[7:8]
	v_add_co_u32 v9, s5, s42, v9
	v_add_co_ci_u32_e64 v15, s3, s17, v10, s3
	v_add_co_ci_u32_e64 v10, s5, s43, v10, s5
	v_add_co_u32 v16, s3, s16, v12
	v_add_co_u32 v12, s5, s42, v12
	v_add_co_ci_u32_e64 v17, s3, s17, v13, s3
	v_add_co_ci_u32_e64 v13, s5, s43, v13, s5
	v_add_co_u32 v9, s5, v9, v7
	v_add_co_u32 v11, s3, v11, v7
	v_add_co_ci_u32_e64 v10, s5, v10, v8, s5
	v_add_co_u32 v12, s5, v12, v5
	s_cmp_eq_u32 s53, 0
	v_add_co_ci_u32_e64 v15, s3, v15, v8, s3
	v_add_co_u32 v16, s3, v16, v5
	v_add_co_ci_u32_e64 v13, s5, 0, v13, s5
	s_cselect_b32 s9, -1, 0
	v_add_co_ci_u32_e64 v17, s3, 0, v17, s3
	v_sub_co_u32 v39, s3, v1, s31
	v_cndmask_b32_e64 v49, v9, v12, s9
	v_lshlrev_b32_e32 v9, 6, v1
	s_cmp_lg_u32 s53, 0
	v_sub_co_ci_u32_e64 v40, null, 0, 0, s3
	v_cmp_eq_u32_e64 s3, 15, v14
	v_cndmask_b32_e64 v48, v10, v13, s9
	v_mov_b32_e32 v13, 0
	v_add_co_u32 v20, s55, v18, -1
	s_cselect_b32 s53, -1, 0
	s_add_u32 s12, s12, s6
	v_cndmask_b32_e64 v8, v15, v17, s9
	v_cndmask_b32_e64 v7, v11, v16, s9
	v_mov_b32_e32 v15, 32
	v_mov_b32_e32 v16, 0
	s_addc_u32 s13, s13, s7
	s_and_b32 s56, s4, vcc_lo
	v_or3_b32 v50, v9, v38, 0x800
	s_movk_i32 s9, 0x3f0
	v_add_co_u32 v9, s16, s48, v5
	v_add_co_u32 v52, vcc_lo, v39, 16
	s_and_b32 s31, s8, s18
	v_mov_b32_e32 v12, s11
	v_lshl_add_u32 v42, v20, 2, 0xc00
	v_cmp_ne_u32_e64 s4, 0, v18
	v_cmp_lt_u32_e64 s5, 1, v18
	v_dual_mov_b32 v11, s10 :: v_dual_add_nc_u32 v44, 0xbf8, v19
	v_cmp_lt_u32_e64 s6, 3, v18
	v_cmp_lt_u32_e64 s7, 7, v18
	;; [unrolled: 1-line block ×3, first 2 shown]
	v_dual_mov_b32 v14, 0 :: v_dual_add_nc_u32 v47, 0xbc0, v19
	s_add_u32 s57, s24, 8
	v_or_b32_e32 v0, 0xffffff00, v0
	v_add_co_ci_u32_e64 v10, null, s49, 0, s16
	v_and_or_b32 v51, v35, s9, 0x800
	v_add_co_ci_u32_e32 v53, vcc_lo, 0, v40, vcc_lo
	v_lshl_or_b32 v54, v1, 2, 0xc00
	s_mul_i32 s50, s38, s38
	s_addc_u32 s58, s25, 0
	s_add_u32 s59, s40, -8
	s_addc_u32 s60, s41, -1
	s_lshl_b64 s[22:23], s[38:39], 2
	s_lshl_b64 s[40:41], s[50:51], 2
	;; [unrolled: 1-line block ×3, first 2 shown]
	s_branch .LBB97_15
.LBB97_14:                              ;   in Loop: Header=BB97_15 Depth=1
	s_or_b32 exec_lo, exec_lo, s9
	s_waitcnt_vscnt null, 0x0
	s_barrier
	buffer_gl0_inv
	ds_load_b64 v[13:14], v2 offset:3200
	v_ashrrev_i32_e32 v16, 31, v15
	v_add_co_u32 v11, vcc_lo, v11, v15
	s_waitcnt lgkmcnt(0)
	s_barrier
	s_delay_alu instid0(VALU_DEP_2) | instskip(SKIP_3) | instid1(VALU_DEP_1)
	v_add_co_ci_u32_e32 v12, vcc_lo, v12, v16, vcc_lo
	buffer_gl0_inv
	v_cmp_le_i64_e32 vcc_lo, s[36:37], v[13:14]
	v_add_co_u32 v15, s9, v13, 32
	v_add_co_ci_u32_e64 v16, s9, 0, v14, s9
	s_cbranch_vccnz .LBB97_94
.LBB97_15:                              ; =>This Loop Header: Depth=1
                                        ;     Child Loop BB97_19 Depth 2
                                        ;     Child Loop BB97_25 Depth 2
                                        ;       Child Loop BB97_40 Depth 3
                                        ;         Child Loop BB97_52 Depth 4
                                        ;         Child Loop BB97_48 Depth 4
                                        ;     Child Loop BB97_62 Depth 2
                                        ;     Child Loop BB97_71 Depth 2
	;; [unrolled: 1-line block ×3, first 2 shown]
	s_and_saveexec_b32 s9, s0
	s_cbranch_execz .LBB97_17
; %bb.16:                               ;   in Loop: Header=BB97_15 Depth=1
	ds_store_b32 v43, v2
.LBB97_17:                              ;   in Loop: Header=BB97_15 Depth=1
	s_or_b32 exec_lo, exec_lo, s9
	s_and_saveexec_b32 s9, s1
	s_cbranch_execz .LBB97_20
; %bb.18:                               ;   in Loop: Header=BB97_15 Depth=1
	v_dual_mov_b32 v17, v35 :: v_dual_mov_b32 v18, v0
	s_mov_b32 s10, 0
.LBB97_19:                              ;   Parent Loop BB97_15 Depth=1
                                        ; =>  This Inner Loop Header: Depth=2
	s_delay_alu instid0(VALU_DEP_1) | instskip(NEXT) | instid1(VALU_DEP_1)
	v_add_co_u32 v18, s11, 0x100, v18
	s_xor_b32 s11, s11, -1
	ds_store_b32 v17, v2
	v_add_nc_u32_e32 v17, 0x400, v17
	s_and_b32 s11, exec_lo, s11
	s_delay_alu instid0(SALU_CYCLE_1) | instskip(NEXT) | instid1(SALU_CYCLE_1)
	s_or_b32 s10, s11, s10
	s_and_not1_b32 exec_lo, exec_lo, s10
	s_cbranch_execnz .LBB97_19
.LBB97_20:                              ;   in Loop: Header=BB97_15 Depth=1
	s_or_b32 exec_lo, exec_lo, s9
	s_and_saveexec_b32 s9, s2
	s_cbranch_execz .LBB97_22
; %bb.21:                               ;   in Loop: Header=BB97_15 Depth=1
	v_dual_mov_b32 v17, s36 :: v_dual_mov_b32 v18, s37
	ds_store_b64 v2, v[17:18] offset:3200
.LBB97_22:                              ;   in Loop: Header=BB97_15 Depth=1
	s_or_b32 exec_lo, exec_lo, s9
	v_dual_mov_b32 v17, s36 :: v_dual_mov_b32 v18, s37
	s_and_not1_b32 vcc_lo, exec_lo, s31
	s_waitcnt lgkmcnt(0)
	s_barrier
	buffer_gl0_inv
	s_cbranch_vccnz .LBB97_57
; %bb.23:                               ;   in Loop: Header=BB97_15 Depth=1
	v_cmp_ne_u64_e64 s9, 0, v[13:14]
	v_dual_mov_b32 v17, s36 :: v_dual_mov_b32 v18, s37
	s_mov_b64 s[16:17], s[34:35]
	s_branch .LBB97_25
.LBB97_24:                              ;   in Loop: Header=BB97_25 Depth=2
	s_or_b32 exec_lo, exec_lo, s11
	s_add_u32 s16, s16, 16
	s_addc_u32 s17, s17, 0
	s_delay_alu instid0(SALU_CYCLE_1) | instskip(NEXT) | instid1(VALU_DEP_1)
	v_cmp_lt_i64_e64 s10, s[16:17], s[44:45]
	s_and_b32 vcc_lo, exec_lo, s10
	s_cbranch_vccz .LBB97_57
.LBB97_25:                              ;   Parent Loop BB97_15 Depth=1
                                        ; =>  This Loop Header: Depth=2
                                        ;       Child Loop BB97_40 Depth 3
                                        ;         Child Loop BB97_52 Depth 4
                                        ;         Child Loop BB97_48 Depth 4
	v_add_co_u32 v19, s10, s16, v1
	s_delay_alu instid0(VALU_DEP_1) | instskip(NEXT) | instid1(VALU_DEP_1)
	v_add_co_ci_u32_e64 v20, null, s17, 0, s10
	s_waitcnt_vscnt null, 0x0
	s_barrier
	buffer_gl0_inv
	v_cmp_gt_i64_e64 s10, s[44:45], v[19:20]
	s_delay_alu instid0(VALU_DEP_1)
	s_and_saveexec_b32 s11, s10
	s_cbranch_execz .LBB97_29
; %bb.26:                               ;   in Loop: Header=BB97_25 Depth=2
	v_mov_b32_e32 v21, 0
	s_and_saveexec_b32 s18, s56
	s_cbranch_execz .LBB97_28
; %bb.27:                               ;   in Loop: Header=BB97_25 Depth=2
	v_mul_lo_u32 v23, v20, s50
	v_mul_lo_u32 v24, v19, s51
	v_mad_u64_u32 v[21:22], null, v19, s50, 0
	s_delay_alu instid0(VALU_DEP_1) | instskip(NEXT) | instid1(VALU_DEP_1)
	v_add3_u32 v22, v22, v24, v23
	v_lshlrev_b64 v[21:22], 2, v[21:22]
	s_delay_alu instid0(VALU_DEP_1) | instskip(NEXT) | instid1(VALU_DEP_2)
	v_add_co_u32 v21, vcc_lo, v4, v21
	v_add_co_ci_u32_e32 v22, vcc_lo, v37, v22, vcc_lo
	global_load_b32 v21, v[21:22], off
.LBB97_28:                              ;   in Loop: Header=BB97_25 Depth=2
	s_or_b32 exec_lo, exec_lo, s18
	s_waitcnt vmcnt(0)
	ds_store_b32 v36, v21
.LBB97_29:                              ;   in Loop: Header=BB97_25 Depth=2
	s_or_b32 exec_lo, exec_lo, s11
	v_mov_b32_e32 v21, 0
	v_lshlrev_b64 v[19:20], 3, v[19:20]
	v_mov_b32_e32 v22, 0
	s_waitcnt lgkmcnt(0)
	s_barrier
	buffer_gl0_inv
	s_and_saveexec_b32 s61, s10
	s_cbranch_execz .LBB97_55
; %bb.30:                               ;   in Loop: Header=BB97_25 Depth=2
	v_add_co_u32 v21, vcc_lo, s20, v19
	v_add_co_ci_u32_e32 v22, vcc_lo, s21, v20, vcc_lo
	s_and_b32 vcc_lo, exec_lo, s9
	global_load_b64 v[23:24], v[21:22], off
	s_cbranch_vccz .LBB97_32
; %bb.31:                               ;   in Loop: Header=BB97_25 Depth=2
	v_add_co_u32 v21, vcc_lo, s46, v19
	v_add_co_ci_u32_e32 v22, vcc_lo, s47, v20, vcc_lo
	s_mov_b32 s11, 0
	global_load_b64 v[21:22], v[21:22], off
	s_branch .LBB97_33
.LBB97_32:                              ;   in Loop: Header=BB97_25 Depth=2
	s_mov_b32 s11, -1
                                        ; implicit-def: $vgpr21_vgpr22
.LBB97_33:                              ;   in Loop: Header=BB97_25 Depth=2
	s_waitcnt vmcnt(0)
	v_sub_co_u32 v23, vcc_lo, v23, s28
	v_subrev_co_ci_u32_e32 v24, vcc_lo, 0, v24, vcc_lo
	s_and_not1_b32 vcc_lo, exec_lo, s11
	s_delay_alu instid0(VALU_DEP_1)
	v_lshlrev_b64 v[23:24], 3, v[23:24]
	s_cbranch_vccnz .LBB97_35
; %bb.34:                               ;   in Loop: Header=BB97_25 Depth=2
	s_delay_alu instid0(VALU_DEP_1) | instskip(NEXT) | instid1(VALU_DEP_2)
	v_add_co_u32 v21, vcc_lo, s24, v23
	v_add_co_ci_u32_e32 v22, vcc_lo, s25, v24, vcc_lo
	global_load_b64 v[21:22], v[21:22], off
	s_waitcnt vmcnt(0)
	v_sub_co_u32 v21, vcc_lo, v21, s29
	v_subrev_co_ci_u32_e32 v22, vcc_lo, 0, v22, vcc_lo
.LBB97_35:                              ;   in Loop: Header=BB97_25 Depth=2
	s_delay_alu instid0(VALU_DEP_1) | instskip(NEXT) | instid1(VALU_DEP_2)
	v_add_co_u32 v23, vcc_lo, s57, v23
	v_add_co_ci_u32_e32 v24, vcc_lo, s58, v24, vcc_lo
	s_mov_b32 s62, exec_lo
	global_load_b64 v[23:24], v[23:24], off
	s_waitcnt vmcnt(0)
	v_sub_co_u32 v23, vcc_lo, v23, s29
	v_subrev_co_ci_u32_e32 v24, vcc_lo, 0, v24, vcc_lo
	s_delay_alu instid0(VALU_DEP_1)
	v_cmpx_lt_i64_e64 v[21:22], v[23:24]
	s_cbranch_execz .LBB97_54
; %bb.36:                               ;   in Loop: Header=BB97_25 Depth=2
	v_mad_u64_u32 v[29:30], null, s22, v21, v[5:6]
	v_mul_lo_u32 v27, s22, v22
	v_mul_lo_u32 v28, s23, v21
	v_mad_u64_u32 v[25:26], null, s40, v21, v[9:10]
	v_mul_lo_u32 v31, s40, v22
	v_mul_lo_u32 v32, s41, v21
	;; [unrolled: 1-line block ×3, first 2 shown]
	s_mov_b32 s63, 0
	v_add3_u32 v30, v28, v30, v27
	v_mad_u64_u32 v[27:28], null, s38, v29, s[48:49]
	s_delay_alu instid0(VALU_DEP_4) | instskip(NEXT) | instid1(VALU_DEP_3)
	v_add3_u32 v26, v32, v26, v31
	v_mul_lo_u32 v29, s38, v30
	s_delay_alu instid0(VALU_DEP_1)
	v_add3_u32 v28, v56, v28, v29
	v_dual_mov_b32 v30, v22 :: v_dual_mov_b32 v29, v21
	s_branch .LBB97_40
.LBB97_37:                              ;   in Loop: Header=BB97_40 Depth=3
	s_delay_alu instid0(VALU_DEP_1) | instskip(NEXT) | instid1(VALU_DEP_1)
	v_dual_mul_f32 v32, v33, v57 :: v_dual_lshlrev_b32 v31, 4, v56
	v_or3_b32 v31, v31, v38, v3
	s_delay_alu instid0(VALU_DEP_1)
	v_lshlrev_b32_e32 v31, 2, v31
	ds_add_f32 v31, v32
.LBB97_38:                              ;   in Loop: Header=BB97_40 Depth=3
	s_or_b32 exec_lo, exec_lo, s65
	s_delay_alu instid0(SALU_CYCLE_1)
	s_or_b32 s11, s11, exec_lo
.LBB97_39:                              ;   in Loop: Header=BB97_40 Depth=3
	s_or_b32 exec_lo, exec_lo, s64
	v_add_co_u32 v21, vcc_lo, v21, 1
	v_add_co_ci_u32_e32 v22, vcc_lo, 0, v22, vcc_lo
	s_xor_b32 s18, s11, -1
	v_add_co_u32 v27, s11, v27, s40
	s_delay_alu instid0(VALU_DEP_2)
	v_cmp_ge_i64_e32 vcc_lo, v[21:22], v[23:24]
	v_add_co_ci_u32_e64 v28, s11, s41, v28, s11
	s_or_b32 s11, s18, vcc_lo
	v_add_co_u32 v25, vcc_lo, v25, s40
	v_add_co_ci_u32_e32 v26, vcc_lo, s41, v26, vcc_lo
	s_and_b32 s11, exec_lo, s11
	s_delay_alu instid0(SALU_CYCLE_1) | instskip(NEXT) | instid1(SALU_CYCLE_1)
	s_or_b32 s63, s11, s63
	s_and_not1_b32 exec_lo, exec_lo, s63
	s_cbranch_execz .LBB97_53
.LBB97_40:                              ;   Parent Loop BB97_15 Depth=1
                                        ;     Parent Loop BB97_25 Depth=2
                                        ; =>    This Loop Header: Depth=3
                                        ;         Child Loop BB97_52 Depth 4
                                        ;         Child Loop BB97_48 Depth 4
	v_lshlrev_b64 v[31:32], 3, v[21:22]
	s_delay_alu instid0(VALU_DEP_1) | instskip(NEXT) | instid1(VALU_DEP_2)
	v_add_co_u32 v31, vcc_lo, s26, v31
	v_add_co_ci_u32_e32 v32, vcc_lo, s27, v32, vcc_lo
	global_load_b64 v[31:32], v[31:32], off
	s_waitcnt vmcnt(0)
	v_sub_co_u32 v31, vcc_lo, v31, s29
	v_subrev_co_ci_u32_e32 v32, vcc_lo, 0, v32, vcc_lo
	s_delay_alu instid0(VALU_DEP_1) | instskip(SKIP_1) | instid1(VALU_DEP_2)
	v_cmp_lt_i64_e64 s11, v[31:32], v[13:14]
	v_cmp_ge_i64_e32 vcc_lo, v[31:32], v[15:16]
	s_or_b32 s18, s11, vcc_lo
                                        ; implicit-def: $sgpr11
	s_delay_alu instid0(SALU_CYCLE_1) | instskip(NEXT) | instid1(SALU_CYCLE_1)
	s_and_saveexec_b32 s19, s18
	s_xor_b32 s18, exec_lo, s19
	s_cbranch_execz .LBB97_44
; %bb.41:                               ;   in Loop: Header=BB97_40 Depth=3
	s_mov_b32 s19, -1
	s_and_saveexec_b32 s11, vcc_lo
; %bb.42:                               ;   in Loop: Header=BB97_40 Depth=3
	v_cmp_lt_i64_e32 vcc_lo, v[31:32], v[17:18]
	v_dual_mov_b32 v30, v22 :: v_dual_mov_b32 v29, v21
	s_xor_b32 s19, exec_lo, -1
	v_dual_cndmask_b32 v18, v18, v32 :: v_dual_cndmask_b32 v17, v17, v31
; %bb.43:                               ;   in Loop: Header=BB97_40 Depth=3
	s_or_b32 exec_lo, exec_lo, s11
	s_delay_alu instid0(SALU_CYCLE_1)
	s_and_b32 s11, s19, exec_lo
                                        ; implicit-def: $vgpr31_vgpr32
.LBB97_44:                              ;   in Loop: Header=BB97_40 Depth=3
	s_and_not1_saveexec_b32 s64, s18
	s_cbranch_execz .LBB97_39
; %bb.45:                               ;   in Loop: Header=BB97_40 Depth=3
	v_sub_nc_u32_e32 v56, v31, v13
	s_delay_alu instid0(VALU_DEP_1)
	v_lshlrev_b32_e32 v31, 2, v56
	ds_store_b32 v31, v55 offset:3072
	s_and_saveexec_b32 s65, s52
	s_cbranch_execz .LBB97_38
; %bb.46:                               ;   in Loop: Header=BB97_40 Depth=3
	s_and_not1_b32 vcc_lo, exec_lo, s53
	s_cbranch_vccnz .LBB97_50
; %bb.47:                               ;   in Loop: Header=BB97_40 Depth=3
	v_dual_mov_b32 v57, 0 :: v_dual_mov_b32 v58, v50
	v_dual_mov_b32 v32, v28 :: v_dual_mov_b32 v31, v27
	s_mov_b64 s[18:19], s[38:39]
.LBB97_48:                              ;   Parent Loop BB97_15 Depth=1
                                        ;     Parent Loop BB97_25 Depth=2
                                        ;       Parent Loop BB97_40 Depth=3
                                        ; =>      This Inner Loop Header: Depth=4
	global_load_b32 v59, v[31:32], off
	ds_load_b32 v60, v58
	v_add_co_u32 v31, vcc_lo, v31, 4
	v_add_co_ci_u32_e32 v32, vcc_lo, 0, v32, vcc_lo
	s_add_u32 s18, s18, -1
	v_add_nc_u32_e32 v58, 16, v58
	s_addc_u32 s19, s19, -1
	s_delay_alu instid0(SALU_CYCLE_1)
	s_cmp_lg_u64 s[18:19], 0
	s_waitcnt vmcnt(0) lgkmcnt(0)
	v_fmac_f32_e32 v57, v60, v59
	s_cbranch_scc1 .LBB97_48
; %bb.49:                               ;   in Loop: Header=BB97_40 Depth=3
	s_branch .LBB97_37
.LBB97_50:                              ;   in Loop: Header=BB97_40 Depth=3
                                        ; implicit-def: $vgpr57
	s_cbranch_execz .LBB97_37
; %bb.51:                               ;   in Loop: Header=BB97_40 Depth=3
	v_dual_mov_b32 v57, 0 :: v_dual_mov_b32 v58, v51
	v_dual_mov_b32 v32, v26 :: v_dual_mov_b32 v31, v25
	s_mov_b64 s[18:19], s[38:39]
.LBB97_52:                              ;   Parent Loop BB97_15 Depth=1
                                        ;     Parent Loop BB97_25 Depth=2
                                        ;       Parent Loop BB97_40 Depth=3
                                        ; =>      This Inner Loop Header: Depth=4
	global_load_b32 v59, v[31:32], off
	ds_load_b32 v60, v58
	v_add_co_u32 v31, vcc_lo, v31, s22
	s_add_u32 s18, s18, -1
	v_add_co_ci_u32_e32 v32, vcc_lo, s23, v32, vcc_lo
	v_add_nc_u32_e32 v58, 4, v58
	s_addc_u32 s19, s19, -1
	s_delay_alu instid0(SALU_CYCLE_1)
	s_cmp_eq_u64 s[18:19], 0
	s_waitcnt vmcnt(0) lgkmcnt(0)
	v_fmac_f32_e32 v57, v60, v59
	s_cbranch_scc0 .LBB97_52
	s_branch .LBB97_37
.LBB97_53:                              ;   in Loop: Header=BB97_25 Depth=2
	s_or_b32 exec_lo, exec_lo, s63
	v_dual_mov_b32 v21, v29 :: v_dual_mov_b32 v22, v30
.LBB97_54:                              ;   in Loop: Header=BB97_25 Depth=2
	s_or_b32 exec_lo, exec_lo, s62
.LBB97_55:                              ;   in Loop: Header=BB97_25 Depth=2
	s_delay_alu instid0(SALU_CYCLE_1)
	s_or_b32 exec_lo, exec_lo, s61
	s_waitcnt lgkmcnt(0)
	s_barrier
	buffer_gl0_inv
	s_and_saveexec_b32 s11, s10
	s_cbranch_execz .LBB97_24
; %bb.56:                               ;   in Loop: Header=BB97_25 Depth=2
	v_add_co_u32 v19, vcc_lo, s46, v19
	v_add_co_ci_u32_e32 v20, vcc_lo, s47, v20, vcc_lo
	global_store_b64 v[19:20], v[21:22], off
	s_branch .LBB97_24
.LBB97_57:                              ;   in Loop: Header=BB97_15 Depth=1
	s_and_not1_b32 vcc_lo, exec_lo, s33
	s_cbranch_vccnz .LBB97_69
; %bb.58:                               ;   in Loop: Header=BB97_15 Depth=1
	s_load_b128 s[16:19], s[12:13], 0x0
	s_waitcnt lgkmcnt(0)
	v_add_co_u32 v21, vcc_lo, s16, v39
	v_add_co_ci_u32_e32 v22, vcc_lo, s17, v40, vcc_lo
	s_sub_u32 s10, s18, s54
	s_subb_u32 s11, s19, 0
	s_mov_b32 s18, exec_lo
	s_delay_alu instid0(VALU_DEP_1)
	v_cmpx_gt_i64_e64 s[10:11], v[21:22]
	s_cbranch_execz .LBB97_68
; %bb.59:                               ;   in Loop: Header=BB97_15 Depth=1
	v_lshlrev_b64 v[23:24], 3, v[21:22]
	v_mad_u64_u32 v[19:20], null, s40, v21, v[7:8]
	v_mul_lo_u32 v25, s40, v22
	v_mul_lo_u32 v26, s41, v21
	s_delay_alu instid0(VALU_DEP_4) | instskip(SKIP_2) | instid1(VALU_DEP_4)
	v_add_co_u32 v21, vcc_lo, s14, v23
	v_add_co_ci_u32_e32 v22, vcc_lo, s15, v24, vcc_lo
	v_add_co_u32 v23, vcc_lo, v52, s16
	v_add3_u32 v20, v26, v20, v25
	v_add_co_ci_u32_e32 v24, vcc_lo, s17, v53, vcc_lo
	s_mov_b32 s16, 0
	s_branch .LBB97_62
.LBB97_60:                              ;   in Loop: Header=BB97_62 Depth=2
	s_or_b32 exec_lo, exec_lo, s19
	s_delay_alu instid0(SALU_CYCLE_1)
	s_or_b32 s9, s9, exec_lo
.LBB97_61:                              ;   in Loop: Header=BB97_62 Depth=2
	s_or_b32 exec_lo, exec_lo, s17
	v_cmp_le_i64_e32 vcc_lo, s[10:11], v[23:24]
	s_xor_b32 s17, s9, -1
	v_add_co_u32 v21, s9, 0x80, v21
	s_delay_alu instid0(VALU_DEP_1)
	v_add_co_ci_u32_e64 v22, s9, 0, v22, s9
	s_or_b32 s9, s17, vcc_lo
	v_add_co_u32 v19, vcc_lo, v19, s42
	v_add_co_ci_u32_e32 v20, vcc_lo, s43, v20, vcc_lo
	v_add_co_u32 v23, vcc_lo, v23, 16
	v_add_co_ci_u32_e32 v24, vcc_lo, 0, v24, vcc_lo
	s_and_b32 s9, exec_lo, s9
	s_delay_alu instid0(SALU_CYCLE_1) | instskip(NEXT) | instid1(SALU_CYCLE_1)
	s_or_b32 s16, s9, s16
	s_and_not1_b32 exec_lo, exec_lo, s16
	s_cbranch_execz .LBB97_67
.LBB97_62:                              ;   Parent Loop BB97_15 Depth=1
                                        ; =>  This Inner Loop Header: Depth=2
	global_load_b64 v[25:26], v[21:22], off
	s_waitcnt vmcnt(0)
	v_sub_co_u32 v25, vcc_lo, v25, s54
	v_subrev_co_ci_u32_e32 v26, vcc_lo, 0, v26, vcc_lo
	s_delay_alu instid0(VALU_DEP_1)
	v_cmp_lt_i64_e32 vcc_lo, v[25:26], v[15:16]
	v_cmp_lt_i64_e64 s9, v[25:26], v[13:14]
	s_xor_b32 s17, vcc_lo, -1
	s_delay_alu instid0(VALU_DEP_1) | instid1(SALU_CYCLE_1)
	s_or_b32 s17, s9, s17
                                        ; implicit-def: $sgpr9
	s_delay_alu instid0(SALU_CYCLE_1) | instskip(NEXT) | instid1(SALU_CYCLE_1)
	s_and_saveexec_b32 s19, s17
	s_xor_b32 s17, exec_lo, s19
; %bb.63:                               ;   in Loop: Header=BB97_62 Depth=2
	v_cmp_lt_i64_e64 s9, v[25:26], v[17:18]
	s_delay_alu instid0(VALU_DEP_1) | instskip(SKIP_2) | instid1(VALU_DEP_1)
	v_cndmask_b32_e64 v25, v17, v25, s9
	v_cndmask_b32_e64 v26, v18, v26, s9
	s_and_b32 s9, vcc_lo, exec_lo
	v_dual_cndmask_b32 v17, v25, v17 :: v_dual_cndmask_b32 v18, v26, v18
                                        ; implicit-def: $vgpr25
; %bb.64:                               ;   in Loop: Header=BB97_62 Depth=2
	s_and_not1_saveexec_b32 s17, s17
	s_cbranch_execz .LBB97_61
; %bb.65:                               ;   in Loop: Header=BB97_62 Depth=2
	v_sub_nc_u32_e32 v25, v25, v13
	s_delay_alu instid0(VALU_DEP_1)
	v_lshlrev_b32_e32 v26, 2, v25
	ds_store_b32 v26, v55 offset:3072
	s_and_saveexec_b32 s19, s56
	s_cbranch_execz .LBB97_60
; %bb.66:                               ;   in Loop: Header=BB97_62 Depth=2
	global_load_b32 v26, v[19:20], off
	s_waitcnt vmcnt(0)
	v_dual_mul_f32 v26, v34, v26 :: v_dual_lshlrev_b32 v25, 4, v25
	s_delay_alu instid0(VALU_DEP_1) | instskip(NEXT) | instid1(VALU_DEP_1)
	v_or3_b32 v25, v25, v38, v3
	v_lshlrev_b32_e32 v25, 2, v25
	ds_add_f32 v25, v26
	s_branch .LBB97_60
.LBB97_67:                              ;   in Loop: Header=BB97_15 Depth=1
	s_or_b32 exec_lo, exec_lo, s16
.LBB97_68:                              ;   in Loop: Header=BB97_15 Depth=1
	s_delay_alu instid0(SALU_CYCLE_1)
	s_or_b32 exec_lo, exec_lo, s18
.LBB97_69:                              ;   in Loop: Header=BB97_15 Depth=1
	s_and_saveexec_b32 s9, s3
	s_cbranch_execz .LBB97_74
; %bb.70:                               ;   in Loop: Header=BB97_15 Depth=1
	s_mov_b32 s16, exec_lo
	s_mov_b64 s[10:11], -1
.LBB97_71:                              ;   Parent Loop BB97_15 Depth=1
                                        ; =>  This Inner Loop Header: Depth=2
	s_ctz_i32_b32 s17, s16
	s_delay_alu instid0(SALU_CYCLE_1) | instskip(SKIP_1) | instid1(VALU_DEP_1)
	v_readlane_b32 s19, v18, s17
	v_readlane_b32 s18, v17, s17
	v_cmp_lt_u64_e64 s61, s[10:11], s[18:19]
	s_delay_alu instid0(VALU_DEP_1) | instskip(SKIP_3) | instid1(SALU_CYCLE_1)
	s_and_b32 s61, s61, exec_lo
	s_cselect_b32 s11, s11, s19
	s_cselect_b32 s10, s10, s18
	s_lshl_b32 s17, 1, s17
	s_and_not1_b32 s16, s16, s17
	s_delay_alu instid0(SALU_CYCLE_1)
	s_cmp_lg_u32 s16, 0
	s_cbranch_scc1 .LBB97_71
; %bb.72:                               ;   in Loop: Header=BB97_15 Depth=1
	v_mbcnt_lo_u32_b32 v15, exec_lo, 0
	s_mov_b32 s16, exec_lo
	s_delay_alu instid0(VALU_DEP_1)
	v_cmpx_eq_u32_e32 0, v15
	s_xor_b32 s16, exec_lo, s16
	s_cbranch_execz .LBB97_74
; %bb.73:                               ;   in Loop: Header=BB97_15 Depth=1
	v_dual_mov_b32 v16, s11 :: v_dual_mov_b32 v15, s10
	ds_min_u64 v2, v[15:16] offset:3200
.LBB97_74:                              ;   in Loop: Header=BB97_15 Depth=1
	s_or_b32 exec_lo, exec_lo, s9
	s_waitcnt lgkmcnt(0)
	s_waitcnt_vscnt null, 0x0
	s_barrier
	buffer_gl0_inv
	ds_load_b32 v16, v41
	s_waitcnt lgkmcnt(0)
	s_barrier
	buffer_gl0_inv
	s_and_saveexec_b32 s9, s4
	s_cbranch_execz .LBB97_76
; %bb.75:                               ;   in Loop: Header=BB97_15 Depth=1
	ds_load_b32 v15, v42
	s_waitcnt lgkmcnt(0)
	v_add_nc_u32_e32 v16, v15, v16
.LBB97_76:                              ;   in Loop: Header=BB97_15 Depth=1
	s_or_b32 exec_lo, exec_lo, s9
	s_barrier
	buffer_gl0_inv
	ds_store_b32 v41, v16
	s_waitcnt lgkmcnt(0)
	s_barrier
	buffer_gl0_inv
	s_and_saveexec_b32 s9, s5
	s_cbranch_execz .LBB97_78
; %bb.77:                               ;   in Loop: Header=BB97_15 Depth=1
	ds_load_b32 v15, v44
	s_waitcnt lgkmcnt(0)
	v_add_nc_u32_e32 v16, v15, v16
.LBB97_78:                              ;   in Loop: Header=BB97_15 Depth=1
	s_or_b32 exec_lo, exec_lo, s9
	s_barrier
	buffer_gl0_inv
	ds_store_b32 v41, v16
	;; [unrolled: 14-line block ×5, first 2 shown]
	s_waitcnt lgkmcnt(0)
	s_barrier
	buffer_gl0_inv
	ds_load_b32 v15, v2 offset:3196
	v_mov_b32_e32 v17, 0
	s_and_saveexec_b32 s9, s55
	s_cbranch_execz .LBB97_86
; %bb.85:                               ;   in Loop: Header=BB97_15 Depth=1
	ds_load_b32 v17, v42
.LBB97_86:                              ;   in Loop: Header=BB97_15 Depth=1
	s_or_b32 exec_lo, exec_lo, s9
	s_waitcnt lgkmcnt(0)
	v_cmp_eq_u32_e32 vcc_lo, v16, v17
	s_barrier
	buffer_gl0_inv
	s_and_b32 s10, s55, vcc_lo
	s_delay_alu instid0(SALU_CYCLE_1)
	s_and_saveexec_b32 s9, s10
	s_cbranch_execz .LBB97_88
; %bb.87:                               ;   in Loop: Header=BB97_15 Depth=1
	ds_store_b32 v41, v2
.LBB97_88:                              ;   in Loop: Header=BB97_15 Depth=1
	s_or_b32 exec_lo, exec_lo, s9
	s_waitcnt lgkmcnt(0)
	s_barrier
	buffer_gl0_inv
	s_and_saveexec_b32 s9, s1
	s_cbranch_execz .LBB97_14
; %bb.89:                               ;   in Loop: Header=BB97_15 Depth=1
	v_add_co_u32 v16, vcc_lo, v11, -1
	v_add_co_ci_u32_e32 v17, vcc_lo, -1, v12, vcc_lo
	v_add_co_u32 v18, vcc_lo, s30, v13
	v_add_co_ci_u32_e32 v19, vcc_lo, 0, v14, vcc_lo
	v_dual_mov_b32 v20, v54 :: v_dual_mov_b32 v21, v35
	v_dual_mov_b32 v14, v2 :: v_dual_mov_b32 v13, v1
	s_mov_b32 s10, 0
	s_branch .LBB97_91
.LBB97_90:                              ;   in Loop: Header=BB97_91 Depth=2
	s_or_b32 exec_lo, exec_lo, s11
	v_add_co_u32 v13, vcc_lo, v13, 16
	v_add_co_ci_u32_e32 v14, vcc_lo, 0, v14, vcc_lo
	v_add_nc_u32_e32 v21, 0x400, v21
	s_delay_alu instid0(VALU_DEP_3) | instskip(SKIP_1) | instid1(VALU_DEP_2)
	v_add_nc_u32_e32 v22, -16, v13
	v_add_nc_u32_e32 v20, 64, v20
	v_cmp_lt_u32_e32 vcc_lo, 15, v22
	s_or_b32 s10, vcc_lo, s10
	s_delay_alu instid0(SALU_CYCLE_1)
	s_and_not1_b32 exec_lo, exec_lo, s10
	s_cbranch_execz .LBB97_14
.LBB97_91:                              ;   Parent Loop BB97_15 Depth=1
                                        ; =>  This Inner Loop Header: Depth=2
	ds_load_b32 v22, v20
	s_mov_b32 s11, exec_lo
	s_waitcnt lgkmcnt(0)
	v_cmpx_ne_u32_e32 0, v22
	s_cbranch_execz .LBB97_90
; %bb.92:                               ;   in Loop: Header=BB97_91 Depth=2
	v_ashrrev_i32_e32 v23, 31, v22
	v_add_co_u32 v24, vcc_lo, v11, v22
	s_delay_alu instid0(VALU_DEP_2) | instskip(SKIP_2) | instid1(VALU_DEP_3)
	v_add_co_ci_u32_e32 v25, vcc_lo, v12, v23, vcc_lo
	v_add_co_u32 v26, vcc_lo, v18, v13
	v_add_co_ci_u32_e32 v27, vcc_lo, v19, v14, vcc_lo
	v_lshlrev_b64 v[24:25], 3, v[24:25]
	s_delay_alu instid0(VALU_DEP_1) | instskip(NEXT) | instid1(VALU_DEP_2)
	v_add_co_u32 v24, vcc_lo, s59, v24
	v_add_co_ci_u32_e32 v25, vcc_lo, s60, v25, vcc_lo
	global_store_b64 v[24:25], v[26:27], off
	s_and_b32 exec_lo, exec_lo, s56
	s_cbranch_execz .LBB97_90
; %bb.93:                               ;   in Loop: Header=BB97_91 Depth=2
	v_add_co_u32 v24, vcc_lo, v16, v22
	v_add_co_ci_u32_e32 v22, vcc_lo, v17, v23, vcc_lo
	s_delay_alu instid0(VALU_DEP_2) | instskip(NEXT) | instid1(VALU_DEP_2)
	v_mul_lo_u32 v26, v24, s51
	v_mul_lo_u32 v25, v22, s50
	v_mad_u64_u32 v[22:23], null, v24, s50, 0
	ds_load_b32 v24, v21
	v_add3_u32 v23, v23, v26, v25
	s_delay_alu instid0(VALU_DEP_1) | instskip(NEXT) | instid1(VALU_DEP_1)
	v_lshlrev_b64 v[22:23], 2, v[22:23]
	v_add_co_u32 v22, vcc_lo, v49, v22
	s_delay_alu instid0(VALU_DEP_2)
	v_add_co_ci_u32_e32 v23, vcc_lo, v48, v23, vcc_lo
	s_waitcnt lgkmcnt(0)
	global_store_b32 v[22:23], v24, off
	s_branch .LBB97_90
.LBB97_94:
	s_endpgm
	.section	.rodata,"a",@progbits
	.p2align	6, 0x0
	.amdhsa_kernel _ZN9rocsparseL38bsrgemm_block_per_row_atomic_multipassILj256ELj32ELj4EllfEEv20rocsparse_direction_T3_S2_PKS2_S4_NS_24const_host_device_scalarIT4_EEPKT2_S4_PKS6_SA_S4_SC_S7_SA_S4_SC_SA_PS2_PS6_PS8_21rocsparse_index_base_SG_SG_SG_bbb
		.amdhsa_group_segment_fixed_size 3208
		.amdhsa_private_segment_fixed_size 0
		.amdhsa_kernarg_size 180
		.amdhsa_user_sgpr_count 15
		.amdhsa_user_sgpr_dispatch_ptr 0
		.amdhsa_user_sgpr_queue_ptr 0
		.amdhsa_user_sgpr_kernarg_segment_ptr 1
		.amdhsa_user_sgpr_dispatch_id 0
		.amdhsa_user_sgpr_private_segment_size 0
		.amdhsa_wavefront_size32 1
		.amdhsa_uses_dynamic_stack 0
		.amdhsa_enable_private_segment 0
		.amdhsa_system_sgpr_workgroup_id_x 1
		.amdhsa_system_sgpr_workgroup_id_y 0
		.amdhsa_system_sgpr_workgroup_id_z 0
		.amdhsa_system_sgpr_workgroup_info 0
		.amdhsa_system_vgpr_workitem_id 0
		.amdhsa_next_free_vgpr 61
		.amdhsa_next_free_sgpr 66
		.amdhsa_reserve_vcc 1
		.amdhsa_float_round_mode_32 0
		.amdhsa_float_round_mode_16_64 0
		.amdhsa_float_denorm_mode_32 3
		.amdhsa_float_denorm_mode_16_64 3
		.amdhsa_dx10_clamp 1
		.amdhsa_ieee_mode 1
		.amdhsa_fp16_overflow 0
		.amdhsa_workgroup_processor_mode 1
		.amdhsa_memory_ordered 1
		.amdhsa_forward_progress 0
		.amdhsa_shared_vgpr_count 0
		.amdhsa_exception_fp_ieee_invalid_op 0
		.amdhsa_exception_fp_denorm_src 0
		.amdhsa_exception_fp_ieee_div_zero 0
		.amdhsa_exception_fp_ieee_overflow 0
		.amdhsa_exception_fp_ieee_underflow 0
		.amdhsa_exception_fp_ieee_inexact 0
		.amdhsa_exception_int_div_zero 0
	.end_amdhsa_kernel
	.section	.text._ZN9rocsparseL38bsrgemm_block_per_row_atomic_multipassILj256ELj32ELj4EllfEEv20rocsparse_direction_T3_S2_PKS2_S4_NS_24const_host_device_scalarIT4_EEPKT2_S4_PKS6_SA_S4_SC_S7_SA_S4_SC_SA_PS2_PS6_PS8_21rocsparse_index_base_SG_SG_SG_bbb,"axG",@progbits,_ZN9rocsparseL38bsrgemm_block_per_row_atomic_multipassILj256ELj32ELj4EllfEEv20rocsparse_direction_T3_S2_PKS2_S4_NS_24const_host_device_scalarIT4_EEPKT2_S4_PKS6_SA_S4_SC_S7_SA_S4_SC_SA_PS2_PS6_PS8_21rocsparse_index_base_SG_SG_SG_bbb,comdat
.Lfunc_end97:
	.size	_ZN9rocsparseL38bsrgemm_block_per_row_atomic_multipassILj256ELj32ELj4EllfEEv20rocsparse_direction_T3_S2_PKS2_S4_NS_24const_host_device_scalarIT4_EEPKT2_S4_PKS6_SA_S4_SC_S7_SA_S4_SC_SA_PS2_PS6_PS8_21rocsparse_index_base_SG_SG_SG_bbb, .Lfunc_end97-_ZN9rocsparseL38bsrgemm_block_per_row_atomic_multipassILj256ELj32ELj4EllfEEv20rocsparse_direction_T3_S2_PKS2_S4_NS_24const_host_device_scalarIT4_EEPKT2_S4_PKS6_SA_S4_SC_S7_SA_S4_SC_SA_PS2_PS6_PS8_21rocsparse_index_base_SG_SG_SG_bbb
                                        ; -- End function
	.section	.AMDGPU.csdata,"",@progbits
; Kernel info:
; codeLenInByte = 3956
; NumSgprs: 68
; NumVgprs: 61
; ScratchSize: 0
; MemoryBound: 0
; FloatMode: 240
; IeeeMode: 1
; LDSByteSize: 3208 bytes/workgroup (compile time only)
; SGPRBlocks: 8
; VGPRBlocks: 7
; NumSGPRsForWavesPerEU: 68
; NumVGPRsForWavesPerEU: 61
; Occupancy: 16
; WaveLimiterHint : 1
; COMPUTE_PGM_RSRC2:SCRATCH_EN: 0
; COMPUTE_PGM_RSRC2:USER_SGPR: 15
; COMPUTE_PGM_RSRC2:TRAP_HANDLER: 0
; COMPUTE_PGM_RSRC2:TGID_X_EN: 1
; COMPUTE_PGM_RSRC2:TGID_Y_EN: 0
; COMPUTE_PGM_RSRC2:TGID_Z_EN: 0
; COMPUTE_PGM_RSRC2:TIDIG_COMP_CNT: 0
	.section	.text._ZN9rocsparseL38bsrgemm_block_per_row_atomic_multipassILj256ELj64ELj4EllfEEv20rocsparse_direction_T3_S2_PKS2_S4_NS_24const_host_device_scalarIT4_EEPKT2_S4_PKS6_SA_S4_SC_S7_SA_S4_SC_SA_PS2_PS6_PS8_21rocsparse_index_base_SG_SG_SG_bbb,"axG",@progbits,_ZN9rocsparseL38bsrgemm_block_per_row_atomic_multipassILj256ELj64ELj4EllfEEv20rocsparse_direction_T3_S2_PKS2_S4_NS_24const_host_device_scalarIT4_EEPKT2_S4_PKS6_SA_S4_SC_S7_SA_S4_SC_SA_PS2_PS6_PS8_21rocsparse_index_base_SG_SG_SG_bbb,comdat
	.globl	_ZN9rocsparseL38bsrgemm_block_per_row_atomic_multipassILj256ELj64ELj4EllfEEv20rocsparse_direction_T3_S2_PKS2_S4_NS_24const_host_device_scalarIT4_EEPKT2_S4_PKS6_SA_S4_SC_S7_SA_S4_SC_SA_PS2_PS6_PS8_21rocsparse_index_base_SG_SG_SG_bbb ; -- Begin function _ZN9rocsparseL38bsrgemm_block_per_row_atomic_multipassILj256ELj64ELj4EllfEEv20rocsparse_direction_T3_S2_PKS2_S4_NS_24const_host_device_scalarIT4_EEPKT2_S4_PKS6_SA_S4_SC_S7_SA_S4_SC_SA_PS2_PS6_PS8_21rocsparse_index_base_SG_SG_SG_bbb
	.p2align	8
	.type	_ZN9rocsparseL38bsrgemm_block_per_row_atomic_multipassILj256ELj64ELj4EllfEEv20rocsparse_direction_T3_S2_PKS2_S4_NS_24const_host_device_scalarIT4_EEPKT2_S4_PKS6_SA_S4_SC_S7_SA_S4_SC_SA_PS2_PS6_PS8_21rocsparse_index_base_SG_SG_SG_bbb,@function
_ZN9rocsparseL38bsrgemm_block_per_row_atomic_multipassILj256ELj64ELj4EllfEEv20rocsparse_direction_T3_S2_PKS2_S4_NS_24const_host_device_scalarIT4_EEPKT2_S4_PKS6_SA_S4_SC_S7_SA_S4_SC_SA_PS2_PS6_PS8_21rocsparse_index_base_SG_SG_SG_bbb: ; @_ZN9rocsparseL38bsrgemm_block_per_row_atomic_multipassILj256ELj64ELj4EllfEEv20rocsparse_direction_T3_S2_PKS2_S4_NS_24const_host_device_scalarIT4_EEPKT2_S4_PKS6_SA_S4_SC_S7_SA_S4_SC_SA_PS2_PS6_PS8_21rocsparse_index_base_SG_SG_SG_bbb
; %bb.0:
	s_clause 0x3
	s_load_b32 s3, s[0:1], 0xb0
	s_load_b128 s[28:31], s[0:1], 0xa0
	s_load_b64 s[6:7], s[0:1], 0x28
	s_load_b64 s[4:5], s[0:1], 0x60
	s_mov_b32 s2, s15
	s_waitcnt lgkmcnt(0)
	s_bitcmp1_b32 s3, 0
	s_cselect_b32 s8, -1, 0
	s_bitcmp1_b32 s3, 16
	s_cselect_b32 s9, -1, 0
	s_xor_b32 s10, s8, -1
	s_delay_alu instid0(SALU_CYCLE_1) | instskip(NEXT) | instid1(SALU_CYCLE_1)
	s_or_b32 s10, s10, s9
	s_and_b32 vcc_lo, exec_lo, s10
	s_cbranch_vccnz .LBB98_2
; %bb.1:
	s_load_b32 s6, s[6:7], 0x0
	s_waitcnt lgkmcnt(0)
	v_mov_b32_e32 v33, s6
	s_branch .LBB98_3
.LBB98_2:
	v_cndmask_b32_e64 v33, 0, s6, s8
.LBB98_3:
	s_load_b64 s[6:7], s[0:1], 0x20
	s_bitcmp1_b32 s3, 8
	s_cselect_b32 s33, -1, 0
	s_delay_alu instid0(SALU_CYCLE_1) | instskip(NEXT) | instid1(SALU_CYCLE_1)
	s_xor_b32 s3, s33, -1
	s_or_b32 s3, s3, s9
	s_delay_alu instid0(SALU_CYCLE_1)
	s_and_b32 vcc_lo, exec_lo, s3
	s_cbranch_vccnz .LBB98_5
; %bb.4:
	s_load_b32 s3, s[4:5], 0x0
	s_waitcnt lgkmcnt(0)
	v_mov_b32_e32 v34, s3
	s_branch .LBB98_6
.LBB98_5:
	v_cndmask_b32_e64 v34, 0, s4, s33
.LBB98_6:
	s_load_b64 s[4:5], s[0:1], 0x30
	s_mov_b64 s[34:35], 0
	s_waitcnt lgkmcnt(0)
	s_cmp_eq_u64 s[6:7], 0
	s_mov_b32 s3, 0
	s_cbranch_scc1 .LBB98_8
; %bb.7:
	s_load_b64 s[10:11], s[0:1], 0x18
	s_waitcnt lgkmcnt(0)
	s_load_b64 s[10:11], s[10:11], 0x0
	s_waitcnt lgkmcnt(0)
	s_lshl_b64 s[10:11], s[10:11], 3
	s_delay_alu instid0(SALU_CYCLE_1) | instskip(SKIP_2) | instid1(SALU_CYCLE_1)
	s_add_u32 s6, s6, s10
	s_addc_u32 s7, s7, s11
	s_lshl_b64 s[2:3], s[2:3], 3
	s_add_u32 s2, s6, s2
	s_addc_u32 s3, s7, s3
	s_load_b64 s[2:3], s[2:3], 0x0
.LBB98_8:
	s_and_not1_b32 vcc_lo, exec_lo, s8
	s_cbranch_vccz .LBB98_11
; %bb.9:
	s_and_not1_b32 vcc_lo, exec_lo, s8
	s_mov_b64 s[44:45], 0
	s_cbranch_vccz .LBB98_12
.LBB98_10:
	s_load_b128 s[36:39], s[0:1], 0x8
	s_waitcnt lgkmcnt(0)
	v_cmp_lt_i64_e64 s4, s[36:37], 1
	s_delay_alu instid0(VALU_DEP_1)
	s_and_b32 vcc_lo, exec_lo, s4
	s_cbranch_vccz .LBB98_13
	s_branch .LBB98_94
.LBB98_11:
	s_waitcnt lgkmcnt(0)
	s_lshl_b64 s[6:7], s[2:3], 3
	s_delay_alu instid0(SALU_CYCLE_1)
	s_add_u32 s6, s4, s6
	s_addc_u32 s7, s5, s7
	s_load_b64 s[6:7], s[6:7], 0x0
	s_waitcnt lgkmcnt(0)
	s_sub_u32 s34, s6, s28
	s_subb_u32 s35, s7, 0
	s_and_not1_b32 vcc_lo, exec_lo, s8
	s_mov_b64 s[44:45], 0
	s_cbranch_vccnz .LBB98_10
.LBB98_12:
	s_waitcnt lgkmcnt(0)
	s_lshl_b64 s[6:7], s[2:3], 3
	s_delay_alu instid0(SALU_CYCLE_1)
	s_add_u32 s4, s4, s6
	s_addc_u32 s5, s5, s7
	s_load_b64 s[4:5], s[4:5], 0x8
	s_waitcnt lgkmcnt(0)
	s_sub_u32 s44, s4, s28
	s_subb_u32 s45, s5, 0
	s_load_b128 s[36:39], s[0:1], 0x8
	s_waitcnt lgkmcnt(0)
	v_cmp_lt_i64_e64 s4, s[36:37], 1
	s_delay_alu instid0(VALU_DEP_1)
	s_and_b32 vcc_lo, exec_lo, s4
	s_cbranch_vccnz .LBB98_94
.LBB98_13:
	s_clause 0x4
	s_load_b256 s[12:19], s[0:1], 0x68
	s_load_b64 s[46:47], s[0:1], 0x98
	s_load_b128 s[40:43], s[0:1], 0x88
	s_load_b64 s[48:49], s[0:1], 0x58
	s_load_b256 s[20:27], s[0:1], 0x38
	v_bfe_u32 v7, v0, 2, 2
	v_dual_mov_b32 v2, 0 :: v_dual_and_b32 v3, 3, v0
	s_lshl_b64 s[6:7], s[2:3], 3
	s_mul_i32 s4, s38, s39
	s_delay_alu instid0(VALU_DEP_2)
	v_mad_u64_u32 v[5:6], null, v7, s38, 0
	v_and_b32_e32 v15, 15, v0
	v_mad_u64_u32 v[9:10], null, v3, s38, 0
	v_mov_b32_e32 v8, v2
	s_mul_hi_u32 s9, s38, s38
	s_load_b32 s5, s[0:1], 0x0
	s_delay_alu instid0(VALU_DEP_4)
	v_mov_b32_e32 v4, v6
	v_lshrrev_b32_e32 v1, 4, v0
	s_waitcnt lgkmcnt(0)
	s_add_u32 s2, s18, s6
	s_addc_u32 s3, s19, s7
	v_lshlrev_b32_e32 v35, 2, v0
	s_load_b64 s[2:3], s[2:3], 0x0
	v_mad_u64_u32 v[11:12], null, v7, s39, v[4:5]
	v_mov_b32_e32 v4, v10
	v_cmp_lt_i64_e64 s18, s[34:35], s[44:45]
	v_and_b32_e32 v38, 12, v0
	s_mov_b32 s54, s31
	v_cmp_gt_u32_e64 s0, 64, v0
	v_mad_u64_u32 v[12:13], null, v3, s39, v[4:5]
	v_mov_b32_e32 v6, v11
	v_mov_b32_e32 v4, v2
	v_cmp_eq_u32_e64 s1, 0, v0
	v_or_b32_e32 v36, 0x1000, v35
	v_or_b32_e32 v43, 0x1400, v35
	v_lshlrev_b64 v[13:14], 2, v[5:6]
	v_dual_mov_b32 v10, v12 :: v_dual_lshlrev_b32 v5, 2, v3
	v_cmp_gt_u64_e32 vcc_lo, s[38:39], v[7:8]
	v_mov_b32_e32 v6, v2
	s_waitcnt lgkmcnt(0)
	s_sub_u32 s10, s2, s30
	v_add_co_u32 v11, s2, s22, v13
	s_subb_u32 s11, s3, 0
	s_add_i32 s3, s9, s4
	v_add_co_ci_u32_e64 v12, s2, s23, v14, s2
	s_add_i32 s51, s3, s4
	v_cmp_gt_i64_e64 s3, s[38:39], v[3:4]
	v_cmp_gt_i64_e64 s2, s[38:39], v[7:8]
	v_lshlrev_b64 v[9:10], 2, v[9:10]
	v_add_co_u32 v4, s4, v11, v5
	v_lshlrev_b64 v[7:8], 2, v[7:8]
	v_add_co_ci_u32_e64 v37, s4, 0, v12, s4
	s_and_b32 s52, s3, s2
	s_delay_alu instid0(VALU_DEP_4) | instskip(NEXT) | instid1(VALU_DEP_1)
	v_add_co_u32 v11, s2, s42, v9
	v_add_co_ci_u32_e64 v12, s2, s43, v10, s2
	v_add_co_u32 v16, s2, s42, v13
	s_delay_alu instid0(VALU_DEP_1) | instskip(NEXT) | instid1(VALU_DEP_4)
	v_add_co_ci_u32_e64 v17, s2, s43, v14, s2
	v_add_co_u32 v11, s2, v11, v7
	s_delay_alu instid0(VALU_DEP_1) | instskip(NEXT) | instid1(VALU_DEP_4)
	v_add_co_ci_u32_e64 v12, s2, v12, v8, s2
	v_add_co_u32 v16, s2, v16, v5
	s_delay_alu instid0(VALU_DEP_1) | instskip(SKIP_1) | instid1(VALU_DEP_1)
	v_add_co_ci_u32_e64 v17, s2, 0, v17, s2
	v_add_co_u32 v9, s2, s16, v9
	v_add_co_ci_u32_e64 v10, s2, s17, v10, s2
	v_sub_co_u32 v39, s2, v1, s31
	s_delay_alu instid0(VALU_DEP_1) | instskip(NEXT) | instid1(VALU_DEP_4)
	v_sub_co_ci_u32_e64 v40, null, 0, 0, s2
	v_add_co_u32 v7, s2, v9, v7
	s_delay_alu instid0(VALU_DEP_1)
	v_add_co_ci_u32_e64 v8, s2, v10, v8, s2
	v_add_co_u32 v10, s2, s16, v13
	s_cmp_eq_u32 s5, 0
	v_and_b32_e32 v9, 63, v0
	v_add_co_ci_u32_e64 v13, s2, s17, v14, s2
	s_cselect_b32 s9, -1, 0
	s_cmp_lg_u32 s5, 0
	v_add_co_u32 v10, s2, v10, v5
	s_cselect_b32 s53, -1, 0
	s_add_u32 s12, s12, s6
	s_addc_u32 s13, s13, s7
	v_lshlrev_b32_e32 v14, 2, v9
	v_add_co_u32 v18, s31, v9, -1
	v_add_co_ci_u32_e64 v13, s2, 0, v13, s2
	s_and_b32 s55, s8, s18
	s_and_b32 s56, s3, vcc_lo
	v_cmp_ne_u32_e64 s3, 0, v9
	v_cmp_lt_u32_e64 s4, 1, v9
	v_cmp_lt_u32_e64 s5, 3, v9
	;; [unrolled: 1-line block ×5, first 2 shown]
	v_lshlrev_b32_e32 v9, 6, v1
	v_cmp_eq_u32_e64 s2, 15, v15
	v_cndmask_b32_e64 v49, v12, v17, s9
	v_cndmask_b32_e64 v50, v11, v16, s9
	v_mov_b32_e32 v15, 64
	v_or_b32_e32 v41, 0x1400, v14
	v_add_nc_u32_e32 v44, 0x13f8, v14
	v_add_nc_u32_e32 v45, 0x13f0, v14
	;; [unrolled: 1-line block ×5, first 2 shown]
	v_cndmask_b32_e64 v8, v8, v13, s9
	v_cndmask_b32_e64 v7, v7, v10, s9
	s_movk_i32 s9, 0x3f0
	v_add_co_u32 v53, vcc_lo, v39, 16
	v_mov_b32_e32 v13, 0
	v_or3_b32 v51, v9, v38, 0x1000
	v_add_co_u32 v9, s16, s48, v5
	v_dual_mov_b32 v12, s11 :: v_dual_mov_b32 v11, s10
	v_lshl_add_u32 v42, v18, 2, 0x1400
	s_add_u32 s57, s24, 8
	v_or_b32_e32 v0, 0xffffff00, v0
	v_add_co_ci_u32_e64 v10, null, s49, 0, s16
	v_and_or_b32 v52, v35, s9, 0x1000
	v_add_co_ci_u32_e32 v54, vcc_lo, 0, v40, vcc_lo
	v_lshl_or_b32 v55, v1, 2, 0x1400
	v_mov_b32_e32 v14, 0
	v_mov_b32_e32 v16, 0
	;; [unrolled: 1-line block ×3, first 2 shown]
	s_mul_i32 s50, s38, s38
	s_addc_u32 s58, s25, 0
	s_add_u32 s59, s40, -8
	s_addc_u32 s60, s41, -1
	s_lshl_b64 s[22:23], s[38:39], 2
	s_lshl_b64 s[40:41], s[50:51], 2
	;; [unrolled: 1-line block ×3, first 2 shown]
	s_branch .LBB98_15
.LBB98_14:                              ;   in Loop: Header=BB98_15 Depth=1
	s_or_b32 exec_lo, exec_lo, s9
	s_waitcnt_vscnt null, 0x0
	s_barrier
	buffer_gl0_inv
	ds_load_b64 v[13:14], v2 offset:5376
	v_ashrrev_i32_e32 v15, 31, v16
	v_add_co_u32 v11, vcc_lo, v11, v16
	s_waitcnt lgkmcnt(0)
	s_barrier
	s_delay_alu instid0(VALU_DEP_2) | instskip(SKIP_3) | instid1(VALU_DEP_1)
	v_add_co_ci_u32_e32 v12, vcc_lo, v12, v15, vcc_lo
	buffer_gl0_inv
	v_cmp_le_i64_e32 vcc_lo, s[36:37], v[13:14]
	v_add_co_u32 v15, s9, v13, 64
	v_add_co_ci_u32_e64 v16, s9, 0, v14, s9
	s_cbranch_vccnz .LBB98_94
.LBB98_15:                              ; =>This Loop Header: Depth=1
                                        ;     Child Loop BB98_18 Depth 2
                                        ;     Child Loop BB98_24 Depth 2
                                        ;       Child Loop BB98_39 Depth 3
                                        ;         Child Loop BB98_51 Depth 4
                                        ;         Child Loop BB98_47 Depth 4
                                        ;     Child Loop BB98_61 Depth 2
                                        ;     Child Loop BB98_70 Depth 2
	;; [unrolled: 1-line block ×3, first 2 shown]
	s_and_saveexec_b32 s9, s0
	s_cbranch_execz .LBB98_17
; %bb.16:                               ;   in Loop: Header=BB98_15 Depth=1
	ds_store_b32 v43, v2
.LBB98_17:                              ;   in Loop: Header=BB98_15 Depth=1
	s_or_b32 exec_lo, exec_lo, s9
	v_dual_mov_b32 v17, v35 :: v_dual_mov_b32 v18, v0
	s_mov_b32 s9, 0
.LBB98_18:                              ;   Parent Loop BB98_15 Depth=1
                                        ; =>  This Inner Loop Header: Depth=2
	s_delay_alu instid0(VALU_DEP_1) | instskip(SKIP_4) | instid1(SALU_CYCLE_1)
	v_add_nc_u32_e32 v18, 0x100, v18
	ds_store_b32 v17, v2
	v_add_nc_u32_e32 v17, 0x400, v17
	v_cmp_lt_u32_e32 vcc_lo, 0x2ff, v18
	s_or_b32 s9, vcc_lo, s9
	s_and_not1_b32 exec_lo, exec_lo, s9
	s_cbranch_execnz .LBB98_18
; %bb.19:                               ;   in Loop: Header=BB98_15 Depth=1
	s_or_b32 exec_lo, exec_lo, s9
	s_and_saveexec_b32 s9, s1
	s_cbranch_execz .LBB98_21
; %bb.20:                               ;   in Loop: Header=BB98_15 Depth=1
	v_dual_mov_b32 v17, s36 :: v_dual_mov_b32 v18, s37
	ds_store_b64 v2, v[17:18] offset:5376
.LBB98_21:                              ;   in Loop: Header=BB98_15 Depth=1
	s_or_b32 exec_lo, exec_lo, s9
	v_dual_mov_b32 v17, s36 :: v_dual_mov_b32 v18, s37
	s_and_not1_b32 vcc_lo, exec_lo, s55
	s_waitcnt lgkmcnt(0)
	s_barrier
	buffer_gl0_inv
	s_cbranch_vccnz .LBB98_56
; %bb.22:                               ;   in Loop: Header=BB98_15 Depth=1
	v_cmp_ne_u64_e64 s9, 0, v[13:14]
	v_dual_mov_b32 v17, s36 :: v_dual_mov_b32 v18, s37
	s_mov_b64 s[16:17], s[34:35]
	s_branch .LBB98_24
.LBB98_23:                              ;   in Loop: Header=BB98_24 Depth=2
	s_or_b32 exec_lo, exec_lo, s11
	s_add_u32 s16, s16, 16
	s_addc_u32 s17, s17, 0
	s_delay_alu instid0(SALU_CYCLE_1) | instskip(NEXT) | instid1(VALU_DEP_1)
	v_cmp_lt_i64_e64 s10, s[16:17], s[44:45]
	s_and_b32 vcc_lo, exec_lo, s10
	s_cbranch_vccz .LBB98_56
.LBB98_24:                              ;   Parent Loop BB98_15 Depth=1
                                        ; =>  This Loop Header: Depth=2
                                        ;       Child Loop BB98_39 Depth 3
                                        ;         Child Loop BB98_51 Depth 4
                                        ;         Child Loop BB98_47 Depth 4
	v_add_co_u32 v19, s10, s16, v1
	s_delay_alu instid0(VALU_DEP_1) | instskip(NEXT) | instid1(VALU_DEP_1)
	v_add_co_ci_u32_e64 v20, null, s17, 0, s10
	s_waitcnt_vscnt null, 0x0
	s_barrier
	buffer_gl0_inv
	v_cmp_gt_i64_e64 s10, s[44:45], v[19:20]
	s_delay_alu instid0(VALU_DEP_1)
	s_and_saveexec_b32 s11, s10
	s_cbranch_execz .LBB98_28
; %bb.25:                               ;   in Loop: Header=BB98_24 Depth=2
	v_mov_b32_e32 v21, 0
	s_and_saveexec_b32 s18, s56
	s_cbranch_execz .LBB98_27
; %bb.26:                               ;   in Loop: Header=BB98_24 Depth=2
	v_mul_lo_u32 v23, v20, s50
	v_mul_lo_u32 v24, v19, s51
	v_mad_u64_u32 v[21:22], null, v19, s50, 0
	s_delay_alu instid0(VALU_DEP_1) | instskip(NEXT) | instid1(VALU_DEP_1)
	v_add3_u32 v22, v22, v24, v23
	v_lshlrev_b64 v[21:22], 2, v[21:22]
	s_delay_alu instid0(VALU_DEP_1) | instskip(NEXT) | instid1(VALU_DEP_2)
	v_add_co_u32 v21, vcc_lo, v4, v21
	v_add_co_ci_u32_e32 v22, vcc_lo, v37, v22, vcc_lo
	global_load_b32 v21, v[21:22], off
.LBB98_27:                              ;   in Loop: Header=BB98_24 Depth=2
	s_or_b32 exec_lo, exec_lo, s18
	s_waitcnt vmcnt(0)
	ds_store_b32 v36, v21
.LBB98_28:                              ;   in Loop: Header=BB98_24 Depth=2
	s_or_b32 exec_lo, exec_lo, s11
	v_mov_b32_e32 v21, 0
	v_lshlrev_b64 v[19:20], 3, v[19:20]
	v_mov_b32_e32 v22, 0
	s_waitcnt lgkmcnt(0)
	s_barrier
	buffer_gl0_inv
	s_and_saveexec_b32 s61, s10
	s_cbranch_execz .LBB98_54
; %bb.29:                               ;   in Loop: Header=BB98_24 Depth=2
	v_add_co_u32 v21, vcc_lo, s20, v19
	v_add_co_ci_u32_e32 v22, vcc_lo, s21, v20, vcc_lo
	s_and_b32 vcc_lo, exec_lo, s9
	global_load_b64 v[23:24], v[21:22], off
	s_cbranch_vccz .LBB98_31
; %bb.30:                               ;   in Loop: Header=BB98_24 Depth=2
	v_add_co_u32 v21, vcc_lo, s46, v19
	v_add_co_ci_u32_e32 v22, vcc_lo, s47, v20, vcc_lo
	s_mov_b32 s11, 0
	global_load_b64 v[21:22], v[21:22], off
	s_branch .LBB98_32
.LBB98_31:                              ;   in Loop: Header=BB98_24 Depth=2
	s_mov_b32 s11, -1
                                        ; implicit-def: $vgpr21_vgpr22
.LBB98_32:                              ;   in Loop: Header=BB98_24 Depth=2
	s_waitcnt vmcnt(0)
	v_sub_co_u32 v23, vcc_lo, v23, s28
	v_subrev_co_ci_u32_e32 v24, vcc_lo, 0, v24, vcc_lo
	s_and_not1_b32 vcc_lo, exec_lo, s11
	s_delay_alu instid0(VALU_DEP_1)
	v_lshlrev_b64 v[23:24], 3, v[23:24]
	s_cbranch_vccnz .LBB98_34
; %bb.33:                               ;   in Loop: Header=BB98_24 Depth=2
	s_delay_alu instid0(VALU_DEP_1) | instskip(NEXT) | instid1(VALU_DEP_2)
	v_add_co_u32 v21, vcc_lo, s24, v23
	v_add_co_ci_u32_e32 v22, vcc_lo, s25, v24, vcc_lo
	global_load_b64 v[21:22], v[21:22], off
	s_waitcnt vmcnt(0)
	v_sub_co_u32 v21, vcc_lo, v21, s29
	v_subrev_co_ci_u32_e32 v22, vcc_lo, 0, v22, vcc_lo
.LBB98_34:                              ;   in Loop: Header=BB98_24 Depth=2
	s_delay_alu instid0(VALU_DEP_1) | instskip(NEXT) | instid1(VALU_DEP_2)
	v_add_co_u32 v23, vcc_lo, s57, v23
	v_add_co_ci_u32_e32 v24, vcc_lo, s58, v24, vcc_lo
	s_mov_b32 s62, exec_lo
	global_load_b64 v[23:24], v[23:24], off
	s_waitcnt vmcnt(0)
	v_sub_co_u32 v23, vcc_lo, v23, s29
	v_subrev_co_ci_u32_e32 v24, vcc_lo, 0, v24, vcc_lo
	s_delay_alu instid0(VALU_DEP_1)
	v_cmpx_lt_i64_e64 v[21:22], v[23:24]
	s_cbranch_execz .LBB98_53
; %bb.35:                               ;   in Loop: Header=BB98_24 Depth=2
	v_mad_u64_u32 v[29:30], null, s22, v21, v[5:6]
	v_mul_lo_u32 v27, s22, v22
	v_mul_lo_u32 v28, s23, v21
	v_mad_u64_u32 v[25:26], null, s40, v21, v[9:10]
	v_mul_lo_u32 v31, s40, v22
	v_mul_lo_u32 v32, s41, v21
	;; [unrolled: 1-line block ×3, first 2 shown]
	s_mov_b32 s63, 0
	v_add3_u32 v30, v28, v30, v27
	v_mad_u64_u32 v[27:28], null, s38, v29, s[48:49]
	s_delay_alu instid0(VALU_DEP_4) | instskip(NEXT) | instid1(VALU_DEP_3)
	v_add3_u32 v26, v32, v26, v31
	v_mul_lo_u32 v29, s38, v30
	s_delay_alu instid0(VALU_DEP_1)
	v_add3_u32 v28, v57, v28, v29
	v_dual_mov_b32 v30, v22 :: v_dual_mov_b32 v29, v21
	s_branch .LBB98_39
.LBB98_36:                              ;   in Loop: Header=BB98_39 Depth=3
	s_delay_alu instid0(VALU_DEP_1) | instskip(NEXT) | instid1(VALU_DEP_1)
	v_dual_mul_f32 v32, v33, v58 :: v_dual_lshlrev_b32 v31, 4, v57
	v_or3_b32 v31, v31, v38, v3
	s_delay_alu instid0(VALU_DEP_1)
	v_lshlrev_b32_e32 v31, 2, v31
	ds_add_f32 v31, v32
.LBB98_37:                              ;   in Loop: Header=BB98_39 Depth=3
	s_or_b32 exec_lo, exec_lo, s65
	s_delay_alu instid0(SALU_CYCLE_1)
	s_or_b32 s11, s11, exec_lo
.LBB98_38:                              ;   in Loop: Header=BB98_39 Depth=3
	s_or_b32 exec_lo, exec_lo, s64
	v_add_co_u32 v21, vcc_lo, v21, 1
	v_add_co_ci_u32_e32 v22, vcc_lo, 0, v22, vcc_lo
	s_xor_b32 s18, s11, -1
	v_add_co_u32 v27, s11, v27, s40
	s_delay_alu instid0(VALU_DEP_2)
	v_cmp_ge_i64_e32 vcc_lo, v[21:22], v[23:24]
	v_add_co_ci_u32_e64 v28, s11, s41, v28, s11
	s_or_b32 s11, s18, vcc_lo
	v_add_co_u32 v25, vcc_lo, v25, s40
	v_add_co_ci_u32_e32 v26, vcc_lo, s41, v26, vcc_lo
	s_and_b32 s11, exec_lo, s11
	s_delay_alu instid0(SALU_CYCLE_1) | instskip(NEXT) | instid1(SALU_CYCLE_1)
	s_or_b32 s63, s11, s63
	s_and_not1_b32 exec_lo, exec_lo, s63
	s_cbranch_execz .LBB98_52
.LBB98_39:                              ;   Parent Loop BB98_15 Depth=1
                                        ;     Parent Loop BB98_24 Depth=2
                                        ; =>    This Loop Header: Depth=3
                                        ;         Child Loop BB98_51 Depth 4
                                        ;         Child Loop BB98_47 Depth 4
	v_lshlrev_b64 v[31:32], 3, v[21:22]
	s_delay_alu instid0(VALU_DEP_1) | instskip(NEXT) | instid1(VALU_DEP_2)
	v_add_co_u32 v31, vcc_lo, s26, v31
	v_add_co_ci_u32_e32 v32, vcc_lo, s27, v32, vcc_lo
	global_load_b64 v[31:32], v[31:32], off
	s_waitcnt vmcnt(0)
	v_sub_co_u32 v31, vcc_lo, v31, s29
	v_subrev_co_ci_u32_e32 v32, vcc_lo, 0, v32, vcc_lo
	s_delay_alu instid0(VALU_DEP_1) | instskip(SKIP_1) | instid1(VALU_DEP_2)
	v_cmp_lt_i64_e64 s11, v[31:32], v[13:14]
	v_cmp_ge_i64_e32 vcc_lo, v[31:32], v[15:16]
	s_or_b32 s18, s11, vcc_lo
                                        ; implicit-def: $sgpr11
	s_delay_alu instid0(SALU_CYCLE_1) | instskip(NEXT) | instid1(SALU_CYCLE_1)
	s_and_saveexec_b32 s19, s18
	s_xor_b32 s18, exec_lo, s19
	s_cbranch_execz .LBB98_43
; %bb.40:                               ;   in Loop: Header=BB98_39 Depth=3
	s_mov_b32 s19, -1
	s_and_saveexec_b32 s11, vcc_lo
; %bb.41:                               ;   in Loop: Header=BB98_39 Depth=3
	v_cmp_lt_i64_e32 vcc_lo, v[31:32], v[17:18]
	v_dual_mov_b32 v30, v22 :: v_dual_mov_b32 v29, v21
	s_xor_b32 s19, exec_lo, -1
	v_dual_cndmask_b32 v18, v18, v32 :: v_dual_cndmask_b32 v17, v17, v31
; %bb.42:                               ;   in Loop: Header=BB98_39 Depth=3
	s_or_b32 exec_lo, exec_lo, s11
	s_delay_alu instid0(SALU_CYCLE_1)
	s_and_b32 s11, s19, exec_lo
                                        ; implicit-def: $vgpr31_vgpr32
.LBB98_43:                              ;   in Loop: Header=BB98_39 Depth=3
	s_and_not1_saveexec_b32 s64, s18
	s_cbranch_execz .LBB98_38
; %bb.44:                               ;   in Loop: Header=BB98_39 Depth=3
	v_sub_nc_u32_e32 v57, v31, v13
	s_delay_alu instid0(VALU_DEP_1)
	v_lshlrev_b32_e32 v31, 2, v57
	ds_store_b32 v31, v56 offset:5120
	s_and_saveexec_b32 s65, s52
	s_cbranch_execz .LBB98_37
; %bb.45:                               ;   in Loop: Header=BB98_39 Depth=3
	s_and_not1_b32 vcc_lo, exec_lo, s53
	s_cbranch_vccnz .LBB98_49
; %bb.46:                               ;   in Loop: Header=BB98_39 Depth=3
	v_dual_mov_b32 v58, 0 :: v_dual_mov_b32 v59, v51
	v_dual_mov_b32 v32, v28 :: v_dual_mov_b32 v31, v27
	s_mov_b64 s[18:19], s[38:39]
.LBB98_47:                              ;   Parent Loop BB98_15 Depth=1
                                        ;     Parent Loop BB98_24 Depth=2
                                        ;       Parent Loop BB98_39 Depth=3
                                        ; =>      This Inner Loop Header: Depth=4
	global_load_b32 v60, v[31:32], off
	ds_load_b32 v61, v59
	v_add_co_u32 v31, vcc_lo, v31, 4
	v_add_co_ci_u32_e32 v32, vcc_lo, 0, v32, vcc_lo
	s_add_u32 s18, s18, -1
	v_add_nc_u32_e32 v59, 16, v59
	s_addc_u32 s19, s19, -1
	s_delay_alu instid0(SALU_CYCLE_1)
	s_cmp_lg_u64 s[18:19], 0
	s_waitcnt vmcnt(0) lgkmcnt(0)
	v_fmac_f32_e32 v58, v61, v60
	s_cbranch_scc1 .LBB98_47
; %bb.48:                               ;   in Loop: Header=BB98_39 Depth=3
	s_branch .LBB98_36
.LBB98_49:                              ;   in Loop: Header=BB98_39 Depth=3
                                        ; implicit-def: $vgpr58
	s_cbranch_execz .LBB98_36
; %bb.50:                               ;   in Loop: Header=BB98_39 Depth=3
	v_dual_mov_b32 v58, 0 :: v_dual_mov_b32 v59, v52
	v_dual_mov_b32 v32, v26 :: v_dual_mov_b32 v31, v25
	s_mov_b64 s[18:19], s[38:39]
.LBB98_51:                              ;   Parent Loop BB98_15 Depth=1
                                        ;     Parent Loop BB98_24 Depth=2
                                        ;       Parent Loop BB98_39 Depth=3
                                        ; =>      This Inner Loop Header: Depth=4
	global_load_b32 v60, v[31:32], off
	ds_load_b32 v61, v59
	v_add_co_u32 v31, vcc_lo, v31, s22
	s_add_u32 s18, s18, -1
	v_add_co_ci_u32_e32 v32, vcc_lo, s23, v32, vcc_lo
	v_add_nc_u32_e32 v59, 4, v59
	s_addc_u32 s19, s19, -1
	s_delay_alu instid0(SALU_CYCLE_1)
	s_cmp_eq_u64 s[18:19], 0
	s_waitcnt vmcnt(0) lgkmcnt(0)
	v_fmac_f32_e32 v58, v61, v60
	s_cbranch_scc0 .LBB98_51
	s_branch .LBB98_36
.LBB98_52:                              ;   in Loop: Header=BB98_24 Depth=2
	s_or_b32 exec_lo, exec_lo, s63
	v_dual_mov_b32 v21, v29 :: v_dual_mov_b32 v22, v30
.LBB98_53:                              ;   in Loop: Header=BB98_24 Depth=2
	s_or_b32 exec_lo, exec_lo, s62
.LBB98_54:                              ;   in Loop: Header=BB98_24 Depth=2
	s_delay_alu instid0(SALU_CYCLE_1)
	s_or_b32 exec_lo, exec_lo, s61
	s_waitcnt lgkmcnt(0)
	s_barrier
	buffer_gl0_inv
	s_and_saveexec_b32 s11, s10
	s_cbranch_execz .LBB98_23
; %bb.55:                               ;   in Loop: Header=BB98_24 Depth=2
	v_add_co_u32 v19, vcc_lo, s46, v19
	v_add_co_ci_u32_e32 v20, vcc_lo, s47, v20, vcc_lo
	global_store_b64 v[19:20], v[21:22], off
	s_branch .LBB98_23
.LBB98_56:                              ;   in Loop: Header=BB98_15 Depth=1
	s_and_not1_b32 vcc_lo, exec_lo, s33
	s_cbranch_vccnz .LBB98_68
; %bb.57:                               ;   in Loop: Header=BB98_15 Depth=1
	s_load_b128 s[16:19], s[12:13], 0x0
	s_waitcnt lgkmcnt(0)
	v_add_co_u32 v21, vcc_lo, s16, v39
	v_add_co_ci_u32_e32 v22, vcc_lo, s17, v40, vcc_lo
	s_sub_u32 s10, s18, s54
	s_subb_u32 s11, s19, 0
	s_mov_b32 s18, exec_lo
	s_delay_alu instid0(VALU_DEP_1)
	v_cmpx_gt_i64_e64 s[10:11], v[21:22]
	s_cbranch_execz .LBB98_67
; %bb.58:                               ;   in Loop: Header=BB98_15 Depth=1
	v_lshlrev_b64 v[23:24], 3, v[21:22]
	v_mad_u64_u32 v[19:20], null, s40, v21, v[7:8]
	v_mul_lo_u32 v25, s40, v22
	v_mul_lo_u32 v26, s41, v21
	s_delay_alu instid0(VALU_DEP_4) | instskip(SKIP_2) | instid1(VALU_DEP_4)
	v_add_co_u32 v21, vcc_lo, s14, v23
	v_add_co_ci_u32_e32 v22, vcc_lo, s15, v24, vcc_lo
	v_add_co_u32 v23, vcc_lo, v53, s16
	v_add3_u32 v20, v26, v20, v25
	v_add_co_ci_u32_e32 v24, vcc_lo, s17, v54, vcc_lo
	s_mov_b32 s16, 0
	s_branch .LBB98_61
.LBB98_59:                              ;   in Loop: Header=BB98_61 Depth=2
	s_or_b32 exec_lo, exec_lo, s19
	s_delay_alu instid0(SALU_CYCLE_1)
	s_or_b32 s9, s9, exec_lo
.LBB98_60:                              ;   in Loop: Header=BB98_61 Depth=2
	s_or_b32 exec_lo, exec_lo, s17
	v_cmp_le_i64_e32 vcc_lo, s[10:11], v[23:24]
	s_xor_b32 s17, s9, -1
	v_add_co_u32 v21, s9, 0x80, v21
	s_delay_alu instid0(VALU_DEP_1)
	v_add_co_ci_u32_e64 v22, s9, 0, v22, s9
	s_or_b32 s9, s17, vcc_lo
	v_add_co_u32 v19, vcc_lo, v19, s42
	v_add_co_ci_u32_e32 v20, vcc_lo, s43, v20, vcc_lo
	v_add_co_u32 v23, vcc_lo, v23, 16
	v_add_co_ci_u32_e32 v24, vcc_lo, 0, v24, vcc_lo
	s_and_b32 s9, exec_lo, s9
	s_delay_alu instid0(SALU_CYCLE_1) | instskip(NEXT) | instid1(SALU_CYCLE_1)
	s_or_b32 s16, s9, s16
	s_and_not1_b32 exec_lo, exec_lo, s16
	s_cbranch_execz .LBB98_66
.LBB98_61:                              ;   Parent Loop BB98_15 Depth=1
                                        ; =>  This Inner Loop Header: Depth=2
	global_load_b64 v[25:26], v[21:22], off
	s_waitcnt vmcnt(0)
	v_sub_co_u32 v25, vcc_lo, v25, s54
	v_subrev_co_ci_u32_e32 v26, vcc_lo, 0, v26, vcc_lo
	s_delay_alu instid0(VALU_DEP_1)
	v_cmp_lt_i64_e32 vcc_lo, v[25:26], v[15:16]
	v_cmp_lt_i64_e64 s9, v[25:26], v[13:14]
	s_xor_b32 s17, vcc_lo, -1
	s_delay_alu instid0(VALU_DEP_1) | instid1(SALU_CYCLE_1)
	s_or_b32 s17, s9, s17
                                        ; implicit-def: $sgpr9
	s_delay_alu instid0(SALU_CYCLE_1) | instskip(NEXT) | instid1(SALU_CYCLE_1)
	s_and_saveexec_b32 s19, s17
	s_xor_b32 s17, exec_lo, s19
; %bb.62:                               ;   in Loop: Header=BB98_61 Depth=2
	v_cmp_lt_i64_e64 s9, v[25:26], v[17:18]
	s_delay_alu instid0(VALU_DEP_1) | instskip(SKIP_2) | instid1(VALU_DEP_1)
	v_cndmask_b32_e64 v25, v17, v25, s9
	v_cndmask_b32_e64 v26, v18, v26, s9
	s_and_b32 s9, vcc_lo, exec_lo
	v_dual_cndmask_b32 v17, v25, v17 :: v_dual_cndmask_b32 v18, v26, v18
                                        ; implicit-def: $vgpr25
; %bb.63:                               ;   in Loop: Header=BB98_61 Depth=2
	s_and_not1_saveexec_b32 s17, s17
	s_cbranch_execz .LBB98_60
; %bb.64:                               ;   in Loop: Header=BB98_61 Depth=2
	v_sub_nc_u32_e32 v25, v25, v13
	s_delay_alu instid0(VALU_DEP_1)
	v_lshlrev_b32_e32 v26, 2, v25
	ds_store_b32 v26, v56 offset:5120
	s_and_saveexec_b32 s19, s56
	s_cbranch_execz .LBB98_59
; %bb.65:                               ;   in Loop: Header=BB98_61 Depth=2
	global_load_b32 v26, v[19:20], off
	s_waitcnt vmcnt(0)
	v_dual_mul_f32 v26, v34, v26 :: v_dual_lshlrev_b32 v25, 4, v25
	s_delay_alu instid0(VALU_DEP_1) | instskip(NEXT) | instid1(VALU_DEP_1)
	v_or3_b32 v25, v25, v38, v3
	v_lshlrev_b32_e32 v25, 2, v25
	ds_add_f32 v25, v26
	s_branch .LBB98_59
.LBB98_66:                              ;   in Loop: Header=BB98_15 Depth=1
	s_or_b32 exec_lo, exec_lo, s16
.LBB98_67:                              ;   in Loop: Header=BB98_15 Depth=1
	s_delay_alu instid0(SALU_CYCLE_1)
	s_or_b32 exec_lo, exec_lo, s18
.LBB98_68:                              ;   in Loop: Header=BB98_15 Depth=1
	s_and_saveexec_b32 s9, s2
	s_cbranch_execz .LBB98_73
; %bb.69:                               ;   in Loop: Header=BB98_15 Depth=1
	s_mov_b32 s16, exec_lo
	s_mov_b64 s[10:11], -1
.LBB98_70:                              ;   Parent Loop BB98_15 Depth=1
                                        ; =>  This Inner Loop Header: Depth=2
	s_ctz_i32_b32 s17, s16
	s_delay_alu instid0(SALU_CYCLE_1) | instskip(SKIP_1) | instid1(VALU_DEP_1)
	v_readlane_b32 s19, v18, s17
	v_readlane_b32 s18, v17, s17
	v_cmp_lt_u64_e64 s61, s[10:11], s[18:19]
	s_delay_alu instid0(VALU_DEP_1) | instskip(SKIP_3) | instid1(SALU_CYCLE_1)
	s_and_b32 s61, s61, exec_lo
	s_cselect_b32 s11, s11, s19
	s_cselect_b32 s10, s10, s18
	s_lshl_b32 s17, 1, s17
	s_and_not1_b32 s16, s16, s17
	s_delay_alu instid0(SALU_CYCLE_1)
	s_cmp_lg_u32 s16, 0
	s_cbranch_scc1 .LBB98_70
; %bb.71:                               ;   in Loop: Header=BB98_15 Depth=1
	v_mbcnt_lo_u32_b32 v15, exec_lo, 0
	s_mov_b32 s16, exec_lo
	s_delay_alu instid0(VALU_DEP_1)
	v_cmpx_eq_u32_e32 0, v15
	s_xor_b32 s16, exec_lo, s16
	s_cbranch_execz .LBB98_73
; %bb.72:                               ;   in Loop: Header=BB98_15 Depth=1
	v_dual_mov_b32 v16, s11 :: v_dual_mov_b32 v15, s10
	ds_min_u64 v2, v[15:16] offset:5376
.LBB98_73:                              ;   in Loop: Header=BB98_15 Depth=1
	s_or_b32 exec_lo, exec_lo, s9
	s_waitcnt lgkmcnt(0)
	s_waitcnt_vscnt null, 0x0
	s_barrier
	buffer_gl0_inv
	ds_load_b32 v15, v41
	s_waitcnt lgkmcnt(0)
	s_barrier
	buffer_gl0_inv
	s_and_saveexec_b32 s9, s3
	s_cbranch_execz .LBB98_75
; %bb.74:                               ;   in Loop: Header=BB98_15 Depth=1
	ds_load_b32 v16, v42
	s_waitcnt lgkmcnt(0)
	v_add_nc_u32_e32 v15, v16, v15
.LBB98_75:                              ;   in Loop: Header=BB98_15 Depth=1
	s_or_b32 exec_lo, exec_lo, s9
	s_barrier
	buffer_gl0_inv
	ds_store_b32 v41, v15
	s_waitcnt lgkmcnt(0)
	s_barrier
	buffer_gl0_inv
	s_and_saveexec_b32 s9, s4
	s_cbranch_execz .LBB98_77
; %bb.76:                               ;   in Loop: Header=BB98_15 Depth=1
	ds_load_b32 v16, v44
	s_waitcnt lgkmcnt(0)
	v_add_nc_u32_e32 v15, v16, v15
.LBB98_77:                              ;   in Loop: Header=BB98_15 Depth=1
	s_or_b32 exec_lo, exec_lo, s9
	s_barrier
	buffer_gl0_inv
	ds_store_b32 v41, v15
	;; [unrolled: 14-line block ×6, first 2 shown]
	s_waitcnt lgkmcnt(0)
	s_barrier
	buffer_gl0_inv
	ds_load_b32 v16, v2 offset:5372
	v_mov_b32_e32 v17, 0
	s_and_saveexec_b32 s9, s31
	s_cbranch_execz .LBB98_87
; %bb.86:                               ;   in Loop: Header=BB98_15 Depth=1
	ds_load_b32 v17, v42
.LBB98_87:                              ;   in Loop: Header=BB98_15 Depth=1
	s_or_b32 exec_lo, exec_lo, s9
	s_waitcnt lgkmcnt(0)
	v_cmp_eq_u32_e32 vcc_lo, v15, v17
	s_barrier
	buffer_gl0_inv
	s_and_b32 s10, s31, vcc_lo
	s_delay_alu instid0(SALU_CYCLE_1)
	s_and_saveexec_b32 s9, s10
	s_cbranch_execz .LBB98_89
; %bb.88:                               ;   in Loop: Header=BB98_15 Depth=1
	ds_store_b32 v41, v2
.LBB98_89:                              ;   in Loop: Header=BB98_15 Depth=1
	s_or_b32 exec_lo, exec_lo, s9
	v_add_co_u32 v15, vcc_lo, v11, -1
	v_add_co_ci_u32_e32 v17, vcc_lo, -1, v12, vcc_lo
	v_add_co_u32 v18, vcc_lo, s30, v13
	v_add_co_ci_u32_e32 v19, vcc_lo, 0, v14, vcc_lo
	v_dual_mov_b32 v21, v35 :: v_dual_mov_b32 v14, v2
	v_dual_mov_b32 v20, v55 :: v_dual_mov_b32 v13, v1
	s_mov_b32 s9, 0
	s_waitcnt lgkmcnt(0)
	s_barrier
	buffer_gl0_inv
	s_branch .LBB98_91
.LBB98_90:                              ;   in Loop: Header=BB98_91 Depth=2
	s_or_b32 exec_lo, exec_lo, s10
	v_add_co_u32 v13, vcc_lo, v13, 16
	v_add_co_ci_u32_e32 v14, vcc_lo, 0, v14, vcc_lo
	v_add_nc_u32_e32 v21, 0x400, v21
	s_delay_alu instid0(VALU_DEP_3) | instskip(SKIP_1) | instid1(VALU_DEP_2)
	v_add_nc_u32_e32 v22, -16, v13
	v_add_nc_u32_e32 v20, 64, v20
	v_cmp_lt_u32_e32 vcc_lo, 47, v22
	s_or_b32 s9, vcc_lo, s9
	s_delay_alu instid0(SALU_CYCLE_1)
	s_and_not1_b32 exec_lo, exec_lo, s9
	s_cbranch_execz .LBB98_14
.LBB98_91:                              ;   Parent Loop BB98_15 Depth=1
                                        ; =>  This Inner Loop Header: Depth=2
	ds_load_b32 v22, v20
	s_mov_b32 s10, exec_lo
	s_waitcnt lgkmcnt(0)
	v_cmpx_ne_u32_e32 0, v22
	s_cbranch_execz .LBB98_90
; %bb.92:                               ;   in Loop: Header=BB98_91 Depth=2
	v_ashrrev_i32_e32 v23, 31, v22
	v_add_co_u32 v24, vcc_lo, v11, v22
	s_delay_alu instid0(VALU_DEP_2) | instskip(SKIP_2) | instid1(VALU_DEP_3)
	v_add_co_ci_u32_e32 v25, vcc_lo, v12, v23, vcc_lo
	v_add_co_u32 v26, vcc_lo, v18, v13
	v_add_co_ci_u32_e32 v27, vcc_lo, v19, v14, vcc_lo
	v_lshlrev_b64 v[24:25], 3, v[24:25]
	s_delay_alu instid0(VALU_DEP_1) | instskip(NEXT) | instid1(VALU_DEP_2)
	v_add_co_u32 v24, vcc_lo, s59, v24
	v_add_co_ci_u32_e32 v25, vcc_lo, s60, v25, vcc_lo
	global_store_b64 v[24:25], v[26:27], off
	s_and_b32 exec_lo, exec_lo, s56
	s_cbranch_execz .LBB98_90
; %bb.93:                               ;   in Loop: Header=BB98_91 Depth=2
	v_add_co_u32 v24, vcc_lo, v15, v22
	v_add_co_ci_u32_e32 v22, vcc_lo, v17, v23, vcc_lo
	s_delay_alu instid0(VALU_DEP_2) | instskip(NEXT) | instid1(VALU_DEP_2)
	v_mul_lo_u32 v26, v24, s51
	v_mul_lo_u32 v25, v22, s50
	v_mad_u64_u32 v[22:23], null, v24, s50, 0
	ds_load_b32 v24, v21
	v_add3_u32 v23, v23, v26, v25
	s_delay_alu instid0(VALU_DEP_1) | instskip(NEXT) | instid1(VALU_DEP_1)
	v_lshlrev_b64 v[22:23], 2, v[22:23]
	v_add_co_u32 v22, vcc_lo, v50, v22
	s_delay_alu instid0(VALU_DEP_2)
	v_add_co_ci_u32_e32 v23, vcc_lo, v49, v23, vcc_lo
	s_waitcnt lgkmcnt(0)
	global_store_b32 v[22:23], v24, off
	s_branch .LBB98_90
.LBB98_94:
	s_endpgm
	.section	.rodata,"a",@progbits
	.p2align	6, 0x0
	.amdhsa_kernel _ZN9rocsparseL38bsrgemm_block_per_row_atomic_multipassILj256ELj64ELj4EllfEEv20rocsparse_direction_T3_S2_PKS2_S4_NS_24const_host_device_scalarIT4_EEPKT2_S4_PKS6_SA_S4_SC_S7_SA_S4_SC_SA_PS2_PS6_PS8_21rocsparse_index_base_SG_SG_SG_bbb
		.amdhsa_group_segment_fixed_size 5384
		.amdhsa_private_segment_fixed_size 0
		.amdhsa_kernarg_size 180
		.amdhsa_user_sgpr_count 15
		.amdhsa_user_sgpr_dispatch_ptr 0
		.amdhsa_user_sgpr_queue_ptr 0
		.amdhsa_user_sgpr_kernarg_segment_ptr 1
		.amdhsa_user_sgpr_dispatch_id 0
		.amdhsa_user_sgpr_private_segment_size 0
		.amdhsa_wavefront_size32 1
		.amdhsa_uses_dynamic_stack 0
		.amdhsa_enable_private_segment 0
		.amdhsa_system_sgpr_workgroup_id_x 1
		.amdhsa_system_sgpr_workgroup_id_y 0
		.amdhsa_system_sgpr_workgroup_id_z 0
		.amdhsa_system_sgpr_workgroup_info 0
		.amdhsa_system_vgpr_workitem_id 0
		.amdhsa_next_free_vgpr 62
		.amdhsa_next_free_sgpr 66
		.amdhsa_reserve_vcc 1
		.amdhsa_float_round_mode_32 0
		.amdhsa_float_round_mode_16_64 0
		.amdhsa_float_denorm_mode_32 3
		.amdhsa_float_denorm_mode_16_64 3
		.amdhsa_dx10_clamp 1
		.amdhsa_ieee_mode 1
		.amdhsa_fp16_overflow 0
		.amdhsa_workgroup_processor_mode 1
		.amdhsa_memory_ordered 1
		.amdhsa_forward_progress 0
		.amdhsa_shared_vgpr_count 0
		.amdhsa_exception_fp_ieee_invalid_op 0
		.amdhsa_exception_fp_denorm_src 0
		.amdhsa_exception_fp_ieee_div_zero 0
		.amdhsa_exception_fp_ieee_overflow 0
		.amdhsa_exception_fp_ieee_underflow 0
		.amdhsa_exception_fp_ieee_inexact 0
		.amdhsa_exception_int_div_zero 0
	.end_amdhsa_kernel
	.section	.text._ZN9rocsparseL38bsrgemm_block_per_row_atomic_multipassILj256ELj64ELj4EllfEEv20rocsparse_direction_T3_S2_PKS2_S4_NS_24const_host_device_scalarIT4_EEPKT2_S4_PKS6_SA_S4_SC_S7_SA_S4_SC_SA_PS2_PS6_PS8_21rocsparse_index_base_SG_SG_SG_bbb,"axG",@progbits,_ZN9rocsparseL38bsrgemm_block_per_row_atomic_multipassILj256ELj64ELj4EllfEEv20rocsparse_direction_T3_S2_PKS2_S4_NS_24const_host_device_scalarIT4_EEPKT2_S4_PKS6_SA_S4_SC_S7_SA_S4_SC_SA_PS2_PS6_PS8_21rocsparse_index_base_SG_SG_SG_bbb,comdat
.Lfunc_end98:
	.size	_ZN9rocsparseL38bsrgemm_block_per_row_atomic_multipassILj256ELj64ELj4EllfEEv20rocsparse_direction_T3_S2_PKS2_S4_NS_24const_host_device_scalarIT4_EEPKT2_S4_PKS6_SA_S4_SC_S7_SA_S4_SC_SA_PS2_PS6_PS8_21rocsparse_index_base_SG_SG_SG_bbb, .Lfunc_end98-_ZN9rocsparseL38bsrgemm_block_per_row_atomic_multipassILj256ELj64ELj4EllfEEv20rocsparse_direction_T3_S2_PKS2_S4_NS_24const_host_device_scalarIT4_EEPKT2_S4_PKS6_SA_S4_SC_S7_SA_S4_SC_SA_PS2_PS6_PS8_21rocsparse_index_base_SG_SG_SG_bbb
                                        ; -- End function
	.section	.AMDGPU.csdata,"",@progbits
; Kernel info:
; codeLenInByte = 4020
; NumSgprs: 68
; NumVgprs: 62
; ScratchSize: 0
; MemoryBound: 0
; FloatMode: 240
; IeeeMode: 1
; LDSByteSize: 5384 bytes/workgroup (compile time only)
; SGPRBlocks: 8
; VGPRBlocks: 7
; NumSGPRsForWavesPerEU: 68
; NumVGPRsForWavesPerEU: 62
; Occupancy: 16
; WaveLimiterHint : 1
; COMPUTE_PGM_RSRC2:SCRATCH_EN: 0
; COMPUTE_PGM_RSRC2:USER_SGPR: 15
; COMPUTE_PGM_RSRC2:TRAP_HANDLER: 0
; COMPUTE_PGM_RSRC2:TGID_X_EN: 1
; COMPUTE_PGM_RSRC2:TGID_Y_EN: 0
; COMPUTE_PGM_RSRC2:TGID_Z_EN: 0
; COMPUTE_PGM_RSRC2:TIDIG_COMP_CNT: 0
	.section	.text._ZN9rocsparseL38bsrgemm_block_per_row_atomic_multipassILj256ELj128ELj4EllfEEv20rocsparse_direction_T3_S2_PKS2_S4_NS_24const_host_device_scalarIT4_EEPKT2_S4_PKS6_SA_S4_SC_S7_SA_S4_SC_SA_PS2_PS6_PS8_21rocsparse_index_base_SG_SG_SG_bbb,"axG",@progbits,_ZN9rocsparseL38bsrgemm_block_per_row_atomic_multipassILj256ELj128ELj4EllfEEv20rocsparse_direction_T3_S2_PKS2_S4_NS_24const_host_device_scalarIT4_EEPKT2_S4_PKS6_SA_S4_SC_S7_SA_S4_SC_SA_PS2_PS6_PS8_21rocsparse_index_base_SG_SG_SG_bbb,comdat
	.globl	_ZN9rocsparseL38bsrgemm_block_per_row_atomic_multipassILj256ELj128ELj4EllfEEv20rocsparse_direction_T3_S2_PKS2_S4_NS_24const_host_device_scalarIT4_EEPKT2_S4_PKS6_SA_S4_SC_S7_SA_S4_SC_SA_PS2_PS6_PS8_21rocsparse_index_base_SG_SG_SG_bbb ; -- Begin function _ZN9rocsparseL38bsrgemm_block_per_row_atomic_multipassILj256ELj128ELj4EllfEEv20rocsparse_direction_T3_S2_PKS2_S4_NS_24const_host_device_scalarIT4_EEPKT2_S4_PKS6_SA_S4_SC_S7_SA_S4_SC_SA_PS2_PS6_PS8_21rocsparse_index_base_SG_SG_SG_bbb
	.p2align	8
	.type	_ZN9rocsparseL38bsrgemm_block_per_row_atomic_multipassILj256ELj128ELj4EllfEEv20rocsparse_direction_T3_S2_PKS2_S4_NS_24const_host_device_scalarIT4_EEPKT2_S4_PKS6_SA_S4_SC_S7_SA_S4_SC_SA_PS2_PS6_PS8_21rocsparse_index_base_SG_SG_SG_bbb,@function
_ZN9rocsparseL38bsrgemm_block_per_row_atomic_multipassILj256ELj128ELj4EllfEEv20rocsparse_direction_T3_S2_PKS2_S4_NS_24const_host_device_scalarIT4_EEPKT2_S4_PKS6_SA_S4_SC_S7_SA_S4_SC_SA_PS2_PS6_PS8_21rocsparse_index_base_SG_SG_SG_bbb: ; @_ZN9rocsparseL38bsrgemm_block_per_row_atomic_multipassILj256ELj128ELj4EllfEEv20rocsparse_direction_T3_S2_PKS2_S4_NS_24const_host_device_scalarIT4_EEPKT2_S4_PKS6_SA_S4_SC_S7_SA_S4_SC_SA_PS2_PS6_PS8_21rocsparse_index_base_SG_SG_SG_bbb
; %bb.0:
	s_clause 0x3
	s_load_b32 s3, s[0:1], 0xb0
	s_load_b128 s[36:39], s[0:1], 0xa0
	s_load_b64 s[6:7], s[0:1], 0x28
	s_load_b64 s[4:5], s[0:1], 0x60
	s_mov_b32 s2, s15
	s_waitcnt lgkmcnt(0)
	s_bitcmp1_b32 s3, 0
	s_cselect_b32 s8, -1, 0
	s_bitcmp1_b32 s3, 16
	s_cselect_b32 s9, -1, 0
	s_xor_b32 s10, s8, -1
	s_delay_alu instid0(SALU_CYCLE_1) | instskip(NEXT) | instid1(SALU_CYCLE_1)
	s_or_b32 s10, s10, s9
	s_and_b32 vcc_lo, exec_lo, s10
	s_cbranch_vccnz .LBB99_2
; %bb.1:
	s_load_b32 s6, s[6:7], 0x0
	s_waitcnt lgkmcnt(0)
	v_mov_b32_e32 v33, s6
	s_branch .LBB99_3
.LBB99_2:
	v_cndmask_b32_e64 v33, 0, s6, s8
.LBB99_3:
	s_load_b64 s[6:7], s[0:1], 0x20
	s_bitcmp1_b32 s3, 8
	s_cselect_b32 s33, -1, 0
	s_delay_alu instid0(SALU_CYCLE_1) | instskip(NEXT) | instid1(SALU_CYCLE_1)
	s_xor_b32 s3, s33, -1
	s_or_b32 s3, s3, s9
	s_delay_alu instid0(SALU_CYCLE_1)
	s_and_b32 vcc_lo, exec_lo, s3
	s_cbranch_vccnz .LBB99_5
; %bb.4:
	s_load_b32 s3, s[4:5], 0x0
	s_waitcnt lgkmcnt(0)
	v_mov_b32_e32 v34, s3
	s_branch .LBB99_6
.LBB99_5:
	v_cndmask_b32_e64 v34, 0, s4, s33
.LBB99_6:
	s_load_b64 s[4:5], s[0:1], 0x30
	s_mov_b64 s[34:35], 0
	s_waitcnt lgkmcnt(0)
	s_cmp_eq_u64 s[6:7], 0
	s_mov_b32 s3, 0
	s_cbranch_scc1 .LBB99_8
; %bb.7:
	s_load_b64 s[10:11], s[0:1], 0x18
	s_waitcnt lgkmcnt(0)
	s_load_b64 s[10:11], s[10:11], 0x0
	s_waitcnt lgkmcnt(0)
	s_lshl_b64 s[10:11], s[10:11], 3
	s_delay_alu instid0(SALU_CYCLE_1) | instskip(SKIP_2) | instid1(SALU_CYCLE_1)
	s_add_u32 s6, s6, s10
	s_addc_u32 s7, s7, s11
	s_lshl_b64 s[2:3], s[2:3], 3
	s_add_u32 s2, s6, s2
	s_addc_u32 s3, s7, s3
	s_load_b64 s[2:3], s[2:3], 0x0
.LBB99_8:
	s_and_not1_b32 vcc_lo, exec_lo, s8
	s_cbranch_vccz .LBB99_11
; %bb.9:
	s_and_not1_b32 vcc_lo, exec_lo, s8
	s_mov_b64 s[48:49], 0
	s_cbranch_vccz .LBB99_12
.LBB99_10:
	s_load_b128 s[40:43], s[0:1], 0x8
	s_waitcnt lgkmcnt(0)
	v_cmp_lt_i64_e64 s4, s[40:41], 1
	s_delay_alu instid0(VALU_DEP_1)
	s_and_b32 vcc_lo, exec_lo, s4
	s_cbranch_vccz .LBB99_13
	s_branch .LBB99_100
.LBB99_11:
	s_waitcnt lgkmcnt(0)
	s_lshl_b64 s[6:7], s[2:3], 3
	s_delay_alu instid0(SALU_CYCLE_1)
	s_add_u32 s6, s4, s6
	s_addc_u32 s7, s5, s7
	s_load_b64 s[6:7], s[6:7], 0x0
	s_waitcnt lgkmcnt(0)
	s_sub_u32 s34, s6, s36
	s_subb_u32 s35, s7, 0
	s_and_not1_b32 vcc_lo, exec_lo, s8
	s_mov_b64 s[48:49], 0
	s_cbranch_vccnz .LBB99_10
.LBB99_12:
	s_waitcnt lgkmcnt(0)
	s_lshl_b64 s[6:7], s[2:3], 3
	s_delay_alu instid0(SALU_CYCLE_1)
	s_add_u32 s4, s4, s6
	s_addc_u32 s5, s5, s7
	s_load_b64 s[4:5], s[4:5], 0x8
	s_waitcnt lgkmcnt(0)
	s_sub_u32 s48, s4, s36
	s_subb_u32 s49, s5, 0
	s_load_b128 s[40:43], s[0:1], 0x8
	s_waitcnt lgkmcnt(0)
	v_cmp_lt_i64_e64 s4, s[40:41], 1
	s_delay_alu instid0(VALU_DEP_1)
	s_and_b32 vcc_lo, exec_lo, s4
	s_cbranch_vccnz .LBB99_100
.LBB99_13:
	s_clause 0x4
	s_load_b256 s[16:23], s[0:1], 0x68
	s_load_b64 s[50:51], s[0:1], 0x98
	s_load_b128 s[44:47], s[0:1], 0x88
	s_load_b64 s[52:53], s[0:1], 0x58
	s_load_b256 s[24:31], s[0:1], 0x38
	v_bfe_u32 v7, v0, 2, 2
	v_dual_mov_b32 v2, 0 :: v_dual_and_b32 v3, 3, v0
	s_lshl_b64 s[6:7], s[2:3], 3
	s_mul_i32 s4, s42, s43
	s_delay_alu instid0(VALU_DEP_2)
	v_mad_u64_u32 v[5:6], null, v7, s42, 0
	v_and_b32_e32 v15, 15, v0
	v_mad_u64_u32 v[9:10], null, v3, s42, 0
	v_mov_b32_e32 v8, v2
	s_mul_hi_u32 s10, s42, s42
	s_load_b32 s5, s[0:1], 0x0
	s_delay_alu instid0(VALU_DEP_4)
	v_mov_b32_e32 v4, v6
	v_lshrrev_b32_e32 v1, 4, v0
	s_waitcnt lgkmcnt(0)
	s_add_u32 s2, s22, s6
	s_addc_u32 s3, s23, s7
	v_lshlrev_b32_e32 v35, 2, v0
	s_load_b64 s[2:3], s[2:3], 0x0
	v_mad_u64_u32 v[11:12], null, v7, s43, v[4:5]
	v_mov_b32_e32 v4, v10
	v_cmp_lt_i64_e64 s9, s[34:35], s[48:49]
	s_mov_b32 s58, s39
	v_cmp_gt_u32_e64 s0, 0x80, v0
	v_cmp_eq_u32_e64 s1, 0, v0
	v_mad_u64_u32 v[12:13], null, v3, s43, v[4:5]
	v_mov_b32_e32 v6, v11
	v_mov_b32_e32 v4, v2
	v_and_b32_e32 v38, 12, v0
	v_cmp_gt_u32_e64 s11, 0x200, v0
	v_cmp_gt_u32_e64 s12, 0x100, v0
	v_lshlrev_b64 v[13:14], 2, v[5:6]
	v_dual_mov_b32 v10, v12 :: v_dual_lshlrev_b32 v5, 2, v3
	v_cmp_gt_u64_e32 vcc_lo, s[42:43], v[7:8]
	s_movk_i32 s13, 0x3f0
	s_waitcnt lgkmcnt(0)
	s_sub_u32 s14, s2, s38
	v_add_co_u32 v11, s2, s26, v13
	s_subb_u32 s15, s3, 0
	s_add_i32 s3, s10, s4
	v_add_co_ci_u32_e64 v12, s2, s27, v14, s2
	s_add_i32 s55, s3, s4
	v_cmp_gt_i64_e64 s3, s[42:43], v[3:4]
	v_cmp_gt_i64_e64 s2, s[42:43], v[7:8]
	v_lshlrev_b64 v[9:10], 2, v[9:10]
	v_add_co_u32 v4, s4, v11, v5
	v_lshlrev_b64 v[7:8], 2, v[7:8]
	v_add_co_ci_u32_e64 v37, s4, 0, v12, s4
	s_and_b32 s56, s3, s2
	s_delay_alu instid0(VALU_DEP_4) | instskip(NEXT) | instid1(VALU_DEP_1)
	v_add_co_u32 v11, s2, s46, v9
	v_add_co_ci_u32_e64 v12, s2, s47, v10, s2
	v_add_co_u32 v16, s2, s46, v13
	s_delay_alu instid0(VALU_DEP_1) | instskip(NEXT) | instid1(VALU_DEP_4)
	v_add_co_ci_u32_e64 v17, s2, s47, v14, s2
	v_add_co_u32 v11, s2, v11, v7
	s_delay_alu instid0(VALU_DEP_1) | instskip(NEXT) | instid1(VALU_DEP_4)
	v_add_co_ci_u32_e64 v12, s2, v12, v8, s2
	v_add_co_u32 v16, s2, v16, v5
	s_delay_alu instid0(VALU_DEP_1) | instskip(SKIP_1) | instid1(VALU_DEP_1)
	v_add_co_ci_u32_e64 v17, s2, 0, v17, s2
	v_add_co_u32 v9, s2, s20, v9
	v_add_co_ci_u32_e64 v10, s2, s21, v10, s2
	v_sub_co_u32 v39, s2, v1, s39
	s_delay_alu instid0(VALU_DEP_1) | instskip(NEXT) | instid1(VALU_DEP_4)
	v_sub_co_ci_u32_e64 v40, null, 0, 0, s2
	v_add_co_u32 v7, s2, v9, v7
	s_delay_alu instid0(VALU_DEP_1)
	v_add_co_ci_u32_e64 v8, s2, v10, v8, s2
	v_add_co_u32 v10, s2, s20, v13
	s_cmp_eq_u32 s5, 0
	v_and_b32_e32 v9, 0x7f, v0
	v_add_co_ci_u32_e64 v13, s2, s21, v14, s2
	s_cselect_b32 s10, -1, 0
	s_cmp_lg_u32 s5, 0
	v_add_co_u32 v10, s2, v10, v5
	s_cselect_b32 s57, -1, 0
	s_add_u32 s16, s16, s6
	s_addc_u32 s17, s17, s7
	v_lshlrev_b32_e32 v14, 2, v9
	v_add_co_u32 v18, s39, v9, -1
	v_add_co_ci_u32_e64 v13, s2, 0, v13, s2
	s_and_b32 s59, s8, s9
	s_and_b32 s60, s3, vcc_lo
	v_cmp_ne_u32_e64 s3, 0, v9
	v_cmp_lt_u32_e64 s4, 1, v9
	v_cmp_lt_u32_e64 s5, 3, v9
	;; [unrolled: 1-line block ×6, first 2 shown]
	v_or_b32_e32 v9, 0x400, v0
	v_lshlrev_b32_e32 v0, 6, v1
	v_cndmask_b32_e64 v50, v12, v17, s10
	v_cndmask_b32_e64 v51, v11, v16, s10
	;; [unrolled: 1-line block ×4, first 2 shown]
	v_cmp_gt_u32_e64 s10, 0x700, v9
	v_add_co_u32 v9, s20, s52, v5
	v_add_co_u32 v53, vcc_lo, v39, 16
	v_cmp_eq_u32_e64 s2, 15, v15
	v_dual_mov_b32 v15, 0x80 :: v_dual_mov_b32 v6, v2
	v_add_nc_u32_e32 v49, 0x2300, v14
	v_or_b32_e32 v41, 0x2400, v14
	v_dual_mov_b32 v11, s14 :: v_dual_add_nc_u32 v44, 0x23f8, v14
	v_add_nc_u32_e32 v45, 0x23f0, v14
	v_add_nc_u32_e32 v46, 0x23e0, v14
	;; [unrolled: 1-line block ×3, first 2 shown]
	v_dual_mov_b32 v13, 0 :: v_dual_add_nc_u32 v48, 0x2380, v14
	v_or_b32_e32 v36, 0x2000, v35
	v_lshl_add_u32 v42, v18, 2, 0x2400
	v_or_b32_e32 v43, 0x2400, v35
	s_add_u32 s61, s28, 8
	v_or3_b32 v0, v0, v38, 0x2000
	v_add_co_ci_u32_e64 v10, null, s53, 0, s20
	v_and_or_b32 v52, v35, s13, 0x2000
	v_add_co_ci_u32_e32 v54, vcc_lo, 0, v40, vcc_lo
	v_lshl_or_b32 v55, v1, 2, 0x2400
	v_mov_b32_e32 v14, 0
	v_mov_b32_e32 v16, 0
	;; [unrolled: 1-line block ×4, first 2 shown]
	s_mul_i32 s54, s42, s42
	s_addc_u32 s62, s29, 0
	s_add_u32 s63, s44, -8
	s_addc_u32 s64, s45, -1
	s_lshl_b64 s[26:27], s[42:43], 2
	s_lshl_b64 s[44:45], s[54:55], 2
	;; [unrolled: 1-line block ×3, first 2 shown]
	s_branch .LBB99_15
.LBB99_14:                              ;   in Loop: Header=BB99_15 Depth=1
	s_or_b32 exec_lo, exec_lo, s13
	s_waitcnt_vscnt null, 0x0
	s_barrier
	buffer_gl0_inv
	ds_load_b64 v[13:14], v2 offset:9728
	v_ashrrev_i32_e32 v15, 31, v16
	v_add_co_u32 v11, vcc_lo, v11, v16
	s_waitcnt lgkmcnt(0)
	s_barrier
	s_delay_alu instid0(VALU_DEP_2) | instskip(SKIP_3) | instid1(VALU_DEP_1)
	v_add_co_ci_u32_e32 v12, vcc_lo, v12, v15, vcc_lo
	buffer_gl0_inv
	v_cmp_le_i64_e32 vcc_lo, s[40:41], v[13:14]
	v_add_co_u32 v15, s13, 0x80, v13
	v_add_co_ci_u32_e64 v16, s13, 0, v14, s13
	s_cbranch_vccnz .LBB99_100
.LBB99_15:                              ; =>This Loop Header: Depth=1
                                        ;     Child Loop BB99_28 Depth 2
                                        ;       Child Loop BB99_43 Depth 3
                                        ;         Child Loop BB99_55 Depth 4
                                        ;         Child Loop BB99_51 Depth 4
                                        ;     Child Loop BB99_65 Depth 2
                                        ;     Child Loop BB99_74 Depth 2
	;; [unrolled: 1-line block ×3, first 2 shown]
	s_and_saveexec_b32 s13, s0
	s_cbranch_execz .LBB99_17
; %bb.16:                               ;   in Loop: Header=BB99_15 Depth=1
	ds_store_b32 v43, v2
.LBB99_17:                              ;   in Loop: Header=BB99_15 Depth=1
	s_or_b32 exec_lo, exec_lo, s13
	ds_store_2addr_stride64_b32 v35, v2, v2 offset1:4
	ds_store_2addr_stride64_b32 v35, v2, v2 offset0:8 offset1:12
	ds_store_b32 v35, v2 offset:4096
	s_and_saveexec_b32 s13, s10
	s_delay_alu instid0(SALU_CYCLE_1)
	s_xor_b32 s13, exec_lo, s13
	s_cbranch_execz .LBB99_23
; %bb.18:                               ;   in Loop: Header=BB99_15 Depth=1
	ds_store_b32 v35, v2 offset:5120
	s_and_saveexec_b32 s14, s11
	s_delay_alu instid0(SALU_CYCLE_1)
	s_xor_b32 s14, exec_lo, s14
	s_cbranch_execz .LBB99_22
; %bb.19:                               ;   in Loop: Header=BB99_15 Depth=1
	;; [unrolled: 6-line block ×3, first 2 shown]
	ds_store_b32 v35, v2 offset:7168
.LBB99_21:                              ;   in Loop: Header=BB99_15 Depth=1
	s_or_b32 exec_lo, exec_lo, s15
.LBB99_22:                              ;   in Loop: Header=BB99_15 Depth=1
	s_delay_alu instid0(SALU_CYCLE_1)
	s_or_b32 exec_lo, exec_lo, s14
.LBB99_23:                              ;   in Loop: Header=BB99_15 Depth=1
	s_delay_alu instid0(SALU_CYCLE_1)
	s_or_b32 exec_lo, exec_lo, s13
	s_and_saveexec_b32 s13, s1
	s_cbranch_execz .LBB99_25
; %bb.24:                               ;   in Loop: Header=BB99_15 Depth=1
	v_dual_mov_b32 v17, s40 :: v_dual_mov_b32 v18, s41
	ds_store_b64 v2, v[17:18] offset:9728
.LBB99_25:                              ;   in Loop: Header=BB99_15 Depth=1
	s_or_b32 exec_lo, exec_lo, s13
	v_dual_mov_b32 v17, s40 :: v_dual_mov_b32 v18, s41
	s_and_not1_b32 vcc_lo, exec_lo, s59
	s_waitcnt lgkmcnt(0)
	s_barrier
	buffer_gl0_inv
	s_cbranch_vccnz .LBB99_60
; %bb.26:                               ;   in Loop: Header=BB99_15 Depth=1
	v_cmp_ne_u64_e64 s13, 0, v[13:14]
	v_dual_mov_b32 v17, s40 :: v_dual_mov_b32 v18, s41
	s_mov_b64 s[20:21], s[34:35]
	s_branch .LBB99_28
.LBB99_27:                              ;   in Loop: Header=BB99_28 Depth=2
	s_or_b32 exec_lo, exec_lo, s15
	s_add_u32 s20, s20, 16
	s_addc_u32 s21, s21, 0
	s_delay_alu instid0(SALU_CYCLE_1) | instskip(NEXT) | instid1(VALU_DEP_1)
	v_cmp_lt_i64_e64 s14, s[20:21], s[48:49]
	s_and_b32 vcc_lo, exec_lo, s14
	s_cbranch_vccz .LBB99_60
.LBB99_28:                              ;   Parent Loop BB99_15 Depth=1
                                        ; =>  This Loop Header: Depth=2
                                        ;       Child Loop BB99_43 Depth 3
                                        ;         Child Loop BB99_55 Depth 4
                                        ;         Child Loop BB99_51 Depth 4
	v_add_co_u32 v19, s14, s20, v1
	s_delay_alu instid0(VALU_DEP_1) | instskip(NEXT) | instid1(VALU_DEP_1)
	v_add_co_ci_u32_e64 v20, null, s21, 0, s14
	s_waitcnt_vscnt null, 0x0
	s_barrier
	buffer_gl0_inv
	v_cmp_gt_i64_e64 s14, s[48:49], v[19:20]
	s_delay_alu instid0(VALU_DEP_1)
	s_and_saveexec_b32 s15, s14
	s_cbranch_execz .LBB99_32
; %bb.29:                               ;   in Loop: Header=BB99_28 Depth=2
	v_mov_b32_e32 v21, 0
	s_and_saveexec_b32 s22, s60
	s_cbranch_execz .LBB99_31
; %bb.30:                               ;   in Loop: Header=BB99_28 Depth=2
	v_mul_lo_u32 v23, v20, s54
	v_mul_lo_u32 v24, v19, s55
	v_mad_u64_u32 v[21:22], null, v19, s54, 0
	s_delay_alu instid0(VALU_DEP_1) | instskip(NEXT) | instid1(VALU_DEP_1)
	v_add3_u32 v22, v22, v24, v23
	v_lshlrev_b64 v[21:22], 2, v[21:22]
	s_delay_alu instid0(VALU_DEP_1) | instskip(NEXT) | instid1(VALU_DEP_2)
	v_add_co_u32 v21, vcc_lo, v4, v21
	v_add_co_ci_u32_e32 v22, vcc_lo, v37, v22, vcc_lo
	global_load_b32 v21, v[21:22], off
.LBB99_31:                              ;   in Loop: Header=BB99_28 Depth=2
	s_or_b32 exec_lo, exec_lo, s22
	s_waitcnt vmcnt(0)
	ds_store_b32 v36, v21
.LBB99_32:                              ;   in Loop: Header=BB99_28 Depth=2
	s_or_b32 exec_lo, exec_lo, s15
	v_mov_b32_e32 v21, 0
	v_lshlrev_b64 v[19:20], 3, v[19:20]
	v_mov_b32_e32 v22, 0
	s_waitcnt lgkmcnt(0)
	s_barrier
	buffer_gl0_inv
	s_and_saveexec_b32 s65, s14
	s_cbranch_execz .LBB99_58
; %bb.33:                               ;   in Loop: Header=BB99_28 Depth=2
	v_add_co_u32 v21, vcc_lo, s24, v19
	v_add_co_ci_u32_e32 v22, vcc_lo, s25, v20, vcc_lo
	s_and_b32 vcc_lo, exec_lo, s13
	global_load_b64 v[23:24], v[21:22], off
	s_cbranch_vccz .LBB99_35
; %bb.34:                               ;   in Loop: Header=BB99_28 Depth=2
	v_add_co_u32 v21, vcc_lo, s50, v19
	v_add_co_ci_u32_e32 v22, vcc_lo, s51, v20, vcc_lo
	s_mov_b32 s15, 0
	global_load_b64 v[21:22], v[21:22], off
	s_branch .LBB99_36
.LBB99_35:                              ;   in Loop: Header=BB99_28 Depth=2
	s_mov_b32 s15, -1
                                        ; implicit-def: $vgpr21_vgpr22
.LBB99_36:                              ;   in Loop: Header=BB99_28 Depth=2
	s_waitcnt vmcnt(0)
	v_sub_co_u32 v23, vcc_lo, v23, s36
	v_subrev_co_ci_u32_e32 v24, vcc_lo, 0, v24, vcc_lo
	s_and_not1_b32 vcc_lo, exec_lo, s15
	s_delay_alu instid0(VALU_DEP_1)
	v_lshlrev_b64 v[23:24], 3, v[23:24]
	s_cbranch_vccnz .LBB99_38
; %bb.37:                               ;   in Loop: Header=BB99_28 Depth=2
	s_delay_alu instid0(VALU_DEP_1) | instskip(NEXT) | instid1(VALU_DEP_2)
	v_add_co_u32 v21, vcc_lo, s28, v23
	v_add_co_ci_u32_e32 v22, vcc_lo, s29, v24, vcc_lo
	global_load_b64 v[21:22], v[21:22], off
	s_waitcnt vmcnt(0)
	v_sub_co_u32 v21, vcc_lo, v21, s37
	v_subrev_co_ci_u32_e32 v22, vcc_lo, 0, v22, vcc_lo
.LBB99_38:                              ;   in Loop: Header=BB99_28 Depth=2
	s_delay_alu instid0(VALU_DEP_1) | instskip(NEXT) | instid1(VALU_DEP_2)
	v_add_co_u32 v23, vcc_lo, s61, v23
	v_add_co_ci_u32_e32 v24, vcc_lo, s62, v24, vcc_lo
	s_mov_b32 s66, exec_lo
	global_load_b64 v[23:24], v[23:24], off
	s_waitcnt vmcnt(0)
	v_sub_co_u32 v23, vcc_lo, v23, s37
	v_subrev_co_ci_u32_e32 v24, vcc_lo, 0, v24, vcc_lo
	s_delay_alu instid0(VALU_DEP_1)
	v_cmpx_lt_i64_e64 v[21:22], v[23:24]
	s_cbranch_execz .LBB99_57
; %bb.39:                               ;   in Loop: Header=BB99_28 Depth=2
	v_mad_u64_u32 v[29:30], null, s26, v21, v[5:6]
	v_mul_lo_u32 v27, s26, v22
	v_mul_lo_u32 v28, s27, v21
	v_mad_u64_u32 v[25:26], null, s44, v21, v[9:10]
	v_mul_lo_u32 v31, s44, v22
	v_mul_lo_u32 v32, s45, v21
	;; [unrolled: 1-line block ×3, first 2 shown]
	s_mov_b32 s67, 0
	v_add3_u32 v30, v28, v30, v27
	v_mad_u64_u32 v[27:28], null, s42, v29, s[52:53]
	s_delay_alu instid0(VALU_DEP_4) | instskip(NEXT) | instid1(VALU_DEP_3)
	v_add3_u32 v26, v32, v26, v31
	v_mul_lo_u32 v29, s42, v30
	s_delay_alu instid0(VALU_DEP_1)
	v_add3_u32 v28, v57, v28, v29
	v_dual_mov_b32 v30, v22 :: v_dual_mov_b32 v29, v21
	s_branch .LBB99_43
.LBB99_40:                              ;   in Loop: Header=BB99_43 Depth=3
	s_delay_alu instid0(VALU_DEP_1) | instskip(NEXT) | instid1(VALU_DEP_1)
	v_dual_mul_f32 v32, v33, v58 :: v_dual_lshlrev_b32 v31, 4, v57
	v_or3_b32 v31, v31, v38, v3
	s_delay_alu instid0(VALU_DEP_1)
	v_lshlrev_b32_e32 v31, 2, v31
	ds_add_f32 v31, v32
.LBB99_41:                              ;   in Loop: Header=BB99_43 Depth=3
	s_or_b32 exec_lo, exec_lo, s69
	s_delay_alu instid0(SALU_CYCLE_1)
	s_or_b32 s15, s15, exec_lo
.LBB99_42:                              ;   in Loop: Header=BB99_43 Depth=3
	s_or_b32 exec_lo, exec_lo, s68
	v_add_co_u32 v21, vcc_lo, v21, 1
	v_add_co_ci_u32_e32 v22, vcc_lo, 0, v22, vcc_lo
	s_xor_b32 s22, s15, -1
	v_add_co_u32 v27, s15, v27, s44
	s_delay_alu instid0(VALU_DEP_2)
	v_cmp_ge_i64_e32 vcc_lo, v[21:22], v[23:24]
	v_add_co_ci_u32_e64 v28, s15, s45, v28, s15
	s_or_b32 s15, s22, vcc_lo
	v_add_co_u32 v25, vcc_lo, v25, s44
	v_add_co_ci_u32_e32 v26, vcc_lo, s45, v26, vcc_lo
	s_and_b32 s15, exec_lo, s15
	s_delay_alu instid0(SALU_CYCLE_1) | instskip(NEXT) | instid1(SALU_CYCLE_1)
	s_or_b32 s67, s15, s67
	s_and_not1_b32 exec_lo, exec_lo, s67
	s_cbranch_execz .LBB99_56
.LBB99_43:                              ;   Parent Loop BB99_15 Depth=1
                                        ;     Parent Loop BB99_28 Depth=2
                                        ; =>    This Loop Header: Depth=3
                                        ;         Child Loop BB99_55 Depth 4
                                        ;         Child Loop BB99_51 Depth 4
	v_lshlrev_b64 v[31:32], 3, v[21:22]
	s_delay_alu instid0(VALU_DEP_1) | instskip(NEXT) | instid1(VALU_DEP_2)
	v_add_co_u32 v31, vcc_lo, s30, v31
	v_add_co_ci_u32_e32 v32, vcc_lo, s31, v32, vcc_lo
	global_load_b64 v[31:32], v[31:32], off
	s_waitcnt vmcnt(0)
	v_sub_co_u32 v31, vcc_lo, v31, s37
	v_subrev_co_ci_u32_e32 v32, vcc_lo, 0, v32, vcc_lo
	s_delay_alu instid0(VALU_DEP_1) | instskip(SKIP_1) | instid1(VALU_DEP_2)
	v_cmp_lt_i64_e64 s15, v[31:32], v[13:14]
	v_cmp_ge_i64_e32 vcc_lo, v[31:32], v[15:16]
	s_or_b32 s22, s15, vcc_lo
                                        ; implicit-def: $sgpr15
	s_delay_alu instid0(SALU_CYCLE_1) | instskip(NEXT) | instid1(SALU_CYCLE_1)
	s_and_saveexec_b32 s23, s22
	s_xor_b32 s22, exec_lo, s23
	s_cbranch_execz .LBB99_47
; %bb.44:                               ;   in Loop: Header=BB99_43 Depth=3
	s_mov_b32 s23, -1
	s_and_saveexec_b32 s15, vcc_lo
; %bb.45:                               ;   in Loop: Header=BB99_43 Depth=3
	v_cmp_lt_i64_e32 vcc_lo, v[31:32], v[17:18]
	v_dual_mov_b32 v30, v22 :: v_dual_mov_b32 v29, v21
	s_xor_b32 s23, exec_lo, -1
	v_dual_cndmask_b32 v18, v18, v32 :: v_dual_cndmask_b32 v17, v17, v31
; %bb.46:                               ;   in Loop: Header=BB99_43 Depth=3
	s_or_b32 exec_lo, exec_lo, s15
	s_delay_alu instid0(SALU_CYCLE_1)
	s_and_b32 s15, s23, exec_lo
                                        ; implicit-def: $vgpr31_vgpr32
.LBB99_47:                              ;   in Loop: Header=BB99_43 Depth=3
	s_and_not1_saveexec_b32 s68, s22
	s_cbranch_execz .LBB99_42
; %bb.48:                               ;   in Loop: Header=BB99_43 Depth=3
	v_sub_nc_u32_e32 v57, v31, v13
	s_delay_alu instid0(VALU_DEP_1)
	v_lshlrev_b32_e32 v31, 2, v57
	ds_store_b32 v31, v56 offset:9216
	s_and_saveexec_b32 s69, s56
	s_cbranch_execz .LBB99_41
; %bb.49:                               ;   in Loop: Header=BB99_43 Depth=3
	s_and_not1_b32 vcc_lo, exec_lo, s57
	s_cbranch_vccnz .LBB99_53
; %bb.50:                               ;   in Loop: Header=BB99_43 Depth=3
	v_dual_mov_b32 v58, 0 :: v_dual_mov_b32 v59, v0
	v_dual_mov_b32 v32, v28 :: v_dual_mov_b32 v31, v27
	s_mov_b64 s[22:23], s[42:43]
.LBB99_51:                              ;   Parent Loop BB99_15 Depth=1
                                        ;     Parent Loop BB99_28 Depth=2
                                        ;       Parent Loop BB99_43 Depth=3
                                        ; =>      This Inner Loop Header: Depth=4
	global_load_b32 v60, v[31:32], off
	ds_load_b32 v61, v59
	v_add_co_u32 v31, vcc_lo, v31, 4
	v_add_co_ci_u32_e32 v32, vcc_lo, 0, v32, vcc_lo
	s_add_u32 s22, s22, -1
	v_add_nc_u32_e32 v59, 16, v59
	s_addc_u32 s23, s23, -1
	s_delay_alu instid0(SALU_CYCLE_1)
	s_cmp_lg_u64 s[22:23], 0
	s_waitcnt vmcnt(0) lgkmcnt(0)
	v_fmac_f32_e32 v58, v61, v60
	s_cbranch_scc1 .LBB99_51
; %bb.52:                               ;   in Loop: Header=BB99_43 Depth=3
	s_branch .LBB99_40
.LBB99_53:                              ;   in Loop: Header=BB99_43 Depth=3
                                        ; implicit-def: $vgpr58
	s_cbranch_execz .LBB99_40
; %bb.54:                               ;   in Loop: Header=BB99_43 Depth=3
	v_dual_mov_b32 v58, 0 :: v_dual_mov_b32 v59, v52
	v_dual_mov_b32 v32, v26 :: v_dual_mov_b32 v31, v25
	s_mov_b64 s[22:23], s[42:43]
.LBB99_55:                              ;   Parent Loop BB99_15 Depth=1
                                        ;     Parent Loop BB99_28 Depth=2
                                        ;       Parent Loop BB99_43 Depth=3
                                        ; =>      This Inner Loop Header: Depth=4
	global_load_b32 v60, v[31:32], off
	ds_load_b32 v61, v59
	v_add_co_u32 v31, vcc_lo, v31, s26
	s_add_u32 s22, s22, -1
	v_add_co_ci_u32_e32 v32, vcc_lo, s27, v32, vcc_lo
	v_add_nc_u32_e32 v59, 4, v59
	s_addc_u32 s23, s23, -1
	s_delay_alu instid0(SALU_CYCLE_1)
	s_cmp_eq_u64 s[22:23], 0
	s_waitcnt vmcnt(0) lgkmcnt(0)
	v_fmac_f32_e32 v58, v61, v60
	s_cbranch_scc0 .LBB99_55
	s_branch .LBB99_40
.LBB99_56:                              ;   in Loop: Header=BB99_28 Depth=2
	s_or_b32 exec_lo, exec_lo, s67
	v_dual_mov_b32 v21, v29 :: v_dual_mov_b32 v22, v30
.LBB99_57:                              ;   in Loop: Header=BB99_28 Depth=2
	s_or_b32 exec_lo, exec_lo, s66
.LBB99_58:                              ;   in Loop: Header=BB99_28 Depth=2
	s_delay_alu instid0(SALU_CYCLE_1)
	s_or_b32 exec_lo, exec_lo, s65
	s_waitcnt lgkmcnt(0)
	s_barrier
	buffer_gl0_inv
	s_and_saveexec_b32 s15, s14
	s_cbranch_execz .LBB99_27
; %bb.59:                               ;   in Loop: Header=BB99_28 Depth=2
	v_add_co_u32 v19, vcc_lo, s50, v19
	v_add_co_ci_u32_e32 v20, vcc_lo, s51, v20, vcc_lo
	global_store_b64 v[19:20], v[21:22], off
	s_branch .LBB99_27
.LBB99_60:                              ;   in Loop: Header=BB99_15 Depth=1
	s_and_not1_b32 vcc_lo, exec_lo, s33
	s_cbranch_vccnz .LBB99_72
; %bb.61:                               ;   in Loop: Header=BB99_15 Depth=1
	s_load_b128 s[20:23], s[16:17], 0x0
	s_waitcnt lgkmcnt(0)
	v_add_co_u32 v21, vcc_lo, s20, v39
	v_add_co_ci_u32_e32 v22, vcc_lo, s21, v40, vcc_lo
	s_sub_u32 s14, s22, s58
	s_subb_u32 s15, s23, 0
	s_mov_b32 s22, exec_lo
	s_delay_alu instid0(VALU_DEP_1)
	v_cmpx_gt_i64_e64 s[14:15], v[21:22]
	s_cbranch_execz .LBB99_71
; %bb.62:                               ;   in Loop: Header=BB99_15 Depth=1
	v_lshlrev_b64 v[23:24], 3, v[21:22]
	v_mad_u64_u32 v[19:20], null, s44, v21, v[7:8]
	v_mul_lo_u32 v25, s44, v22
	v_mul_lo_u32 v26, s45, v21
	s_delay_alu instid0(VALU_DEP_4) | instskip(SKIP_2) | instid1(VALU_DEP_4)
	v_add_co_u32 v21, vcc_lo, s18, v23
	v_add_co_ci_u32_e32 v22, vcc_lo, s19, v24, vcc_lo
	v_add_co_u32 v23, vcc_lo, v53, s20
	v_add3_u32 v20, v26, v20, v25
	v_add_co_ci_u32_e32 v24, vcc_lo, s21, v54, vcc_lo
	s_mov_b32 s20, 0
	s_branch .LBB99_65
.LBB99_63:                              ;   in Loop: Header=BB99_65 Depth=2
	s_or_b32 exec_lo, exec_lo, s23
	s_delay_alu instid0(SALU_CYCLE_1)
	s_or_b32 s13, s13, exec_lo
.LBB99_64:                              ;   in Loop: Header=BB99_65 Depth=2
	s_or_b32 exec_lo, exec_lo, s21
	v_cmp_le_i64_e32 vcc_lo, s[14:15], v[23:24]
	s_xor_b32 s21, s13, -1
	v_add_co_u32 v21, s13, 0x80, v21
	s_delay_alu instid0(VALU_DEP_1)
	v_add_co_ci_u32_e64 v22, s13, 0, v22, s13
	s_or_b32 s13, s21, vcc_lo
	v_add_co_u32 v19, vcc_lo, v19, s46
	v_add_co_ci_u32_e32 v20, vcc_lo, s47, v20, vcc_lo
	v_add_co_u32 v23, vcc_lo, v23, 16
	v_add_co_ci_u32_e32 v24, vcc_lo, 0, v24, vcc_lo
	s_and_b32 s13, exec_lo, s13
	s_delay_alu instid0(SALU_CYCLE_1) | instskip(NEXT) | instid1(SALU_CYCLE_1)
	s_or_b32 s20, s13, s20
	s_and_not1_b32 exec_lo, exec_lo, s20
	s_cbranch_execz .LBB99_70
.LBB99_65:                              ;   Parent Loop BB99_15 Depth=1
                                        ; =>  This Inner Loop Header: Depth=2
	global_load_b64 v[25:26], v[21:22], off
	s_waitcnt vmcnt(0)
	v_sub_co_u32 v25, vcc_lo, v25, s58
	v_subrev_co_ci_u32_e32 v26, vcc_lo, 0, v26, vcc_lo
	s_delay_alu instid0(VALU_DEP_1)
	v_cmp_lt_i64_e32 vcc_lo, v[25:26], v[15:16]
	v_cmp_lt_i64_e64 s13, v[25:26], v[13:14]
	s_xor_b32 s21, vcc_lo, -1
	s_delay_alu instid0(VALU_DEP_1) | instid1(SALU_CYCLE_1)
	s_or_b32 s21, s13, s21
                                        ; implicit-def: $sgpr13
	s_delay_alu instid0(SALU_CYCLE_1) | instskip(NEXT) | instid1(SALU_CYCLE_1)
	s_and_saveexec_b32 s23, s21
	s_xor_b32 s21, exec_lo, s23
; %bb.66:                               ;   in Loop: Header=BB99_65 Depth=2
	v_cmp_lt_i64_e64 s13, v[25:26], v[17:18]
	s_delay_alu instid0(VALU_DEP_1) | instskip(SKIP_2) | instid1(VALU_DEP_1)
	v_cndmask_b32_e64 v25, v17, v25, s13
	v_cndmask_b32_e64 v26, v18, v26, s13
	s_and_b32 s13, vcc_lo, exec_lo
	v_dual_cndmask_b32 v17, v25, v17 :: v_dual_cndmask_b32 v18, v26, v18
                                        ; implicit-def: $vgpr25
; %bb.67:                               ;   in Loop: Header=BB99_65 Depth=2
	s_and_not1_saveexec_b32 s21, s21
	s_cbranch_execz .LBB99_64
; %bb.68:                               ;   in Loop: Header=BB99_65 Depth=2
	v_sub_nc_u32_e32 v25, v25, v13
	s_delay_alu instid0(VALU_DEP_1)
	v_lshlrev_b32_e32 v26, 2, v25
	ds_store_b32 v26, v56 offset:9216
	s_and_saveexec_b32 s23, s60
	s_cbranch_execz .LBB99_63
; %bb.69:                               ;   in Loop: Header=BB99_65 Depth=2
	global_load_b32 v26, v[19:20], off
	s_waitcnt vmcnt(0)
	v_dual_mul_f32 v26, v34, v26 :: v_dual_lshlrev_b32 v25, 4, v25
	s_delay_alu instid0(VALU_DEP_1) | instskip(NEXT) | instid1(VALU_DEP_1)
	v_or3_b32 v25, v25, v38, v3
	v_lshlrev_b32_e32 v25, 2, v25
	ds_add_f32 v25, v26
	s_branch .LBB99_63
.LBB99_70:                              ;   in Loop: Header=BB99_15 Depth=1
	s_or_b32 exec_lo, exec_lo, s20
.LBB99_71:                              ;   in Loop: Header=BB99_15 Depth=1
	s_delay_alu instid0(SALU_CYCLE_1)
	s_or_b32 exec_lo, exec_lo, s22
.LBB99_72:                              ;   in Loop: Header=BB99_15 Depth=1
	s_and_saveexec_b32 s13, s2
	s_cbranch_execz .LBB99_77
; %bb.73:                               ;   in Loop: Header=BB99_15 Depth=1
	s_mov_b32 s20, exec_lo
	s_mov_b64 s[14:15], -1
.LBB99_74:                              ;   Parent Loop BB99_15 Depth=1
                                        ; =>  This Inner Loop Header: Depth=2
	s_ctz_i32_b32 s21, s20
	s_delay_alu instid0(SALU_CYCLE_1) | instskip(SKIP_1) | instid1(VALU_DEP_1)
	v_readlane_b32 s23, v18, s21
	v_readlane_b32 s22, v17, s21
	v_cmp_lt_u64_e64 s65, s[14:15], s[22:23]
	s_delay_alu instid0(VALU_DEP_1) | instskip(SKIP_3) | instid1(SALU_CYCLE_1)
	s_and_b32 s65, s65, exec_lo
	s_cselect_b32 s15, s15, s23
	s_cselect_b32 s14, s14, s22
	s_lshl_b32 s21, 1, s21
	s_and_not1_b32 s20, s20, s21
	s_delay_alu instid0(SALU_CYCLE_1)
	s_cmp_lg_u32 s20, 0
	s_cbranch_scc1 .LBB99_74
; %bb.75:                               ;   in Loop: Header=BB99_15 Depth=1
	v_mbcnt_lo_u32_b32 v15, exec_lo, 0
	s_mov_b32 s20, exec_lo
	s_delay_alu instid0(VALU_DEP_1)
	v_cmpx_eq_u32_e32 0, v15
	s_xor_b32 s20, exec_lo, s20
	s_cbranch_execz .LBB99_77
; %bb.76:                               ;   in Loop: Header=BB99_15 Depth=1
	v_dual_mov_b32 v16, s15 :: v_dual_mov_b32 v15, s14
	ds_min_u64 v2, v[15:16] offset:9728
.LBB99_77:                              ;   in Loop: Header=BB99_15 Depth=1
	s_or_b32 exec_lo, exec_lo, s13
	s_waitcnt lgkmcnt(0)
	s_waitcnt_vscnt null, 0x0
	s_barrier
	buffer_gl0_inv
	ds_load_b32 v15, v41
	s_waitcnt lgkmcnt(0)
	s_barrier
	buffer_gl0_inv
	s_and_saveexec_b32 s13, s3
	s_cbranch_execz .LBB99_79
; %bb.78:                               ;   in Loop: Header=BB99_15 Depth=1
	ds_load_b32 v16, v42
	s_waitcnt lgkmcnt(0)
	v_add_nc_u32_e32 v15, v16, v15
.LBB99_79:                              ;   in Loop: Header=BB99_15 Depth=1
	s_or_b32 exec_lo, exec_lo, s13
	s_barrier
	buffer_gl0_inv
	ds_store_b32 v41, v15
	s_waitcnt lgkmcnt(0)
	s_barrier
	buffer_gl0_inv
	s_and_saveexec_b32 s13, s4
	s_cbranch_execz .LBB99_81
; %bb.80:                               ;   in Loop: Header=BB99_15 Depth=1
	ds_load_b32 v16, v44
	s_waitcnt lgkmcnt(0)
	v_add_nc_u32_e32 v15, v16, v15
.LBB99_81:                              ;   in Loop: Header=BB99_15 Depth=1
	s_or_b32 exec_lo, exec_lo, s13
	s_barrier
	buffer_gl0_inv
	ds_store_b32 v41, v15
	;; [unrolled: 14-line block ×7, first 2 shown]
	s_waitcnt lgkmcnt(0)
	s_barrier
	buffer_gl0_inv
	ds_load_b32 v16, v2 offset:9724
	v_mov_b32_e32 v17, 0
	s_and_saveexec_b32 s13, s39
	s_cbranch_execz .LBB99_93
; %bb.92:                               ;   in Loop: Header=BB99_15 Depth=1
	ds_load_b32 v17, v42
.LBB99_93:                              ;   in Loop: Header=BB99_15 Depth=1
	s_or_b32 exec_lo, exec_lo, s13
	s_waitcnt lgkmcnt(0)
	v_cmp_eq_u32_e32 vcc_lo, v15, v17
	s_barrier
	buffer_gl0_inv
	s_and_b32 s14, s39, vcc_lo
	s_delay_alu instid0(SALU_CYCLE_1)
	s_and_saveexec_b32 s13, s14
	s_cbranch_execz .LBB99_95
; %bb.94:                               ;   in Loop: Header=BB99_15 Depth=1
	ds_store_b32 v41, v2
.LBB99_95:                              ;   in Loop: Header=BB99_15 Depth=1
	s_or_b32 exec_lo, exec_lo, s13
	v_add_co_u32 v15, vcc_lo, v11, -1
	v_add_co_ci_u32_e32 v17, vcc_lo, -1, v12, vcc_lo
	v_add_co_u32 v18, vcc_lo, s38, v13
	v_add_co_ci_u32_e32 v19, vcc_lo, 0, v14, vcc_lo
	v_dual_mov_b32 v21, v35 :: v_dual_mov_b32 v14, v2
	v_dual_mov_b32 v20, v55 :: v_dual_mov_b32 v13, v1
	s_mov_b32 s13, 0
	s_waitcnt lgkmcnt(0)
	s_barrier
	buffer_gl0_inv
	s_branch .LBB99_97
.LBB99_96:                              ;   in Loop: Header=BB99_97 Depth=2
	s_or_b32 exec_lo, exec_lo, s14
	v_add_co_u32 v13, vcc_lo, v13, 16
	v_add_co_ci_u32_e32 v14, vcc_lo, 0, v14, vcc_lo
	v_add_nc_u32_e32 v21, 0x400, v21
	s_delay_alu instid0(VALU_DEP_3) | instskip(SKIP_1) | instid1(VALU_DEP_2)
	v_add_nc_u32_e32 v22, -16, v13
	v_add_nc_u32_e32 v20, 64, v20
	v_cmp_lt_u32_e32 vcc_lo, 0x6f, v22
	s_or_b32 s13, vcc_lo, s13
	s_delay_alu instid0(SALU_CYCLE_1)
	s_and_not1_b32 exec_lo, exec_lo, s13
	s_cbranch_execz .LBB99_14
.LBB99_97:                              ;   Parent Loop BB99_15 Depth=1
                                        ; =>  This Inner Loop Header: Depth=2
	ds_load_b32 v22, v20
	s_mov_b32 s14, exec_lo
	s_waitcnt lgkmcnt(0)
	v_cmpx_ne_u32_e32 0, v22
	s_cbranch_execz .LBB99_96
; %bb.98:                               ;   in Loop: Header=BB99_97 Depth=2
	v_ashrrev_i32_e32 v23, 31, v22
	v_add_co_u32 v24, vcc_lo, v11, v22
	s_delay_alu instid0(VALU_DEP_2) | instskip(SKIP_2) | instid1(VALU_DEP_3)
	v_add_co_ci_u32_e32 v25, vcc_lo, v12, v23, vcc_lo
	v_add_co_u32 v26, vcc_lo, v18, v13
	v_add_co_ci_u32_e32 v27, vcc_lo, v19, v14, vcc_lo
	v_lshlrev_b64 v[24:25], 3, v[24:25]
	s_delay_alu instid0(VALU_DEP_1) | instskip(NEXT) | instid1(VALU_DEP_2)
	v_add_co_u32 v24, vcc_lo, s63, v24
	v_add_co_ci_u32_e32 v25, vcc_lo, s64, v25, vcc_lo
	global_store_b64 v[24:25], v[26:27], off
	s_and_b32 exec_lo, exec_lo, s60
	s_cbranch_execz .LBB99_96
; %bb.99:                               ;   in Loop: Header=BB99_97 Depth=2
	v_add_co_u32 v24, vcc_lo, v15, v22
	v_add_co_ci_u32_e32 v22, vcc_lo, v17, v23, vcc_lo
	s_delay_alu instid0(VALU_DEP_2) | instskip(NEXT) | instid1(VALU_DEP_2)
	v_mul_lo_u32 v26, v24, s55
	v_mul_lo_u32 v25, v22, s54
	v_mad_u64_u32 v[22:23], null, v24, s54, 0
	ds_load_b32 v24, v21
	v_add3_u32 v23, v23, v26, v25
	s_delay_alu instid0(VALU_DEP_1) | instskip(NEXT) | instid1(VALU_DEP_1)
	v_lshlrev_b64 v[22:23], 2, v[22:23]
	v_add_co_u32 v22, vcc_lo, v51, v22
	s_delay_alu instid0(VALU_DEP_2)
	v_add_co_ci_u32_e32 v23, vcc_lo, v50, v23, vcc_lo
	s_waitcnt lgkmcnt(0)
	global_store_b32 v[22:23], v24, off
	s_branch .LBB99_96
.LBB99_100:
	s_endpgm
	.section	.rodata,"a",@progbits
	.p2align	6, 0x0
	.amdhsa_kernel _ZN9rocsparseL38bsrgemm_block_per_row_atomic_multipassILj256ELj128ELj4EllfEEv20rocsparse_direction_T3_S2_PKS2_S4_NS_24const_host_device_scalarIT4_EEPKT2_S4_PKS6_SA_S4_SC_S7_SA_S4_SC_SA_PS2_PS6_PS8_21rocsparse_index_base_SG_SG_SG_bbb
		.amdhsa_group_segment_fixed_size 9736
		.amdhsa_private_segment_fixed_size 0
		.amdhsa_kernarg_size 180
		.amdhsa_user_sgpr_count 15
		.amdhsa_user_sgpr_dispatch_ptr 0
		.amdhsa_user_sgpr_queue_ptr 0
		.amdhsa_user_sgpr_kernarg_segment_ptr 1
		.amdhsa_user_sgpr_dispatch_id 0
		.amdhsa_user_sgpr_private_segment_size 0
		.amdhsa_wavefront_size32 1
		.amdhsa_uses_dynamic_stack 0
		.amdhsa_enable_private_segment 0
		.amdhsa_system_sgpr_workgroup_id_x 1
		.amdhsa_system_sgpr_workgroup_id_y 0
		.amdhsa_system_sgpr_workgroup_id_z 0
		.amdhsa_system_sgpr_workgroup_info 0
		.amdhsa_system_vgpr_workitem_id 0
		.amdhsa_next_free_vgpr 62
		.amdhsa_next_free_sgpr 70
		.amdhsa_reserve_vcc 1
		.amdhsa_float_round_mode_32 0
		.amdhsa_float_round_mode_16_64 0
		.amdhsa_float_denorm_mode_32 3
		.amdhsa_float_denorm_mode_16_64 3
		.amdhsa_dx10_clamp 1
		.amdhsa_ieee_mode 1
		.amdhsa_fp16_overflow 0
		.amdhsa_workgroup_processor_mode 1
		.amdhsa_memory_ordered 1
		.amdhsa_forward_progress 0
		.amdhsa_shared_vgpr_count 0
		.amdhsa_exception_fp_ieee_invalid_op 0
		.amdhsa_exception_fp_denorm_src 0
		.amdhsa_exception_fp_ieee_div_zero 0
		.amdhsa_exception_fp_ieee_overflow 0
		.amdhsa_exception_fp_ieee_underflow 0
		.amdhsa_exception_fp_ieee_inexact 0
		.amdhsa_exception_int_div_zero 0
	.end_amdhsa_kernel
	.section	.text._ZN9rocsparseL38bsrgemm_block_per_row_atomic_multipassILj256ELj128ELj4EllfEEv20rocsparse_direction_T3_S2_PKS2_S4_NS_24const_host_device_scalarIT4_EEPKT2_S4_PKS6_SA_S4_SC_S7_SA_S4_SC_SA_PS2_PS6_PS8_21rocsparse_index_base_SG_SG_SG_bbb,"axG",@progbits,_ZN9rocsparseL38bsrgemm_block_per_row_atomic_multipassILj256ELj128ELj4EllfEEv20rocsparse_direction_T3_S2_PKS2_S4_NS_24const_host_device_scalarIT4_EEPKT2_S4_PKS6_SA_S4_SC_S7_SA_S4_SC_SA_PS2_PS6_PS8_21rocsparse_index_base_SG_SG_SG_bbb,comdat
.Lfunc_end99:
	.size	_ZN9rocsparseL38bsrgemm_block_per_row_atomic_multipassILj256ELj128ELj4EllfEEv20rocsparse_direction_T3_S2_PKS2_S4_NS_24const_host_device_scalarIT4_EEPKT2_S4_PKS6_SA_S4_SC_S7_SA_S4_SC_SA_PS2_PS6_PS8_21rocsparse_index_base_SG_SG_SG_bbb, .Lfunc_end99-_ZN9rocsparseL38bsrgemm_block_per_row_atomic_multipassILj256ELj128ELj4EllfEEv20rocsparse_direction_T3_S2_PKS2_S4_NS_24const_host_device_scalarIT4_EEPKT2_S4_PKS6_SA_S4_SC_S7_SA_S4_SC_SA_PS2_PS6_PS8_21rocsparse_index_base_SG_SG_SG_bbb
                                        ; -- End function
	.section	.AMDGPU.csdata,"",@progbits
; Kernel info:
; codeLenInByte = 4208
; NumSgprs: 72
; NumVgprs: 62
; ScratchSize: 0
; MemoryBound: 0
; FloatMode: 240
; IeeeMode: 1
; LDSByteSize: 9736 bytes/workgroup (compile time only)
; SGPRBlocks: 8
; VGPRBlocks: 7
; NumSGPRsForWavesPerEU: 72
; NumVGPRsForWavesPerEU: 62
; Occupancy: 16
; WaveLimiterHint : 1
; COMPUTE_PGM_RSRC2:SCRATCH_EN: 0
; COMPUTE_PGM_RSRC2:USER_SGPR: 15
; COMPUTE_PGM_RSRC2:TRAP_HANDLER: 0
; COMPUTE_PGM_RSRC2:TGID_X_EN: 1
; COMPUTE_PGM_RSRC2:TGID_Y_EN: 0
; COMPUTE_PGM_RSRC2:TGID_Z_EN: 0
; COMPUTE_PGM_RSRC2:TIDIG_COMP_CNT: 0
	.section	.text._ZN9rocsparseL23bsrgemm_fill_wf_per_rowILj256ELj64ELj8ELj137ELj8EllfEEv20rocsparse_direction_T5_S2_S2_PKS2_S4_NS_24const_host_device_scalarIT6_EEPKT4_S4_PKS6_SA_S4_SC_S7_SA_S4_SC_SA_PS2_PS6_21rocsparse_index_base_SF_SF_SF_bbb,"axG",@progbits,_ZN9rocsparseL23bsrgemm_fill_wf_per_rowILj256ELj64ELj8ELj137ELj8EllfEEv20rocsparse_direction_T5_S2_S2_PKS2_S4_NS_24const_host_device_scalarIT6_EEPKT4_S4_PKS6_SA_S4_SC_S7_SA_S4_SC_SA_PS2_PS6_21rocsparse_index_base_SF_SF_SF_bbb,comdat
	.globl	_ZN9rocsparseL23bsrgemm_fill_wf_per_rowILj256ELj64ELj8ELj137ELj8EllfEEv20rocsparse_direction_T5_S2_S2_PKS2_S4_NS_24const_host_device_scalarIT6_EEPKT4_S4_PKS6_SA_S4_SC_S7_SA_S4_SC_SA_PS2_PS6_21rocsparse_index_base_SF_SF_SF_bbb ; -- Begin function _ZN9rocsparseL23bsrgemm_fill_wf_per_rowILj256ELj64ELj8ELj137ELj8EllfEEv20rocsparse_direction_T5_S2_S2_PKS2_S4_NS_24const_host_device_scalarIT6_EEPKT4_S4_PKS6_SA_S4_SC_S7_SA_S4_SC_SA_PS2_PS6_21rocsparse_index_base_SF_SF_SF_bbb
	.p2align	8
	.type	_ZN9rocsparseL23bsrgemm_fill_wf_per_rowILj256ELj64ELj8ELj137ELj8EllfEEv20rocsparse_direction_T5_S2_S2_PKS2_S4_NS_24const_host_device_scalarIT6_EEPKT4_S4_PKS6_SA_S4_SC_S7_SA_S4_SC_SA_PS2_PS6_21rocsparse_index_base_SF_SF_SF_bbb,@function
_ZN9rocsparseL23bsrgemm_fill_wf_per_rowILj256ELj64ELj8ELj137ELj8EllfEEv20rocsparse_direction_T5_S2_S2_PKS2_S4_NS_24const_host_device_scalarIT6_EEPKT4_S4_PKS6_SA_S4_SC_S7_SA_S4_SC_SA_PS2_PS6_21rocsparse_index_base_SF_SF_SF_bbb: ; @_ZN9rocsparseL23bsrgemm_fill_wf_per_rowILj256ELj64ELj8ELj137ELj8EllfEEv20rocsparse_direction_T5_S2_S2_PKS2_S4_NS_24const_host_device_scalarIT6_EEPKT4_S4_PKS6_SA_S4_SC_S7_SA_S4_SC_SA_PS2_PS6_21rocsparse_index_base_SF_SF_SF_bbb
; %bb.0:
	s_clause 0x2
	s_load_b32 s6, s[0:1], 0xb0
	s_load_b64 s[4:5], s[0:1], 0x30
	s_load_b64 s[2:3], s[0:1], 0x68
	s_waitcnt lgkmcnt(0)
	s_bitcmp1_b32 s6, 0
	s_cselect_b32 s12, -1, 0
	s_bitcmp1_b32 s6, 16
	s_cselect_b32 s7, -1, 0
	s_xor_b32 s8, s12, -1
	s_delay_alu instid0(SALU_CYCLE_1) | instskip(NEXT) | instid1(SALU_CYCLE_1)
	s_or_b32 s8, s8, s7
	s_and_b32 vcc_lo, exec_lo, s8
	s_cbranch_vccnz .LBB100_2
; %bb.1:
	s_load_b32 s4, s[4:5], 0x0
	s_waitcnt lgkmcnt(0)
	v_mov_b32_e32 v37, s4
	s_branch .LBB100_3
.LBB100_2:
	v_cndmask_b32_e64 v37, 0, s4, s12
.LBB100_3:
	s_load_b128 s[36:39], s[0:1], 0xa0
	s_bitcmp1_b32 s6, 8
	s_cselect_b32 s33, -1, 0
	s_delay_alu instid0(SALU_CYCLE_1) | instskip(NEXT) | instid1(SALU_CYCLE_1)
	s_xor_b32 s4, s33, -1
	s_or_b32 s4, s4, s7
	s_delay_alu instid0(SALU_CYCLE_1)
	s_and_b32 vcc_lo, exec_lo, s4
	s_cbranch_vccnz .LBB100_5
; %bb.4:
	s_load_b32 s2, s[2:3], 0x0
	s_waitcnt lgkmcnt(0)
	v_mov_b32_e32 v36, s2
	s_branch .LBB100_6
.LBB100_5:
	v_cndmask_b32_e64 v36, 0, s2, s33
.LBB100_6:
	s_clause 0x5
	s_load_b128 s[40:43], s[0:1], 0x90
	s_load_b256 s[16:23], s[0:1], 0x70
	s_load_b128 s[44:47], s[0:1], 0x58
	s_load_b256 s[4:11], s[0:1], 0x8
	s_load_b64 s[2:3], s[0:1], 0x28
	s_load_b256 s[24:31], s[0:1], 0x38
	s_movk_i32 s13, 0xc0
	v_and_b32_e32 v3, 63, v0
	v_lshrrev_b32_e32 v34, 6, v0
	v_and_or_b32 v33, v0, s13, 0x2000
	s_mov_b32 s13, exec_lo
	s_delay_alu instid0(VALU_DEP_3)
	v_cmpx_gt_u32_e32 8, v3
	s_cbranch_execz .LBB100_8
; %bb.7:
	s_delay_alu instid0(VALU_DEP_2)
	v_lshl_add_u32 v4, v3, 3, v33
	s_waitcnt lgkmcnt(0)
	v_dual_mov_b32 v1, s6 :: v_dual_mov_b32 v2, s7
	ds_store_b64 v4, v[1:2]
.LBB100_8:
	s_or_b32 exec_lo, exec_lo, s13
	v_dual_mov_b32 v4, 0 :: v_dual_lshlrev_b32 v35, 11, v34
	v_or_b32_e32 v1, 0xffffffc0, v3
	s_mov_b32 s13, 0
	s_delay_alu instid0(VALU_DEP_2)
	v_lshl_or_b32 v2, v3, 2, v35
.LBB100_9:                              ; =>This Inner Loop Header: Depth=1
	s_delay_alu instid0(VALU_DEP_2) | instskip(SKIP_4) | instid1(SALU_CYCLE_1)
	v_add_nc_u32_e32 v1, 64, v1
	ds_store_b32 v2, v4
	v_add_nc_u32_e32 v2, 0x100, v2
	v_cmp_lt_u32_e32 vcc_lo, 0x1bf, v1
	s_or_b32 s13, vcc_lo, s13
	s_and_not1_b32 exec_lo, exec_lo, s13
	s_cbranch_execnz .LBB100_9
; %bb.10:
	s_or_b32 exec_lo, exec_lo, s13
	v_lshl_or_b32 v1, s15, 2, v34
	v_mov_b32_e32 v2, 0
	s_waitcnt lgkmcnt(0)
	s_barrier
	buffer_gl0_inv
	v_cmp_gt_i64_e32 vcc_lo, s[4:5], v[1:2]
	s_and_saveexec_b32 s4, vcc_lo
	s_cbranch_execz .LBB100_64
; %bb.11:
	s_cmp_eq_u64 s[2:3], 0
	s_cbranch_scc1 .LBB100_13
; %bb.12:
	s_load_b64 s[4:5], s[10:11], 0x0
	v_lshlrev_b64 v[1:2], 3, v[1:2]
	s_waitcnt lgkmcnt(0)
	s_lshl_b64 s[4:5], s[4:5], 3
	s_delay_alu instid0(SALU_CYCLE_1) | instskip(SKIP_1) | instid1(VALU_DEP_1)
	s_add_u32 s2, s2, s4
	s_addc_u32 s3, s3, s5
	v_add_co_u32 v1, vcc_lo, s2, v1
	v_add_co_ci_u32_e32 v2, vcc_lo, s3, v2, vcc_lo
	global_load_b64 v[1:2], v[1:2], off
.LBB100_13:
	s_load_b32 s14, s[0:1], 0x0
	v_lshlrev_b32_e32 v4, 5, v0
	s_waitcnt vmcnt(0)
	v_lshlrev_b64 v[9:10], 3, v[1:2]
	v_and_b32_e32 v7, 7, v0
	v_lshrrev_b32_e32 v5, 3, v3
	s_and_not1_b32 vcc_lo, exec_lo, s12
	v_and_b32_e32 v38, 0x1800, v4
	s_mul_i32 s12, s8, s9
	s_mul_hi_u32 s13, s8, s8
	s_mul_i32 s2, s8, s8
	s_cbranch_vccnz .LBB100_41
; %bb.14:
	v_add_co_u32 v1, vcc_lo, s24, v9
	v_add_co_ci_u32_e32 v2, vcc_lo, s25, v10, vcc_lo
	s_mov_b32 s15, exec_lo
	global_load_b128 v[1:4], v[1:2], off
	s_waitcnt vmcnt(0)
	v_cmpx_lt_i64_e64 v[1:2], v[3:4]
	s_cbranch_execz .LBB100_40
; %bb.15:
	v_sub_co_u32 v11, vcc_lo, v1, s36
	v_subrev_co_ci_u32_e32 v12, vcc_lo, 0, v2, vcc_lo
	s_waitcnt lgkmcnt(0)
	s_cmp_lg_u32 s14, 0
	s_delay_alu instid0(VALU_DEP_2)
	v_mul_lo_u32 v6, s9, v11
	v_mad_u64_u32 v[1:2], null, s8, v11, 0
	v_mul_lo_u32 v8, s8, v12
	s_cselect_b32 s25, -1, 0
	s_add_i32 s0, s13, s12
	v_sub_co_u32 v13, vcc_lo, v3, s36
	s_add_i32 s3, s0, s12
	v_subrev_co_ci_u32_e32 v14, vcc_lo, 0, v4, vcc_lo
	v_mul_lo_u32 v16, s3, v11
	v_mul_lo_u32 v17, s2, v12
	v_add3_u32 v2, v2, v8, v6
	v_mad_u64_u32 v[3:4], null, s2, v11, 0
	v_dual_mov_b32 v8, 0 :: v_dual_lshlrev_b32 v15, 2, v7
	s_delay_alu instid0(VALU_DEP_3) | instskip(SKIP_2) | instid1(VALU_DEP_4)
	v_lshlrev_b64 v[1:2], 2, v[1:2]
	v_lshlrev_b32_e32 v19, 2, v5
	v_and_b32_e32 v18, 56, v0
	v_mov_b32_e32 v6, v8
	v_add3_u32 v4, v4, v17, v16
	s_mov_b32 s24, 0
	v_add_co_u32 v16, vcc_lo, v1, v19
	v_add_co_ci_u32_e32 v17, vcc_lo, 0, v2, vcc_lo
	s_delay_alu instid0(VALU_DEP_3) | instskip(SKIP_2) | instid1(VALU_DEP_4)
	v_lshlrev_b64 v[1:2], 2, v[3:4]
	v_lshlrev_b32_e32 v18, 2, v18
	v_cmp_gt_u64_e64 s0, s[8:9], v[5:6]
	v_mul_lo_u32 v3, s8, v17
	v_mul_lo_u32 v4, s9, v16
	v_cmp_gt_i64_e32 vcc_lo, s[8:9], v[7:8]
	v_add_co_u32 v1, s1, v1, v19
	v_add3_u32 v6, v38, v15, v18
	v_mad_u64_u32 v[17:18], null, s8, v16, s[28:29]
	v_add_co_ci_u32_e64 v2, s1, 0, v2, s1
	s_delay_alu instid0(VALU_DEP_4) | instskip(SKIP_1) | instid1(VALU_DEP_3)
	v_add_co_u32 v19, s1, s28, v1
	v_mov_b32_e32 v16, v8
	v_add_co_ci_u32_e64 v20, s1, s29, v2, s1
	v_add_co_u32 v21, s1, s46, v15
	v_add3_u32 v18, v4, v18, v3
	v_add_co_ci_u32_e64 v22, null, s47, 0, s1
	s_mov_b32 s34, s37
	s_and_b32 s28, vcc_lo, s0
	s_lshl_b64 s[4:5], s[8:9], 2
	s_lshl_b64 s[10:11], s[2:3], 2
	s_branch .LBB100_17
.LBB100_16:                             ;   in Loop: Header=BB100_17 Depth=1
	s_or_b32 exec_lo, exec_lo, s3
	v_add_co_u32 v11, vcc_lo, v11, 1
	v_add_co_ci_u32_e32 v12, vcc_lo, 0, v12, vcc_lo
	v_add_co_u32 v19, vcc_lo, v19, s10
	v_add_co_ci_u32_e32 v20, vcc_lo, s11, v20, vcc_lo
	s_delay_alu instid0(VALU_DEP_3) | instskip(SKIP_1) | instid1(VALU_DEP_1)
	v_cmp_ge_i64_e32 vcc_lo, v[11:12], v[13:14]
	v_add_co_u32 v17, s0, v17, s10
	v_add_co_ci_u32_e64 v18, s0, s11, v18, s0
	s_or_b32 s24, vcc_lo, s24
	s_delay_alu instid0(SALU_CYCLE_1)
	s_and_not1_b32 exec_lo, exec_lo, s24
	s_cbranch_execz .LBB100_40
.LBB100_17:                             ; =>This Loop Header: Depth=1
                                        ;     Child Loop BB100_20 Depth 2
                                        ;       Child Loop BB100_27 Depth 3
                                        ;       Child Loop BB100_23 Depth 3
                                        ;       Child Loop BB100_30 Depth 3
	v_lshlrev_b64 v[1:2], 3, v[11:12]
	s_mov_b32 s3, exec_lo
	s_delay_alu instid0(VALU_DEP_1) | instskip(NEXT) | instid1(VALU_DEP_2)
	v_add_co_u32 v1, vcc_lo, s26, v1
	v_add_co_ci_u32_e32 v2, vcc_lo, s27, v2, vcc_lo
	global_load_b64 v[1:2], v[1:2], off
	s_waitcnt vmcnt(0)
	v_sub_co_u32 v1, vcc_lo, v1, s36
	v_subrev_co_ci_u32_e32 v2, vcc_lo, 0, v2, vcc_lo
	s_delay_alu instid0(VALU_DEP_1) | instskip(NEXT) | instid1(VALU_DEP_1)
	v_lshlrev_b64 v[1:2], 3, v[1:2]
	v_add_co_u32 v1, vcc_lo, s30, v1
	s_delay_alu instid0(VALU_DEP_2)
	v_add_co_ci_u32_e32 v2, vcc_lo, s31, v2, vcc_lo
	global_load_b128 v[1:4], v[1:2], off
	s_waitcnt vmcnt(0)
	v_cmpx_lt_i64_e64 v[1:2], v[3:4]
	s_cbranch_execz .LBB100_16
; %bb.18:                               ;   in Loop: Header=BB100_17 Depth=1
	v_sub_co_u32 v1, vcc_lo, v1, s34
	v_subrev_co_ci_u32_e32 v2, vcc_lo, 0, v2, vcc_lo
	v_sub_co_u32 v3, vcc_lo, v3, s34
	s_delay_alu instid0(VALU_DEP_3) | instskip(NEXT) | instid1(VALU_DEP_3)
	v_mul_lo_u32 v23, s5, v1
	v_mul_lo_u32 v8, s4, v2
	v_mad_u64_u32 v[25:26], null, s4, v1, v[15:16]
	v_mul_lo_u32 v27, s10, v2
	v_mul_lo_u32 v28, s11, v1
	v_subrev_co_ci_u32_e32 v4, vcc_lo, 0, v4, vcc_lo
	s_mov_b32 s29, 0
	s_delay_alu instid0(VALU_DEP_4) | instskip(SKIP_3) | instid1(VALU_DEP_4)
	v_add3_u32 v8, v23, v26, v8
	v_mul_lo_u32 v29, s9, v25
	v_mad_u64_u32 v[23:24], null, s8, v25, s[46:47]
	v_mad_u64_u32 v[25:26], null, s10, v1, v[21:22]
	v_mul_lo_u32 v8, s8, v8
	s_delay_alu instid0(VALU_DEP_2) | instskip(NEXT) | instid1(VALU_DEP_2)
	v_add3_u32 v26, v28, v26, v27
	v_add3_u32 v24, v29, v24, v8
	s_branch .LBB100_20
.LBB100_19:                             ;   in Loop: Header=BB100_20 Depth=2
	s_or_b32 exec_lo, exec_lo, s35
	v_add_co_u32 v1, vcc_lo, v1, 1
	v_add_co_ci_u32_e32 v2, vcc_lo, 0, v2, vcc_lo
	v_add_co_u32 v23, vcc_lo, v23, s10
	v_add_co_ci_u32_e32 v24, vcc_lo, s11, v24, vcc_lo
	s_delay_alu instid0(VALU_DEP_3) | instskip(SKIP_1) | instid1(VALU_DEP_1)
	v_cmp_ge_i64_e32 vcc_lo, v[1:2], v[3:4]
	v_add_co_u32 v25, s0, v25, s10
	v_add_co_ci_u32_e64 v26, s0, s11, v26, s0
	s_or_b32 s29, vcc_lo, s29
	s_delay_alu instid0(SALU_CYCLE_1)
	s_and_not1_b32 exec_lo, exec_lo, s29
	s_cbranch_execz .LBB100_16
.LBB100_20:                             ;   Parent Loop BB100_17 Depth=1
                                        ; =>  This Loop Header: Depth=2
                                        ;       Child Loop BB100_27 Depth 3
                                        ;       Child Loop BB100_23 Depth 3
	;; [unrolled: 1-line block ×3, first 2 shown]
	s_and_saveexec_b32 s35, s28
	s_cbranch_execz .LBB100_19
; %bb.21:                               ;   in Loop: Header=BB100_20 Depth=2
	v_lshlrev_b64 v[27:28], 3, v[1:2]
	s_delay_alu instid0(VALU_DEP_1) | instskip(NEXT) | instid1(VALU_DEP_2)
	v_add_co_u32 v27, vcc_lo, s44, v27
	v_add_co_ci_u32_e32 v28, vcc_lo, s45, v28, vcc_lo
	s_and_not1_b32 vcc_lo, exec_lo, s25
	global_load_b64 v[27:28], v[27:28], off
	s_cbranch_vccnz .LBB100_25
; %bb.22:                               ;   in Loop: Header=BB100_20 Depth=2
	v_mov_b32_e32 v30, v20
	v_dual_mov_b32 v32, v24 :: v_dual_mov_b32 v31, v23
	v_dual_mov_b32 v8, 0 :: v_dual_mov_b32 v29, v19
	s_mov_b64 s[0:1], s[8:9]
.LBB100_23:                             ;   Parent Loop BB100_17 Depth=1
                                        ;     Parent Loop BB100_20 Depth=2
                                        ; =>    This Inner Loop Header: Depth=3
	global_load_b32 v39, v[29:30], off
	global_load_b32 v40, v[31:32], off
	v_add_co_u32 v31, vcc_lo, v31, 4
	v_add_co_ci_u32_e32 v32, vcc_lo, 0, v32, vcc_lo
	v_add_co_u32 v29, vcc_lo, v29, s4
	s_add_u32 s0, s0, -1
	v_add_co_ci_u32_e32 v30, vcc_lo, s5, v30, vcc_lo
	s_addc_u32 s1, s1, -1
	s_delay_alu instid0(SALU_CYCLE_1)
	s_cmp_lg_u64 s[0:1], 0
	s_waitcnt vmcnt(0)
	v_fmac_f32_e32 v8, v39, v40
	s_cbranch_scc1 .LBB100_23
; %bb.24:                               ;   in Loop: Header=BB100_20 Depth=2
	s_branch .LBB100_28
.LBB100_25:                             ;   in Loop: Header=BB100_20 Depth=2
                                        ; implicit-def: $vgpr8
	s_cbranch_execz .LBB100_28
; %bb.26:                               ;   in Loop: Header=BB100_20 Depth=2
	v_mov_b32_e32 v30, v26
	v_dual_mov_b32 v32, v18 :: v_dual_mov_b32 v31, v17
	v_dual_mov_b32 v8, 0 :: v_dual_mov_b32 v29, v25
	s_mov_b64 s[0:1], s[8:9]
.LBB100_27:                             ;   Parent Loop BB100_17 Depth=1
                                        ;     Parent Loop BB100_20 Depth=2
                                        ; =>    This Inner Loop Header: Depth=3
	global_load_b32 v39, v[31:32], off
	global_load_b32 v40, v[29:30], off
	v_add_co_u32 v31, vcc_lo, v31, 4
	v_add_co_ci_u32_e32 v32, vcc_lo, 0, v32, vcc_lo
	v_add_co_u32 v29, vcc_lo, v29, s4
	s_add_u32 s0, s0, -1
	v_add_co_ci_u32_e32 v30, vcc_lo, s5, v30, vcc_lo
	s_addc_u32 s1, s1, -1
	s_delay_alu instid0(SALU_CYCLE_1)
	s_cmp_eq_u64 s[0:1], 0
	s_waitcnt vmcnt(0)
	v_fmac_f32_e32 v8, v39, v40
	s_cbranch_scc0 .LBB100_27
.LBB100_28:                             ;   in Loop: Header=BB100_20 Depth=2
	s_waitcnt vmcnt(0)
	v_sub_co_u32 v27, vcc_lo, v27, s34
	v_subrev_co_ci_u32_e32 v28, vcc_lo, 0, v28, vcc_lo
	s_delay_alu instid0(VALU_DEP_2)
	v_dual_mul_f32 v8, v37, v8 :: v_dual_and_b32 v31, 7, v27
	s_mov_b32 s0, 0
	s_branch .LBB100_30
.LBB100_29:                             ;   in Loop: Header=BB100_30 Depth=3
	s_or_b32 exec_lo, exec_lo, s1
	s_xor_b32 s1, s37, -1
	s_delay_alu instid0(SALU_CYCLE_1) | instskip(NEXT) | instid1(SALU_CYCLE_1)
	s_and_b32 s1, exec_lo, s1
	s_or_b32 s0, s1, s0
	s_delay_alu instid0(SALU_CYCLE_1)
	s_and_not1_b32 exec_lo, exec_lo, s0
	s_cbranch_execz .LBB100_19
.LBB100_30:                             ;   Parent Loop BB100_17 Depth=1
                                        ;     Parent Loop BB100_20 Depth=2
                                        ; =>    This Inner Loop Header: Depth=3
	s_delay_alu instid0(VALU_DEP_1)
	v_lshl_add_u32 v32, v31, 3, v33
	s_mov_b32 s1, exec_lo
                                        ; implicit-def: $sgpr37
	ds_load_b64 v[29:30], v32
	s_waitcnt lgkmcnt(0)
	v_cmpx_ne_u64_e64 v[29:30], v[27:28]
	s_xor_b32 s1, exec_lo, s1
	s_cbranch_execz .LBB100_38
; %bb.31:                               ;   in Loop: Header=BB100_30 Depth=3
	s_mov_b32 s48, exec_lo
                                        ; implicit-def: $sgpr37
	v_cmpx_ne_u64_e64 s[6:7], v[29:30]
	s_xor_b32 s48, exec_lo, s48
; %bb.32:                               ;   in Loop: Header=BB100_30 Depth=3
	v_add_nc_u32_e32 v29, 1, v31
	s_mov_b32 s37, -1
                                        ; implicit-def: $vgpr32
	s_delay_alu instid0(VALU_DEP_1)
	v_and_b32_e32 v31, 7, v29
; %bb.33:                               ;   in Loop: Header=BB100_30 Depth=3
	s_and_not1_saveexec_b32 s48, s48
	s_cbranch_execz .LBB100_37
; %bb.34:                               ;   in Loop: Header=BB100_30 Depth=3
	v_dual_mov_b32 v30, s7 :: v_dual_mov_b32 v29, s6
	s_mov_b32 s49, -1
	s_mov_b32 s50, exec_lo
	ds_cmpstore_rtn_b64 v[29:30], v32, v[27:28], v[29:30]
	s_waitcnt lgkmcnt(0)
	v_cmpx_eq_u64_e64 s[6:7], v[29:30]
	s_cbranch_execz .LBB100_36
; %bb.35:                               ;   in Loop: Header=BB100_30 Depth=3
	v_lshl_add_u32 v29, v31, 8, v6
	s_xor_b32 s49, exec_lo, -1
	ds_add_f32 v29, v8
.LBB100_36:                             ;   in Loop: Header=BB100_30 Depth=3
	s_or_b32 exec_lo, exec_lo, s50
	s_delay_alu instid0(SALU_CYCLE_1) | instskip(SKIP_1) | instid1(SALU_CYCLE_1)
	s_and_not1_b32 s37, s37, exec_lo
	s_and_b32 s49, s49, exec_lo
	s_or_b32 s37, s37, s49
.LBB100_37:                             ;   in Loop: Header=BB100_30 Depth=3
	s_or_b32 exec_lo, exec_lo, s48
	s_delay_alu instid0(SALU_CYCLE_1)
	s_and_b32 s37, s37, exec_lo
.LBB100_38:                             ;   in Loop: Header=BB100_30 Depth=3
	s_and_not1_saveexec_b32 s1, s1
	s_cbranch_execz .LBB100_29
; %bb.39:                               ;   in Loop: Header=BB100_30 Depth=3
	v_lshl_add_u32 v29, v31, 8, v6
	s_and_not1_b32 s37, s37, exec_lo
	ds_add_f32 v29, v8
	s_branch .LBB100_29
.LBB100_40:
	s_or_b32 exec_lo, exec_lo, s15
.LBB100_41:
	s_delay_alu instid0(SALU_CYCLE_1)
	s_and_not1_b32 vcc_lo, exec_lo, s33
	s_waitcnt lgkmcnt(0)
	s_barrier
	buffer_gl0_inv
	s_cbranch_vccnz .LBB100_59
; %bb.42:
	v_add_co_u32 v1, vcc_lo, s16, v9
	v_add_co_ci_u32_e32 v2, vcc_lo, s17, v10, vcc_lo
	s_mov_b32 s3, exec_lo
	global_load_b128 v[1:4], v[1:2], off
	s_waitcnt vmcnt(0)
	v_cmpx_lt_i64_e64 v[1:2], v[3:4]
	s_cbranch_execz .LBB100_58
; %bb.43:
	v_mad_u64_u32 v[11:12], null, v7, s8, 0
	v_mad_u64_u32 v[13:14], null, v5, s8, 0
	v_mov_b32_e32 v8, 0
	v_sub_co_u32 v3, vcc_lo, v3, s39
	v_subrev_co_ci_u32_e32 v4, vcc_lo, 0, v4, vcc_lo
	v_dual_mov_b32 v6, v12 :: v_dual_lshlrev_b32 v17, 2, v7
	v_sub_co_u32 v1, vcc_lo, v1, s39
	v_subrev_co_ci_u32_e32 v2, vcc_lo, 0, v2, vcc_lo
	s_delay_alu instid0(VALU_DEP_3)
	v_mad_u64_u32 v[15:16], null, v7, s9, v[6:7]
	v_mov_b32_e32 v6, v14
	v_cmp_gt_i64_e32 vcc_lo, s[8:9], v[7:8]
	v_and_b32_e32 v18, 56, v0
	s_cmp_eq_u32 s14, 0
	s_mov_b32 s4, 0
	s_cselect_b32 s1, -1, 0
	s_delay_alu instid0(VALU_DEP_4) | instskip(SKIP_3) | instid1(VALU_DEP_3)
	v_mov_b32_e32 v12, v15
	v_mad_u64_u32 v[14:15], null, v5, s9, v[6:7]
	v_mov_b32_e32 v6, v8
	s_add_i32 s5, s13, s12
	v_lshlrev_b64 v[11:12], 2, v[11:12]
	s_add_i32 s5, s5, s12
	s_delay_alu instid0(VALU_DEP_2) | instskip(NEXT) | instid1(VALU_DEP_2)
	v_lshlrev_b64 v[15:16], 2, v[5:6]
	v_add_co_u32 v8, s0, s20, v11
	s_delay_alu instid0(VALU_DEP_1) | instskip(SKIP_1) | instid1(VALU_DEP_3)
	v_add_co_ci_u32_e64 v19, s0, s21, v12, s0
	v_lshlrev_b64 v[11:12], 2, v[13:14]
	v_add_co_u32 v13, s0, v8, v15
	s_delay_alu instid0(VALU_DEP_1) | instskip(SKIP_1) | instid1(VALU_DEP_4)
	v_add_co_ci_u32_e64 v8, s0, v19, v16, s0
	v_lshlrev_b32_e32 v14, 2, v18
	v_add_co_u32 v11, s0, s20, v11
	s_delay_alu instid0(VALU_DEP_1) | instskip(NEXT) | instid1(VALU_DEP_2)
	v_add_co_ci_u32_e64 v12, s0, s21, v12, s0
	v_add_co_u32 v11, s0, v11, v17
	s_delay_alu instid0(VALU_DEP_1) | instskip(SKIP_2) | instid1(VALU_DEP_4)
	v_add_co_ci_u32_e64 v12, s0, 0, v12, s0
	v_cmp_gt_u64_e64 s0, s[8:9], v[5:6]
	v_add3_u32 v6, v38, v17, v14
	v_cndmask_b32_e64 v15, v13, v11, s1
	s_delay_alu instid0(VALU_DEP_4) | instskip(SKIP_1) | instid1(VALU_DEP_4)
	v_cndmask_b32_e64 v8, v8, v12, s1
	s_mov_b32 s1, s39
	s_and_b32 s0, vcc_lo, s0
	s_branch .LBB100_45
.LBB100_44:                             ;   in Loop: Header=BB100_45 Depth=1
	s_or_b32 exec_lo, exec_lo, s10
	v_add_co_u32 v1, vcc_lo, v1, 1
	v_add_co_ci_u32_e32 v2, vcc_lo, 0, v2, vcc_lo
	s_delay_alu instid0(VALU_DEP_1) | instskip(SKIP_1) | instid1(SALU_CYCLE_1)
	v_cmp_ge_i64_e32 vcc_lo, v[1:2], v[3:4]
	s_or_b32 s4, vcc_lo, s4
	s_and_not1_b32 exec_lo, exec_lo, s4
	s_cbranch_execz .LBB100_58
.LBB100_45:                             ; =>This Loop Header: Depth=1
                                        ;     Child Loop BB100_48 Depth 2
	s_and_saveexec_b32 s10, s0
	s_cbranch_execz .LBB100_44
; %bb.46:                               ;   in Loop: Header=BB100_45 Depth=1
	v_mul_lo_u32 v13, s5, v1
	v_mul_lo_u32 v14, s2, v2
	v_mad_u64_u32 v[11:12], null, s2, v1, 0
	s_mov_b32 s11, 0
	s_delay_alu instid0(VALU_DEP_1) | instskip(SKIP_1) | instid1(VALU_DEP_2)
	v_add3_u32 v12, v12, v14, v13
	v_lshlrev_b64 v[13:14], 3, v[1:2]
	v_lshlrev_b64 v[11:12], 2, v[11:12]
	s_delay_alu instid0(VALU_DEP_2) | instskip(NEXT) | instid1(VALU_DEP_3)
	v_add_co_u32 v13, vcc_lo, s18, v13
	v_add_co_ci_u32_e32 v14, vcc_lo, s19, v14, vcc_lo
	s_delay_alu instid0(VALU_DEP_3) | instskip(NEXT) | instid1(VALU_DEP_4)
	v_add_co_u32 v11, vcc_lo, v15, v11
	v_add_co_ci_u32_e32 v12, vcc_lo, v8, v12, vcc_lo
	global_load_b64 v[13:14], v[13:14], off
	global_load_b32 v16, v[11:12], off
	s_waitcnt vmcnt(1)
	v_sub_co_u32 v11, vcc_lo, v13, s1
	v_subrev_co_ci_u32_e32 v12, vcc_lo, 0, v14, vcc_lo
	s_waitcnt vmcnt(0)
	s_delay_alu instid0(VALU_DEP_2)
	v_dual_mul_f32 v16, v36, v16 :: v_dual_and_b32 v17, 7, v11
	s_branch .LBB100_48
.LBB100_47:                             ;   in Loop: Header=BB100_48 Depth=2
	s_or_b32 exec_lo, exec_lo, s15
	s_xor_b32 s15, s16, -1
	s_delay_alu instid0(SALU_CYCLE_1) | instskip(NEXT) | instid1(SALU_CYCLE_1)
	s_and_b32 s15, exec_lo, s15
	s_or_b32 s11, s15, s11
	s_delay_alu instid0(SALU_CYCLE_1)
	s_and_not1_b32 exec_lo, exec_lo, s11
	s_cbranch_execz .LBB100_44
.LBB100_48:                             ;   Parent Loop BB100_45 Depth=1
                                        ; =>  This Inner Loop Header: Depth=2
	s_delay_alu instid0(VALU_DEP_1)
	v_lshl_add_u32 v18, v17, 3, v33
	s_mov_b32 s15, exec_lo
                                        ; implicit-def: $sgpr16
	ds_load_b64 v[13:14], v18
	s_waitcnt lgkmcnt(0)
	v_cmpx_ne_u64_e64 v[13:14], v[11:12]
	s_xor_b32 s15, exec_lo, s15
	s_cbranch_execz .LBB100_56
; %bb.49:                               ;   in Loop: Header=BB100_48 Depth=2
	s_mov_b32 s17, exec_lo
                                        ; implicit-def: $sgpr16
	v_cmpx_ne_u64_e64 s[6:7], v[13:14]
	s_xor_b32 s17, exec_lo, s17
; %bb.50:                               ;   in Loop: Header=BB100_48 Depth=2
	v_add_nc_u32_e32 v13, 1, v17
	s_mov_b32 s16, -1
                                        ; implicit-def: $vgpr18
	s_delay_alu instid0(VALU_DEP_1)
	v_and_b32_e32 v17, 7, v13
; %bb.51:                               ;   in Loop: Header=BB100_48 Depth=2
	s_and_not1_saveexec_b32 s17, s17
	s_cbranch_execz .LBB100_55
; %bb.52:                               ;   in Loop: Header=BB100_48 Depth=2
	v_dual_mov_b32 v14, s7 :: v_dual_mov_b32 v13, s6
	s_mov_b32 s20, -1
	s_mov_b32 s21, exec_lo
	ds_cmpstore_rtn_b64 v[13:14], v18, v[11:12], v[13:14]
	s_waitcnt lgkmcnt(0)
	v_cmpx_eq_u64_e64 s[6:7], v[13:14]
	s_cbranch_execz .LBB100_54
; %bb.53:                               ;   in Loop: Header=BB100_48 Depth=2
	v_lshl_add_u32 v13, v17, 8, v6
	s_xor_b32 s20, exec_lo, -1
	ds_add_f32 v13, v16
.LBB100_54:                             ;   in Loop: Header=BB100_48 Depth=2
	s_or_b32 exec_lo, exec_lo, s21
	s_delay_alu instid0(SALU_CYCLE_1) | instskip(SKIP_1) | instid1(SALU_CYCLE_1)
	s_and_not1_b32 s16, s16, exec_lo
	s_and_b32 s20, s20, exec_lo
	s_or_b32 s16, s16, s20
.LBB100_55:                             ;   in Loop: Header=BB100_48 Depth=2
	s_or_b32 exec_lo, exec_lo, s17
	s_delay_alu instid0(SALU_CYCLE_1)
	s_and_b32 s16, s16, exec_lo
.LBB100_56:                             ;   in Loop: Header=BB100_48 Depth=2
	s_and_not1_saveexec_b32 s15, s15
	s_cbranch_execz .LBB100_47
; %bb.57:                               ;   in Loop: Header=BB100_48 Depth=2
	v_lshl_add_u32 v13, v17, 8, v6
	s_and_not1_b32 s16, s16, exec_lo
	ds_add_f32 v13, v16
	s_branch .LBB100_47
.LBB100_58:
	s_or_b32 exec_lo, exec_lo, s3
.LBB100_59:
	v_add_co_u32 v1, vcc_lo, s22, v9
	v_add_co_ci_u32_e32 v2, vcc_lo, s23, v10, vcc_lo
	s_waitcnt lgkmcnt(0)
	s_barrier
	buffer_gl0_inv
	global_load_b64 v[1:2], v[1:2], off
	v_mad_u64_u32 v[3:4], null, v5, s8, 0
	v_dual_mov_b32 v8, 0 :: v_dual_lshlrev_b32 v11, 2, v7
	s_cmp_eq_u32 s14, 0
	s_cselect_b32 vcc_lo, -1, 0
	v_and_b32_e32 v0, 56, v0
	s_delay_alu instid0(VALU_DEP_3) | instskip(SKIP_3) | instid1(SALU_CYCLE_1)
	v_mad_u64_u32 v[9:10], null, v5, s9, v[4:5]
	v_lshlrev_b32_e32 v10, 3, v7
	v_mov_b32_e32 v6, v8
	s_add_i32 s3, s13, s12
	s_add_i32 s3, s3, s12
	s_delay_alu instid0(VALU_DEP_3) | instskip(SKIP_3) | instid1(VALU_DEP_4)
	v_mov_b32_e32 v4, v9
	v_dual_cndmask_b32 v9, v5, v7 :: v_dual_cndmask_b32 v0, v10, v0
	v_cmp_gt_u64_e64 s0, s[8:9], v[5:6]
	v_cmp_gt_i64_e32 vcc_lo, s[8:9], v[7:8]
	v_lshlrev_b64 v[3:4], 2, v[3:4]
	s_delay_alu instid0(VALU_DEP_4) | instskip(SKIP_2) | instid1(VALU_DEP_3)
	v_or_b32_e32 v0, v9, v0
	v_lshl_or_b32 v9, v34, 6, 0x2000
	s_and_b32 s0, vcc_lo, s0
	v_add_co_u32 v3, s1, s42, v3
	s_delay_alu instid0(VALU_DEP_1) | instskip(SKIP_1) | instid1(VALU_DEP_3)
	v_add_co_ci_u32_e64 v6, s1, s43, v4, s1
	v_lshl_add_u32 v4, v0, 2, v35
	v_add_co_u32 v5, s1, v3, v11
	s_delay_alu instid0(VALU_DEP_1) | instskip(SKIP_2) | instid1(VALU_DEP_1)
	v_add_co_ci_u32_e64 v6, s1, 0, v6, s1
	s_waitcnt vmcnt(0)
	v_sub_co_u32 v7, s1, v1, s38
	v_subrev_co_ci_u32_e64 v8, s1, 0, v2, s1
	s_mov_b32 s1, 0
	s_branch .LBB100_61
.LBB100_60:                             ;   in Loop: Header=BB100_61 Depth=1
	s_or_b32 exec_lo, exec_lo, s4
	v_add_nc_u32_e32 v4, 0x100, v4
	s_add_i32 s1, s1, 8
	s_delay_alu instid0(SALU_CYCLE_1)
	s_cmp_lg_u32 s1, 64
	s_cbranch_scc0 .LBB100_64
.LBB100_61:                             ; =>This Inner Loop Header: Depth=1
	v_add_nc_u32_e32 v0, s1, v9
	s_mov_b32 s4, exec_lo
	ds_load_b64 v[0:1], v0
	s_waitcnt lgkmcnt(0)
	v_cmpx_gt_i64_e64 s[6:7], v[0:1]
	s_cbranch_execz .LBB100_60
; %bb.62:                               ;   in Loop: Header=BB100_61 Depth=1
	ds_load_b128 v[10:13], v33
	ds_load_b128 v[14:17], v33 offset:16
	ds_load_b128 v[18:21], v33 offset:32
	;; [unrolled: 1-line block ×3, first 2 shown]
	s_waitcnt lgkmcnt(3)
	v_cmp_gt_i64_e32 vcc_lo, v[0:1], v[10:11]
	v_cndmask_b32_e64 v2, 0, 1, vcc_lo
	v_cmp_gt_i64_e32 vcc_lo, v[0:1], v[12:13]
	v_cndmask_b32_e64 v3, 0, 1, vcc_lo
	s_delay_alu instid0(VALU_DEP_3)
	v_add_co_u32 v2, vcc_lo, v7, v2
	v_add_co_ci_u32_e32 v10, vcc_lo, 0, v8, vcc_lo
	s_waitcnt lgkmcnt(2)
	v_cmp_gt_i64_e32 vcc_lo, v[0:1], v[14:15]
	v_cndmask_b32_e64 v11, 0, 1, vcc_lo
	v_add_co_u32 v2, vcc_lo, v2, v3
	v_add_co_ci_u32_e32 v3, vcc_lo, 0, v10, vcc_lo
	v_cmp_gt_i64_e32 vcc_lo, v[0:1], v[16:17]
	v_cndmask_b32_e64 v10, 0, 1, vcc_lo
	s_delay_alu instid0(VALU_DEP_4) | instskip(NEXT) | instid1(VALU_DEP_4)
	v_add_co_u32 v2, vcc_lo, v2, v11
	v_add_co_ci_u32_e32 v3, vcc_lo, 0, v3, vcc_lo
	s_waitcnt lgkmcnt(1)
	v_cmp_gt_i64_e32 vcc_lo, v[0:1], v[18:19]
	v_cndmask_b32_e64 v11, 0, 1, vcc_lo
	v_add_co_u32 v2, vcc_lo, v2, v10
	v_add_co_ci_u32_e32 v3, vcc_lo, 0, v3, vcc_lo
	v_cmp_gt_i64_e32 vcc_lo, v[0:1], v[20:21]
	v_cndmask_b32_e64 v10, 0, 1, vcc_lo
	s_delay_alu instid0(VALU_DEP_4) | instskip(NEXT) | instid1(VALU_DEP_4)
	;; [unrolled: 10-line block ×3, first 2 shown]
	v_add_co_u32 v2, vcc_lo, v2, v11
	v_add_co_ci_u32_e32 v3, vcc_lo, 0, v3, vcc_lo
	s_delay_alu instid0(VALU_DEP_2) | instskip(NEXT) | instid1(VALU_DEP_2)
	v_add_co_u32 v2, vcc_lo, v2, v10
	v_add_co_ci_u32_e32 v3, vcc_lo, 0, v3, vcc_lo
	v_add_co_u32 v0, vcc_lo, v0, s38
	v_add_co_ci_u32_e32 v1, vcc_lo, 0, v1, vcc_lo
	s_delay_alu instid0(VALU_DEP_3) | instskip(NEXT) | instid1(VALU_DEP_1)
	v_lshlrev_b64 v[10:11], 3, v[2:3]
	v_add_co_u32 v10, vcc_lo, s40, v10
	s_delay_alu instid0(VALU_DEP_2)
	v_add_co_ci_u32_e32 v11, vcc_lo, s41, v11, vcc_lo
	global_store_b64 v[10:11], v[0:1], off
	s_and_b32 exec_lo, exec_lo, s0
	s_cbranch_execz .LBB100_60
; %bb.63:                               ;   in Loop: Header=BB100_61 Depth=1
	v_mul_lo_u32 v10, s3, v2
	v_mul_lo_u32 v3, s2, v3
	v_mad_u64_u32 v[0:1], null, s2, v2, 0
	ds_load_b32 v2, v4
	v_add3_u32 v1, v1, v3, v10
	s_delay_alu instid0(VALU_DEP_1) | instskip(NEXT) | instid1(VALU_DEP_1)
	v_lshlrev_b64 v[0:1], 2, v[0:1]
	v_add_co_u32 v0, vcc_lo, v5, v0
	s_delay_alu instid0(VALU_DEP_2)
	v_add_co_ci_u32_e32 v1, vcc_lo, v6, v1, vcc_lo
	s_waitcnt lgkmcnt(0)
	global_store_b32 v[0:1], v2, off
	s_branch .LBB100_60
.LBB100_64:
	s_nop 0
	s_sendmsg sendmsg(MSG_DEALLOC_VGPRS)
	s_endpgm
	.section	.rodata,"a",@progbits
	.p2align	6, 0x0
	.amdhsa_kernel _ZN9rocsparseL23bsrgemm_fill_wf_per_rowILj256ELj64ELj8ELj137ELj8EllfEEv20rocsparse_direction_T5_S2_S2_PKS2_S4_NS_24const_host_device_scalarIT6_EEPKT4_S4_PKS6_SA_S4_SC_S7_SA_S4_SC_SA_PS2_PS6_21rocsparse_index_base_SF_SF_SF_bbb
		.amdhsa_group_segment_fixed_size 8448
		.amdhsa_private_segment_fixed_size 0
		.amdhsa_kernarg_size 180
		.amdhsa_user_sgpr_count 15
		.amdhsa_user_sgpr_dispatch_ptr 0
		.amdhsa_user_sgpr_queue_ptr 0
		.amdhsa_user_sgpr_kernarg_segment_ptr 1
		.amdhsa_user_sgpr_dispatch_id 0
		.amdhsa_user_sgpr_private_segment_size 0
		.amdhsa_wavefront_size32 1
		.amdhsa_uses_dynamic_stack 0
		.amdhsa_enable_private_segment 0
		.amdhsa_system_sgpr_workgroup_id_x 1
		.amdhsa_system_sgpr_workgroup_id_y 0
		.amdhsa_system_sgpr_workgroup_id_z 0
		.amdhsa_system_sgpr_workgroup_info 0
		.amdhsa_system_vgpr_workitem_id 0
		.amdhsa_next_free_vgpr 41
		.amdhsa_next_free_sgpr 51
		.amdhsa_reserve_vcc 1
		.amdhsa_float_round_mode_32 0
		.amdhsa_float_round_mode_16_64 0
		.amdhsa_float_denorm_mode_32 3
		.amdhsa_float_denorm_mode_16_64 3
		.amdhsa_dx10_clamp 1
		.amdhsa_ieee_mode 1
		.amdhsa_fp16_overflow 0
		.amdhsa_workgroup_processor_mode 1
		.amdhsa_memory_ordered 1
		.amdhsa_forward_progress 0
		.amdhsa_shared_vgpr_count 0
		.amdhsa_exception_fp_ieee_invalid_op 0
		.amdhsa_exception_fp_denorm_src 0
		.amdhsa_exception_fp_ieee_div_zero 0
		.amdhsa_exception_fp_ieee_overflow 0
		.amdhsa_exception_fp_ieee_underflow 0
		.amdhsa_exception_fp_ieee_inexact 0
		.amdhsa_exception_int_div_zero 0
	.end_amdhsa_kernel
	.section	.text._ZN9rocsparseL23bsrgemm_fill_wf_per_rowILj256ELj64ELj8ELj137ELj8EllfEEv20rocsparse_direction_T5_S2_S2_PKS2_S4_NS_24const_host_device_scalarIT6_EEPKT4_S4_PKS6_SA_S4_SC_S7_SA_S4_SC_SA_PS2_PS6_21rocsparse_index_base_SF_SF_SF_bbb,"axG",@progbits,_ZN9rocsparseL23bsrgemm_fill_wf_per_rowILj256ELj64ELj8ELj137ELj8EllfEEv20rocsparse_direction_T5_S2_S2_PKS2_S4_NS_24const_host_device_scalarIT6_EEPKT4_S4_PKS6_SA_S4_SC_S7_SA_S4_SC_SA_PS2_PS6_21rocsparse_index_base_SF_SF_SF_bbb,comdat
.Lfunc_end100:
	.size	_ZN9rocsparseL23bsrgemm_fill_wf_per_rowILj256ELj64ELj8ELj137ELj8EllfEEv20rocsparse_direction_T5_S2_S2_PKS2_S4_NS_24const_host_device_scalarIT6_EEPKT4_S4_PKS6_SA_S4_SC_S7_SA_S4_SC_SA_PS2_PS6_21rocsparse_index_base_SF_SF_SF_bbb, .Lfunc_end100-_ZN9rocsparseL23bsrgemm_fill_wf_per_rowILj256ELj64ELj8ELj137ELj8EllfEEv20rocsparse_direction_T5_S2_S2_PKS2_S4_NS_24const_host_device_scalarIT6_EEPKT4_S4_PKS6_SA_S4_SC_S7_SA_S4_SC_SA_PS2_PS6_21rocsparse_index_base_SF_SF_SF_bbb
                                        ; -- End function
	.section	.AMDGPU.csdata,"",@progbits
; Kernel info:
; codeLenInByte = 3252
; NumSgprs: 53
; NumVgprs: 41
; ScratchSize: 0
; MemoryBound: 0
; FloatMode: 240
; IeeeMode: 1
; LDSByteSize: 8448 bytes/workgroup (compile time only)
; SGPRBlocks: 6
; VGPRBlocks: 5
; NumSGPRsForWavesPerEU: 53
; NumVGPRsForWavesPerEU: 41
; Occupancy: 16
; WaveLimiterHint : 1
; COMPUTE_PGM_RSRC2:SCRATCH_EN: 0
; COMPUTE_PGM_RSRC2:USER_SGPR: 15
; COMPUTE_PGM_RSRC2:TRAP_HANDLER: 0
; COMPUTE_PGM_RSRC2:TGID_X_EN: 1
; COMPUTE_PGM_RSRC2:TGID_Y_EN: 0
; COMPUTE_PGM_RSRC2:TGID_Z_EN: 0
; COMPUTE_PGM_RSRC2:TIDIG_COMP_CNT: 0
	.section	.text._ZN9rocsparseL38bsrgemm_block_per_row_atomic_multipassILj256ELj16ELj8EllfEEv20rocsparse_direction_T3_S2_PKS2_S4_NS_24const_host_device_scalarIT4_EEPKT2_S4_PKS6_SA_S4_SC_S7_SA_S4_SC_SA_PS2_PS6_PS8_21rocsparse_index_base_SG_SG_SG_bbb,"axG",@progbits,_ZN9rocsparseL38bsrgemm_block_per_row_atomic_multipassILj256ELj16ELj8EllfEEv20rocsparse_direction_T3_S2_PKS2_S4_NS_24const_host_device_scalarIT4_EEPKT2_S4_PKS6_SA_S4_SC_S7_SA_S4_SC_SA_PS2_PS6_PS8_21rocsparse_index_base_SG_SG_SG_bbb,comdat
	.globl	_ZN9rocsparseL38bsrgemm_block_per_row_atomic_multipassILj256ELj16ELj8EllfEEv20rocsparse_direction_T3_S2_PKS2_S4_NS_24const_host_device_scalarIT4_EEPKT2_S4_PKS6_SA_S4_SC_S7_SA_S4_SC_SA_PS2_PS6_PS8_21rocsparse_index_base_SG_SG_SG_bbb ; -- Begin function _ZN9rocsparseL38bsrgemm_block_per_row_atomic_multipassILj256ELj16ELj8EllfEEv20rocsparse_direction_T3_S2_PKS2_S4_NS_24const_host_device_scalarIT4_EEPKT2_S4_PKS6_SA_S4_SC_S7_SA_S4_SC_SA_PS2_PS6_PS8_21rocsparse_index_base_SG_SG_SG_bbb
	.p2align	8
	.type	_ZN9rocsparseL38bsrgemm_block_per_row_atomic_multipassILj256ELj16ELj8EllfEEv20rocsparse_direction_T3_S2_PKS2_S4_NS_24const_host_device_scalarIT4_EEPKT2_S4_PKS6_SA_S4_SC_S7_SA_S4_SC_SA_PS2_PS6_PS8_21rocsparse_index_base_SG_SG_SG_bbb,@function
_ZN9rocsparseL38bsrgemm_block_per_row_atomic_multipassILj256ELj16ELj8EllfEEv20rocsparse_direction_T3_S2_PKS2_S4_NS_24const_host_device_scalarIT4_EEPKT2_S4_PKS6_SA_S4_SC_S7_SA_S4_SC_SA_PS2_PS6_PS8_21rocsparse_index_base_SG_SG_SG_bbb: ; @_ZN9rocsparseL38bsrgemm_block_per_row_atomic_multipassILj256ELj16ELj8EllfEEv20rocsparse_direction_T3_S2_PKS2_S4_NS_24const_host_device_scalarIT4_EEPKT2_S4_PKS6_SA_S4_SC_S7_SA_S4_SC_SA_PS2_PS6_PS8_21rocsparse_index_base_SG_SG_SG_bbb
; %bb.0:
	s_clause 0x3
	s_load_b32 s3, s[0:1], 0xb0
	s_load_b128 s[24:27], s[0:1], 0xa0
	s_load_b64 s[6:7], s[0:1], 0x28
	s_load_b64 s[4:5], s[0:1], 0x60
	s_mov_b32 s2, s15
	s_waitcnt lgkmcnt(0)
	s_bitcmp1_b32 s3, 0
	s_cselect_b32 s48, -1, 0
	s_bitcmp1_b32 s3, 16
	s_cselect_b32 s8, -1, 0
	s_xor_b32 s9, s48, -1
	s_delay_alu instid0(SALU_CYCLE_1) | instskip(NEXT) | instid1(SALU_CYCLE_1)
	s_or_b32 s9, s9, s8
	s_and_b32 vcc_lo, exec_lo, s9
	s_cbranch_vccnz .LBB101_2
; %bb.1:
	s_load_b32 s6, s[6:7], 0x0
	s_waitcnt lgkmcnt(0)
	v_mov_b32_e32 v33, s6
	s_branch .LBB101_3
.LBB101_2:
	v_cndmask_b32_e64 v33, 0, s6, s48
.LBB101_3:
	s_load_b64 s[6:7], s[0:1], 0x20
	s_bitcmp1_b32 s3, 8
	s_cselect_b32 s33, -1, 0
	s_delay_alu instid0(SALU_CYCLE_1) | instskip(NEXT) | instid1(SALU_CYCLE_1)
	s_xor_b32 s3, s33, -1
	s_or_b32 s3, s3, s8
	s_delay_alu instid0(SALU_CYCLE_1)
	s_and_b32 vcc_lo, exec_lo, s3
	s_cbranch_vccnz .LBB101_5
; %bb.4:
	s_load_b32 s3, s[4:5], 0x0
	s_waitcnt lgkmcnt(0)
	v_mov_b32_e32 v34, s3
	s_branch .LBB101_6
.LBB101_5:
	v_cndmask_b32_e64 v34, 0, s4, s33
.LBB101_6:
	s_load_b64 s[4:5], s[0:1], 0x30
	s_mov_b64 s[34:35], 0
	s_waitcnt lgkmcnt(0)
	s_cmp_eq_u64 s[6:7], 0
	s_mov_b32 s3, 0
	s_cbranch_scc1 .LBB101_8
; %bb.7:
	s_load_b64 s[8:9], s[0:1], 0x18
	s_waitcnt lgkmcnt(0)
	s_load_b64 s[8:9], s[8:9], 0x0
	s_waitcnt lgkmcnt(0)
	s_lshl_b64 s[8:9], s[8:9], 3
	s_delay_alu instid0(SALU_CYCLE_1) | instskip(SKIP_2) | instid1(SALU_CYCLE_1)
	s_add_u32 s6, s6, s8
	s_addc_u32 s7, s7, s9
	s_lshl_b64 s[2:3], s[2:3], 3
	s_add_u32 s2, s6, s2
	s_addc_u32 s3, s7, s3
	s_load_b64 s[2:3], s[2:3], 0x0
.LBB101_8:
	s_and_not1_b32 vcc_lo, exec_lo, s48
	s_cbranch_vccz .LBB101_11
; %bb.9:
	s_and_not1_b32 vcc_lo, exec_lo, s48
	s_mov_b64 s[40:41], 0
	s_cbranch_vccz .LBB101_12
.LBB101_10:
	s_load_b128 s[28:31], s[0:1], 0x8
	s_waitcnt lgkmcnt(0)
	v_cmp_lt_i64_e64 s4, s[28:29], 1
	s_delay_alu instid0(VALU_DEP_1)
	s_and_b32 vcc_lo, exec_lo, s4
	s_cbranch_vccz .LBB101_13
	s_branch .LBB101_90
.LBB101_11:
	s_waitcnt lgkmcnt(0)
	s_lshl_b64 s[6:7], s[2:3], 3
	s_delay_alu instid0(SALU_CYCLE_1)
	s_add_u32 s6, s4, s6
	s_addc_u32 s7, s5, s7
	s_load_b64 s[6:7], s[6:7], 0x0
	s_waitcnt lgkmcnt(0)
	s_sub_u32 s34, s6, s24
	s_subb_u32 s35, s7, 0
	s_and_not1_b32 vcc_lo, exec_lo, s48
	s_mov_b64 s[40:41], 0
	s_cbranch_vccnz .LBB101_10
.LBB101_12:
	s_waitcnt lgkmcnt(0)
	s_lshl_b64 s[6:7], s[2:3], 3
	s_delay_alu instid0(SALU_CYCLE_1)
	s_add_u32 s4, s4, s6
	s_addc_u32 s5, s5, s7
	s_load_b64 s[4:5], s[4:5], 0x8
	s_waitcnt lgkmcnt(0)
	s_sub_u32 s40, s4, s24
	s_subb_u32 s41, s5, 0
	s_load_b128 s[28:31], s[0:1], 0x8
	s_waitcnt lgkmcnt(0)
	v_cmp_lt_i64_e64 s4, s[28:29], 1
	s_delay_alu instid0(VALU_DEP_1)
	s_and_b32 vcc_lo, exec_lo, s4
	s_cbranch_vccnz .LBB101_90
.LBB101_13:
	s_clause 0x4
	s_load_b256 s[8:15], s[0:1], 0x68
	s_load_b64 s[42:43], s[0:1], 0x98
	s_load_b128 s[36:39], s[0:1], 0x88
	s_load_b64 s[44:45], s[0:1], 0x58
	s_load_b256 s[16:23], s[0:1], 0x38
	v_bfe_u32 v7, v0, 3, 3
	v_dual_mov_b32 v2, 0 :: v_dual_and_b32 v3, 7, v0
	s_lshl_b64 s[52:53], s[2:3], 3
	s_mul_i32 s4, s30, s31
	s_delay_alu instid0(VALU_DEP_2)
	v_mad_u64_u32 v[5:6], null, v7, s30, 0
	v_and_b32_e32 v15, 63, v0
	v_mad_u64_u32 v[9:10], null, v3, s30, 0
	v_mov_b32_e32 v8, v2
	s_mul_hi_u32 s7, s30, s30
	s_load_b32 s5, s[0:1], 0x0
	s_delay_alu instid0(VALU_DEP_4)
	v_mov_b32_e32 v4, v6
	v_lshrrev_b32_e32 v1, 6, v0
	s_waitcnt lgkmcnt(0)
	s_add_u32 s2, s14, s52
	s_addc_u32 s3, s15, s53
	v_lshlrev_b32_e32 v35, 2, v0
	s_load_b64 s[2:3], s[2:3], 0x0
	v_mad_u64_u32 v[11:12], null, v7, s31, v[4:5]
	v_mov_b32_e32 v4, v10
	v_cmp_lt_i64_e64 s6, s[34:35], s[40:41]
	v_and_b32_e32 v38, 56, v0
	v_cmp_gt_u32_e64 s0, 16, v0
	v_cmp_eq_u32_e64 s1, 0, v0
	v_mad_u64_u32 v[12:13], null, v3, s31, v[4:5]
	v_mov_b32_e32 v6, v11
	v_mov_b32_e32 v4, v2
	v_or_b32_e32 v36, 0x1000, v35
	v_or_b32_e32 v43, 0x1400, v35
	v_lshl_or_b32 v53, v1, 2, 0x1400
	v_lshlrev_b64 v[13:14], 2, v[5:6]
	v_dual_mov_b32 v10, v12 :: v_dual_lshlrev_b32 v5, 2, v3
	v_cmp_gt_u64_e32 vcc_lo, s[30:31], v[7:8]
	v_mov_b32_e32 v54, 1
	s_waitcnt lgkmcnt(0)
	s_sub_u32 s14, s2, s26
	v_add_co_u32 v11, s2, s18, v13
	s_subb_u32 s15, s3, 0
	s_add_i32 s3, s7, s4
	v_add_co_ci_u32_e64 v12, s2, s19, v14, s2
	s_add_i32 s47, s3, s4
	v_cmp_gt_i64_e64 s3, s[30:31], v[3:4]
	v_cmp_gt_i64_e64 s2, s[30:31], v[7:8]
	v_lshlrev_b64 v[9:10], 2, v[9:10]
	v_add_co_u32 v4, s4, v11, v5
	s_delay_alu instid0(VALU_DEP_1) | instskip(NEXT) | instid1(VALU_DEP_4)
	v_add_co_ci_u32_e64 v37, s4, 0, v12, s4
	s_and_b32 s50, s3, s2
	v_lshlrev_b64 v[11:12], 2, v[7:8]
	s_delay_alu instid0(VALU_DEP_4) | instskip(NEXT) | instid1(VALU_DEP_1)
	v_add_co_u32 v8, s2, s38, v9
	v_add_co_ci_u32_e64 v16, s2, s39, v10, s2
	v_add_co_u32 v17, s2, s38, v13
	s_delay_alu instid0(VALU_DEP_1) | instskip(NEXT) | instid1(VALU_DEP_4)
	v_add_co_ci_u32_e64 v18, s2, s39, v14, s2
	v_add_co_u32 v8, s2, v8, v11
	s_delay_alu instid0(VALU_DEP_1) | instskip(NEXT) | instid1(VALU_DEP_4)
	v_add_co_ci_u32_e64 v16, s2, v16, v12, s2
	v_add_co_u32 v17, s2, v17, v5
	s_delay_alu instid0(VALU_DEP_1) | instskip(SKIP_1) | instid1(VALU_DEP_1)
	v_add_co_ci_u32_e64 v18, s2, 0, v18, s2
	v_add_co_u32 v9, s2, s12, v9
	v_add_co_ci_u32_e64 v10, s2, s13, v10, s2
	v_sub_co_u32 v39, s2, v1, s27
	s_delay_alu instid0(VALU_DEP_1) | instskip(NEXT) | instid1(VALU_DEP_4)
	v_sub_co_ci_u32_e64 v40, null, 0, 0, s2
	v_add_co_u32 v9, s2, v9, v11
	s_delay_alu instid0(VALU_DEP_1)
	v_add_co_ci_u32_e64 v10, s2, v10, v12, s2
	s_cmp_eq_u32 s5, 0
	v_and_b32_e32 v11, 15, v0
	v_add_co_u32 v12, s2, s12, v13
	s_cselect_b32 s7, -1, 0
	s_cmp_lg_u32 s5, 0
	v_add_co_ci_u32_e64 v13, s2, s13, v14, s2
	s_cselect_b32 s51, -1, 0
	s_add_u32 s18, s8, s52
	s_addc_u32 s19, s9, s53
	s_mov_b32 s52, s27
	v_lshlrev_b32_e32 v14, 2, v11
	v_add_co_u32 v19, s27, v11, -1
	v_add_co_u32 v12, s2, v12, v5
	s_and_b32 s53, s48, s6
	s_and_b32 s54, s3, vcc_lo
	v_cmp_ne_u32_e64 s3, 0, v11
	v_cmp_lt_u32_e64 s4, 1, v11
	v_cmp_lt_u32_e64 s5, 3, v11
	;; [unrolled: 1-line block ×3, first 2 shown]
	v_lshlrev_b32_e32 v11, 2, v7
	v_add_co_ci_u32_e64 v13, s2, 0, v13, s2
	v_cndmask_b32_e64 v7, v9, v12, s7
	v_cndmask_b32_e64 v47, v16, v18, s7
	s_delay_alu instid0(VALU_DEP_4)
	v_lshl_or_b32 v9, v1, 8, v11
	v_mov_b32_e32 v6, v2
	v_cndmask_b32_e64 v48, v8, v17, s7
	v_cndmask_b32_e64 v8, v10, v13, s7
	s_movk_i32 s7, 0x3e0
	v_add_nc_u32_e32 v49, 0x1000, v9
	v_add_co_u32 v9, s8, s44, v5
	v_add_co_u32 v51, vcc_lo, v39, 4
	v_cmp_eq_u32_e64 s2, 63, v15
	v_mov_b32_e32 v15, 16
	v_or_b32_e32 v41, 0x1400, v14
	v_dual_mov_b32 v11, s14 :: v_dual_add_nc_u32 v44, 0x13f8, v14
	v_add_nc_u32_e32 v45, 0x13f0, v14
	v_dual_mov_b32 v13, 0 :: v_dual_add_nc_u32 v46, 0x13e0, v14
	v_lshl_add_u32 v42, v19, 2, 0x1400
	s_add_u32 s55, s20, 8
	v_or_b32_e32 v0, 0xffffff00, v0
	v_add_co_ci_u32_e64 v10, null, s45, 0, s8
	v_and_or_b32 v50, v35, s7, 0x1000
	v_add_co_ci_u32_e32 v52, vcc_lo, 0, v40, vcc_lo
	v_mov_b32_e32 v14, 0
	v_mov_b32_e32 v16, 0
	;; [unrolled: 1-line block ×3, first 2 shown]
	s_mul_i32 s46, s30, s30
	s_addc_u32 s56, s21, 0
	s_add_u32 s57, s36, -8
	s_addc_u32 s58, s37, -1
	s_lshl_b64 s[36:37], s[30:31], 2
	s_lshl_b64 s[38:39], s[46:47], 2
	;; [unrolled: 1-line block ×3, first 2 shown]
	s_branch .LBB101_15
.LBB101_14:                             ;   in Loop: Header=BB101_15 Depth=1
	s_or_b32 exec_lo, exec_lo, s7
	s_waitcnt_vscnt null, 0x0
	s_barrier
	buffer_gl0_inv
	ds_load_b64 v[13:14], v2 offset:5184
	v_ashrrev_i32_e32 v16, 31, v15
	v_add_co_u32 v11, vcc_lo, v11, v15
	s_waitcnt lgkmcnt(0)
	s_barrier
	s_delay_alu instid0(VALU_DEP_2) | instskip(SKIP_3) | instid1(VALU_DEP_1)
	v_add_co_ci_u32_e32 v12, vcc_lo, v12, v16, vcc_lo
	buffer_gl0_inv
	v_cmp_le_i64_e32 vcc_lo, s[28:29], v[13:14]
	v_add_co_u32 v15, s7, v13, 16
	v_add_co_ci_u32_e64 v16, s7, 0, v14, s7
	s_cbranch_vccnz .LBB101_90
.LBB101_15:                             ; =>This Loop Header: Depth=1
                                        ;     Child Loop BB101_18 Depth 2
                                        ;     Child Loop BB101_24 Depth 2
                                        ;       Child Loop BB101_39 Depth 3
                                        ;         Child Loop BB101_51 Depth 4
                                        ;         Child Loop BB101_47 Depth 4
                                        ;     Child Loop BB101_61 Depth 2
                                        ;     Child Loop BB101_70 Depth 2
	;; [unrolled: 1-line block ×3, first 2 shown]
	s_and_saveexec_b32 s7, s0
	s_cbranch_execz .LBB101_17
; %bb.16:                               ;   in Loop: Header=BB101_15 Depth=1
	ds_store_b32 v43, v2
.LBB101_17:                             ;   in Loop: Header=BB101_15 Depth=1
	s_or_b32 exec_lo, exec_lo, s7
	v_dual_mov_b32 v17, v35 :: v_dual_mov_b32 v18, v0
	s_mov_b32 s7, 0
.LBB101_18:                             ;   Parent Loop BB101_15 Depth=1
                                        ; =>  This Inner Loop Header: Depth=2
	s_delay_alu instid0(VALU_DEP_1) | instskip(SKIP_4) | instid1(SALU_CYCLE_1)
	v_add_nc_u32_e32 v18, 0x100, v18
	ds_store_b32 v17, v2
	v_add_nc_u32_e32 v17, 0x400, v17
	v_cmp_lt_u32_e32 vcc_lo, 0x2ff, v18
	s_or_b32 s7, vcc_lo, s7
	s_and_not1_b32 exec_lo, exec_lo, s7
	s_cbranch_execnz .LBB101_18
; %bb.19:                               ;   in Loop: Header=BB101_15 Depth=1
	s_or_b32 exec_lo, exec_lo, s7
	s_and_saveexec_b32 s7, s1
	s_cbranch_execz .LBB101_21
; %bb.20:                               ;   in Loop: Header=BB101_15 Depth=1
	v_dual_mov_b32 v17, s28 :: v_dual_mov_b32 v18, s29
	ds_store_b64 v2, v[17:18] offset:5184
.LBB101_21:                             ;   in Loop: Header=BB101_15 Depth=1
	s_or_b32 exec_lo, exec_lo, s7
	v_dual_mov_b32 v17, s28 :: v_dual_mov_b32 v18, s29
	s_and_not1_b32 vcc_lo, exec_lo, s53
	s_waitcnt lgkmcnt(0)
	s_barrier
	buffer_gl0_inv
	s_cbranch_vccnz .LBB101_56
; %bb.22:                               ;   in Loop: Header=BB101_15 Depth=1
	v_cmp_ne_u64_e64 s7, 0, v[13:14]
	v_dual_mov_b32 v17, s28 :: v_dual_mov_b32 v18, s29
	s_mov_b64 s[12:13], s[34:35]
	s_branch .LBB101_24
.LBB101_23:                             ;   in Loop: Header=BB101_24 Depth=2
	s_or_b32 exec_lo, exec_lo, s9
	s_add_u32 s12, s12, 4
	s_addc_u32 s13, s13, 0
	s_delay_alu instid0(SALU_CYCLE_1) | instskip(NEXT) | instid1(VALU_DEP_1)
	v_cmp_lt_i64_e64 s8, s[12:13], s[40:41]
	s_and_b32 vcc_lo, exec_lo, s8
	s_cbranch_vccz .LBB101_56
.LBB101_24:                             ;   Parent Loop BB101_15 Depth=1
                                        ; =>  This Loop Header: Depth=2
                                        ;       Child Loop BB101_39 Depth 3
                                        ;         Child Loop BB101_51 Depth 4
                                        ;         Child Loop BB101_47 Depth 4
	v_add_co_u32 v19, s8, s12, v1
	s_delay_alu instid0(VALU_DEP_1) | instskip(NEXT) | instid1(VALU_DEP_1)
	v_add_co_ci_u32_e64 v20, null, s13, 0, s8
	s_waitcnt_vscnt null, 0x0
	s_barrier
	buffer_gl0_inv
	v_cmp_gt_i64_e64 s8, s[40:41], v[19:20]
	s_delay_alu instid0(VALU_DEP_1)
	s_and_saveexec_b32 s9, s8
	s_cbranch_execz .LBB101_28
; %bb.25:                               ;   in Loop: Header=BB101_24 Depth=2
	v_mov_b32_e32 v21, 0
	s_and_saveexec_b32 s14, s54
	s_cbranch_execz .LBB101_27
; %bb.26:                               ;   in Loop: Header=BB101_24 Depth=2
	v_mul_lo_u32 v23, v20, s46
	v_mul_lo_u32 v24, v19, s47
	v_mad_u64_u32 v[21:22], null, v19, s46, 0
	s_delay_alu instid0(VALU_DEP_1) | instskip(NEXT) | instid1(VALU_DEP_1)
	v_add3_u32 v22, v22, v24, v23
	v_lshlrev_b64 v[21:22], 2, v[21:22]
	s_delay_alu instid0(VALU_DEP_1) | instskip(NEXT) | instid1(VALU_DEP_2)
	v_add_co_u32 v21, vcc_lo, v4, v21
	v_add_co_ci_u32_e32 v22, vcc_lo, v37, v22, vcc_lo
	global_load_b32 v21, v[21:22], off
.LBB101_27:                             ;   in Loop: Header=BB101_24 Depth=2
	s_or_b32 exec_lo, exec_lo, s14
	s_waitcnt vmcnt(0)
	ds_store_b32 v36, v21
.LBB101_28:                             ;   in Loop: Header=BB101_24 Depth=2
	s_or_b32 exec_lo, exec_lo, s9
	v_mov_b32_e32 v21, 0
	v_lshlrev_b64 v[19:20], 3, v[19:20]
	v_mov_b32_e32 v22, 0
	s_waitcnt lgkmcnt(0)
	s_barrier
	buffer_gl0_inv
	s_and_saveexec_b32 s59, s8
	s_cbranch_execz .LBB101_54
; %bb.29:                               ;   in Loop: Header=BB101_24 Depth=2
	v_add_co_u32 v21, vcc_lo, s16, v19
	v_add_co_ci_u32_e32 v22, vcc_lo, s17, v20, vcc_lo
	s_and_b32 vcc_lo, exec_lo, s7
	global_load_b64 v[23:24], v[21:22], off
	s_cbranch_vccz .LBB101_31
; %bb.30:                               ;   in Loop: Header=BB101_24 Depth=2
	v_add_co_u32 v21, vcc_lo, s42, v19
	v_add_co_ci_u32_e32 v22, vcc_lo, s43, v20, vcc_lo
	s_mov_b32 s9, 0
	global_load_b64 v[21:22], v[21:22], off
	s_branch .LBB101_32
.LBB101_31:                             ;   in Loop: Header=BB101_24 Depth=2
	s_mov_b32 s9, -1
                                        ; implicit-def: $vgpr21_vgpr22
.LBB101_32:                             ;   in Loop: Header=BB101_24 Depth=2
	s_waitcnt vmcnt(0)
	v_sub_co_u32 v23, vcc_lo, v23, s24
	v_subrev_co_ci_u32_e32 v24, vcc_lo, 0, v24, vcc_lo
	s_and_not1_b32 vcc_lo, exec_lo, s9
	s_delay_alu instid0(VALU_DEP_1)
	v_lshlrev_b64 v[23:24], 3, v[23:24]
	s_cbranch_vccnz .LBB101_34
; %bb.33:                               ;   in Loop: Header=BB101_24 Depth=2
	s_delay_alu instid0(VALU_DEP_1) | instskip(NEXT) | instid1(VALU_DEP_2)
	v_add_co_u32 v21, vcc_lo, s20, v23
	v_add_co_ci_u32_e32 v22, vcc_lo, s21, v24, vcc_lo
	global_load_b64 v[21:22], v[21:22], off
	s_waitcnt vmcnt(0)
	v_sub_co_u32 v21, vcc_lo, v21, s25
	v_subrev_co_ci_u32_e32 v22, vcc_lo, 0, v22, vcc_lo
.LBB101_34:                             ;   in Loop: Header=BB101_24 Depth=2
	s_delay_alu instid0(VALU_DEP_1) | instskip(NEXT) | instid1(VALU_DEP_2)
	v_add_co_u32 v23, vcc_lo, s55, v23
	v_add_co_ci_u32_e32 v24, vcc_lo, s56, v24, vcc_lo
	s_mov_b32 s60, exec_lo
	global_load_b64 v[23:24], v[23:24], off
	s_waitcnt vmcnt(0)
	v_sub_co_u32 v23, vcc_lo, v23, s25
	v_subrev_co_ci_u32_e32 v24, vcc_lo, 0, v24, vcc_lo
	s_delay_alu instid0(VALU_DEP_1)
	v_cmpx_lt_i64_e64 v[21:22], v[23:24]
	s_cbranch_execz .LBB101_53
; %bb.35:                               ;   in Loop: Header=BB101_24 Depth=2
	v_mad_u64_u32 v[29:30], null, s36, v21, v[5:6]
	v_mul_lo_u32 v27, s36, v22
	v_mul_lo_u32 v28, s37, v21
	v_mad_u64_u32 v[25:26], null, s38, v21, v[9:10]
	v_mul_lo_u32 v31, s38, v22
	v_mul_lo_u32 v32, s39, v21
	;; [unrolled: 1-line block ×3, first 2 shown]
	s_mov_b32 s61, 0
	v_add3_u32 v30, v28, v30, v27
	v_mad_u64_u32 v[27:28], null, s30, v29, s[44:45]
	s_delay_alu instid0(VALU_DEP_4) | instskip(NEXT) | instid1(VALU_DEP_3)
	v_add3_u32 v26, v32, v26, v31
	v_mul_lo_u32 v29, s30, v30
	s_delay_alu instid0(VALU_DEP_1)
	v_add3_u32 v28, v55, v28, v29
	v_dual_mov_b32 v30, v22 :: v_dual_mov_b32 v29, v21
	s_branch .LBB101_39
.LBB101_36:                             ;   in Loop: Header=BB101_39 Depth=3
	s_delay_alu instid0(VALU_DEP_1) | instskip(NEXT) | instid1(VALU_DEP_1)
	v_dual_mul_f32 v32, v33, v56 :: v_dual_lshlrev_b32 v31, 6, v55
	v_or3_b32 v31, v31, v38, v3
	s_delay_alu instid0(VALU_DEP_1)
	v_lshlrev_b32_e32 v31, 2, v31
	ds_add_f32 v31, v32
.LBB101_37:                             ;   in Loop: Header=BB101_39 Depth=3
	s_or_b32 exec_lo, exec_lo, s63
	s_delay_alu instid0(SALU_CYCLE_1)
	s_or_b32 s9, s9, exec_lo
.LBB101_38:                             ;   in Loop: Header=BB101_39 Depth=3
	s_or_b32 exec_lo, exec_lo, s62
	v_add_co_u32 v21, vcc_lo, v21, 1
	v_add_co_ci_u32_e32 v22, vcc_lo, 0, v22, vcc_lo
	s_xor_b32 s14, s9, -1
	v_add_co_u32 v27, s9, v27, s38
	s_delay_alu instid0(VALU_DEP_2)
	v_cmp_ge_i64_e32 vcc_lo, v[21:22], v[23:24]
	v_add_co_ci_u32_e64 v28, s9, s39, v28, s9
	s_or_b32 s9, s14, vcc_lo
	v_add_co_u32 v25, vcc_lo, v25, s38
	v_add_co_ci_u32_e32 v26, vcc_lo, s39, v26, vcc_lo
	s_and_b32 s9, exec_lo, s9
	s_delay_alu instid0(SALU_CYCLE_1) | instskip(NEXT) | instid1(SALU_CYCLE_1)
	s_or_b32 s61, s9, s61
	s_and_not1_b32 exec_lo, exec_lo, s61
	s_cbranch_execz .LBB101_52
.LBB101_39:                             ;   Parent Loop BB101_15 Depth=1
                                        ;     Parent Loop BB101_24 Depth=2
                                        ; =>    This Loop Header: Depth=3
                                        ;         Child Loop BB101_51 Depth 4
                                        ;         Child Loop BB101_47 Depth 4
	v_lshlrev_b64 v[31:32], 3, v[21:22]
	s_delay_alu instid0(VALU_DEP_1) | instskip(NEXT) | instid1(VALU_DEP_2)
	v_add_co_u32 v31, vcc_lo, s22, v31
	v_add_co_ci_u32_e32 v32, vcc_lo, s23, v32, vcc_lo
	global_load_b64 v[31:32], v[31:32], off
	s_waitcnt vmcnt(0)
	v_sub_co_u32 v31, vcc_lo, v31, s25
	v_subrev_co_ci_u32_e32 v32, vcc_lo, 0, v32, vcc_lo
	s_delay_alu instid0(VALU_DEP_1) | instskip(SKIP_1) | instid1(VALU_DEP_2)
	v_cmp_lt_i64_e64 s9, v[31:32], v[13:14]
	v_cmp_ge_i64_e32 vcc_lo, v[31:32], v[15:16]
	s_or_b32 s14, s9, vcc_lo
                                        ; implicit-def: $sgpr9
	s_delay_alu instid0(SALU_CYCLE_1) | instskip(NEXT) | instid1(SALU_CYCLE_1)
	s_and_saveexec_b32 s15, s14
	s_xor_b32 s14, exec_lo, s15
	s_cbranch_execz .LBB101_43
; %bb.40:                               ;   in Loop: Header=BB101_39 Depth=3
	s_mov_b32 s15, -1
	s_and_saveexec_b32 s9, vcc_lo
; %bb.41:                               ;   in Loop: Header=BB101_39 Depth=3
	v_cmp_lt_i64_e32 vcc_lo, v[31:32], v[17:18]
	v_dual_mov_b32 v30, v22 :: v_dual_mov_b32 v29, v21
	s_xor_b32 s15, exec_lo, -1
	v_dual_cndmask_b32 v18, v18, v32 :: v_dual_cndmask_b32 v17, v17, v31
; %bb.42:                               ;   in Loop: Header=BB101_39 Depth=3
	s_or_b32 exec_lo, exec_lo, s9
	s_delay_alu instid0(SALU_CYCLE_1)
	s_and_b32 s9, s15, exec_lo
                                        ; implicit-def: $vgpr31_vgpr32
.LBB101_43:                             ;   in Loop: Header=BB101_39 Depth=3
	s_and_not1_saveexec_b32 s62, s14
	s_cbranch_execz .LBB101_38
; %bb.44:                               ;   in Loop: Header=BB101_39 Depth=3
	v_sub_nc_u32_e32 v55, v31, v13
	s_delay_alu instid0(VALU_DEP_1)
	v_lshlrev_b32_e32 v31, 2, v55
	ds_store_b32 v31, v54 offset:5120
	s_and_saveexec_b32 s63, s50
	s_cbranch_execz .LBB101_37
; %bb.45:                               ;   in Loop: Header=BB101_39 Depth=3
	s_and_not1_b32 vcc_lo, exec_lo, s51
	s_cbranch_vccnz .LBB101_49
; %bb.46:                               ;   in Loop: Header=BB101_39 Depth=3
	v_dual_mov_b32 v56, 0 :: v_dual_mov_b32 v57, v49
	v_dual_mov_b32 v32, v28 :: v_dual_mov_b32 v31, v27
	s_mov_b64 s[14:15], s[30:31]
.LBB101_47:                             ;   Parent Loop BB101_15 Depth=1
                                        ;     Parent Loop BB101_24 Depth=2
                                        ;       Parent Loop BB101_39 Depth=3
                                        ; =>      This Inner Loop Header: Depth=4
	global_load_b32 v58, v[31:32], off
	ds_load_b32 v59, v57
	v_add_co_u32 v31, vcc_lo, v31, 4
	v_add_co_ci_u32_e32 v32, vcc_lo, 0, v32, vcc_lo
	s_add_u32 s14, s14, -1
	v_add_nc_u32_e32 v57, 32, v57
	s_addc_u32 s15, s15, -1
	s_delay_alu instid0(SALU_CYCLE_1)
	s_cmp_lg_u64 s[14:15], 0
	s_waitcnt vmcnt(0) lgkmcnt(0)
	v_fmac_f32_e32 v56, v59, v58
	s_cbranch_scc1 .LBB101_47
; %bb.48:                               ;   in Loop: Header=BB101_39 Depth=3
	s_branch .LBB101_36
.LBB101_49:                             ;   in Loop: Header=BB101_39 Depth=3
                                        ; implicit-def: $vgpr56
	s_cbranch_execz .LBB101_36
; %bb.50:                               ;   in Loop: Header=BB101_39 Depth=3
	v_dual_mov_b32 v56, 0 :: v_dual_mov_b32 v57, v50
	v_dual_mov_b32 v32, v26 :: v_dual_mov_b32 v31, v25
	s_mov_b64 s[14:15], s[30:31]
.LBB101_51:                             ;   Parent Loop BB101_15 Depth=1
                                        ;     Parent Loop BB101_24 Depth=2
                                        ;       Parent Loop BB101_39 Depth=3
                                        ; =>      This Inner Loop Header: Depth=4
	global_load_b32 v58, v[31:32], off
	ds_load_b32 v59, v57
	v_add_co_u32 v31, vcc_lo, v31, s36
	s_add_u32 s14, s14, -1
	v_add_co_ci_u32_e32 v32, vcc_lo, s37, v32, vcc_lo
	v_add_nc_u32_e32 v57, 4, v57
	s_addc_u32 s15, s15, -1
	s_delay_alu instid0(SALU_CYCLE_1)
	s_cmp_eq_u64 s[14:15], 0
	s_waitcnt vmcnt(0) lgkmcnt(0)
	v_fmac_f32_e32 v56, v59, v58
	s_cbranch_scc0 .LBB101_51
	s_branch .LBB101_36
.LBB101_52:                             ;   in Loop: Header=BB101_24 Depth=2
	s_or_b32 exec_lo, exec_lo, s61
	v_dual_mov_b32 v21, v29 :: v_dual_mov_b32 v22, v30
.LBB101_53:                             ;   in Loop: Header=BB101_24 Depth=2
	s_or_b32 exec_lo, exec_lo, s60
.LBB101_54:                             ;   in Loop: Header=BB101_24 Depth=2
	s_delay_alu instid0(SALU_CYCLE_1)
	s_or_b32 exec_lo, exec_lo, s59
	s_waitcnt lgkmcnt(0)
	s_barrier
	buffer_gl0_inv
	s_and_saveexec_b32 s9, s8
	s_cbranch_execz .LBB101_23
; %bb.55:                               ;   in Loop: Header=BB101_24 Depth=2
	v_add_co_u32 v19, vcc_lo, s42, v19
	v_add_co_ci_u32_e32 v20, vcc_lo, s43, v20, vcc_lo
	global_store_b64 v[19:20], v[21:22], off
	s_branch .LBB101_23
.LBB101_56:                             ;   in Loop: Header=BB101_15 Depth=1
	s_and_not1_b32 vcc_lo, exec_lo, s33
	s_cbranch_vccnz .LBB101_68
; %bb.57:                               ;   in Loop: Header=BB101_15 Depth=1
	s_load_b128 s[12:15], s[18:19], 0x0
	s_waitcnt lgkmcnt(0)
	v_add_co_u32 v21, vcc_lo, s12, v39
	v_add_co_ci_u32_e32 v22, vcc_lo, s13, v40, vcc_lo
	s_sub_u32 s8, s14, s52
	s_subb_u32 s9, s15, 0
	s_mov_b32 s14, exec_lo
	s_delay_alu instid0(VALU_DEP_1)
	v_cmpx_gt_i64_e64 s[8:9], v[21:22]
	s_cbranch_execz .LBB101_67
; %bb.58:                               ;   in Loop: Header=BB101_15 Depth=1
	v_lshlrev_b64 v[23:24], 3, v[21:22]
	v_mad_u64_u32 v[19:20], null, s38, v21, v[7:8]
	v_mul_lo_u32 v25, s38, v22
	v_mul_lo_u32 v26, s39, v21
	s_delay_alu instid0(VALU_DEP_4) | instskip(SKIP_2) | instid1(VALU_DEP_4)
	v_add_co_u32 v21, vcc_lo, s10, v23
	v_add_co_ci_u32_e32 v22, vcc_lo, s11, v24, vcc_lo
	v_add_co_u32 v23, vcc_lo, v51, s12
	v_add3_u32 v20, v26, v20, v25
	v_add_co_ci_u32_e32 v24, vcc_lo, s13, v52, vcc_lo
	s_mov_b32 s12, 0
	s_branch .LBB101_61
.LBB101_59:                             ;   in Loop: Header=BB101_61 Depth=2
	s_or_b32 exec_lo, exec_lo, s15
	s_delay_alu instid0(SALU_CYCLE_1)
	s_or_b32 s7, s7, exec_lo
.LBB101_60:                             ;   in Loop: Header=BB101_61 Depth=2
	s_or_b32 exec_lo, exec_lo, s13
	v_cmp_le_i64_e32 vcc_lo, s[8:9], v[23:24]
	s_xor_b32 s13, s7, -1
	v_add_co_u32 v21, s7, v21, 32
	s_delay_alu instid0(VALU_DEP_1)
	v_add_co_ci_u32_e64 v22, s7, 0, v22, s7
	s_or_b32 s7, s13, vcc_lo
	v_add_co_u32 v19, vcc_lo, v19, s48
	v_add_co_ci_u32_e32 v20, vcc_lo, s49, v20, vcc_lo
	v_add_co_u32 v23, vcc_lo, v23, 4
	v_add_co_ci_u32_e32 v24, vcc_lo, 0, v24, vcc_lo
	s_and_b32 s7, exec_lo, s7
	s_delay_alu instid0(SALU_CYCLE_1) | instskip(NEXT) | instid1(SALU_CYCLE_1)
	s_or_b32 s12, s7, s12
	s_and_not1_b32 exec_lo, exec_lo, s12
	s_cbranch_execz .LBB101_66
.LBB101_61:                             ;   Parent Loop BB101_15 Depth=1
                                        ; =>  This Inner Loop Header: Depth=2
	global_load_b64 v[25:26], v[21:22], off
	s_waitcnt vmcnt(0)
	v_sub_co_u32 v25, vcc_lo, v25, s52
	v_subrev_co_ci_u32_e32 v26, vcc_lo, 0, v26, vcc_lo
	s_delay_alu instid0(VALU_DEP_1)
	v_cmp_lt_i64_e32 vcc_lo, v[25:26], v[15:16]
	v_cmp_lt_i64_e64 s7, v[25:26], v[13:14]
	s_xor_b32 s13, vcc_lo, -1
	s_delay_alu instid0(VALU_DEP_1) | instid1(SALU_CYCLE_1)
	s_or_b32 s13, s7, s13
                                        ; implicit-def: $sgpr7
	s_delay_alu instid0(SALU_CYCLE_1) | instskip(NEXT) | instid1(SALU_CYCLE_1)
	s_and_saveexec_b32 s15, s13
	s_xor_b32 s13, exec_lo, s15
; %bb.62:                               ;   in Loop: Header=BB101_61 Depth=2
	v_cmp_lt_i64_e64 s7, v[25:26], v[17:18]
	s_delay_alu instid0(VALU_DEP_1) | instskip(SKIP_2) | instid1(VALU_DEP_1)
	v_cndmask_b32_e64 v25, v17, v25, s7
	v_cndmask_b32_e64 v26, v18, v26, s7
	s_and_b32 s7, vcc_lo, exec_lo
	v_dual_cndmask_b32 v17, v25, v17 :: v_dual_cndmask_b32 v18, v26, v18
                                        ; implicit-def: $vgpr25
; %bb.63:                               ;   in Loop: Header=BB101_61 Depth=2
	s_and_not1_saveexec_b32 s13, s13
	s_cbranch_execz .LBB101_60
; %bb.64:                               ;   in Loop: Header=BB101_61 Depth=2
	v_sub_nc_u32_e32 v25, v25, v13
	s_delay_alu instid0(VALU_DEP_1)
	v_lshlrev_b32_e32 v26, 2, v25
	ds_store_b32 v26, v54 offset:5120
	s_and_saveexec_b32 s15, s54
	s_cbranch_execz .LBB101_59
; %bb.65:                               ;   in Loop: Header=BB101_61 Depth=2
	global_load_b32 v26, v[19:20], off
	s_waitcnt vmcnt(0)
	v_dual_mul_f32 v26, v34, v26 :: v_dual_lshlrev_b32 v25, 6, v25
	s_delay_alu instid0(VALU_DEP_1) | instskip(NEXT) | instid1(VALU_DEP_1)
	v_or3_b32 v25, v25, v38, v3
	v_lshlrev_b32_e32 v25, 2, v25
	ds_add_f32 v25, v26
	s_branch .LBB101_59
.LBB101_66:                             ;   in Loop: Header=BB101_15 Depth=1
	s_or_b32 exec_lo, exec_lo, s12
.LBB101_67:                             ;   in Loop: Header=BB101_15 Depth=1
	s_delay_alu instid0(SALU_CYCLE_1)
	s_or_b32 exec_lo, exec_lo, s14
.LBB101_68:                             ;   in Loop: Header=BB101_15 Depth=1
	s_and_saveexec_b32 s7, s2
	s_cbranch_execz .LBB101_73
; %bb.69:                               ;   in Loop: Header=BB101_15 Depth=1
	s_mov_b32 s12, exec_lo
	s_mov_b64 s[8:9], -1
.LBB101_70:                             ;   Parent Loop BB101_15 Depth=1
                                        ; =>  This Inner Loop Header: Depth=2
	s_ctz_i32_b32 s13, s12
	s_delay_alu instid0(SALU_CYCLE_1) | instskip(SKIP_1) | instid1(VALU_DEP_1)
	v_readlane_b32 s15, v18, s13
	v_readlane_b32 s14, v17, s13
	v_cmp_lt_u64_e64 s59, s[8:9], s[14:15]
	s_delay_alu instid0(VALU_DEP_1) | instskip(SKIP_3) | instid1(SALU_CYCLE_1)
	s_and_b32 s59, s59, exec_lo
	s_cselect_b32 s9, s9, s15
	s_cselect_b32 s8, s8, s14
	s_lshl_b32 s13, 1, s13
	s_and_not1_b32 s12, s12, s13
	s_delay_alu instid0(SALU_CYCLE_1)
	s_cmp_lg_u32 s12, 0
	s_cbranch_scc1 .LBB101_70
; %bb.71:                               ;   in Loop: Header=BB101_15 Depth=1
	v_mbcnt_lo_u32_b32 v15, exec_lo, 0
	s_mov_b32 s12, exec_lo
	s_delay_alu instid0(VALU_DEP_1)
	v_cmpx_eq_u32_e32 0, v15
	s_xor_b32 s12, exec_lo, s12
	s_cbranch_execz .LBB101_73
; %bb.72:                               ;   in Loop: Header=BB101_15 Depth=1
	v_dual_mov_b32 v16, s9 :: v_dual_mov_b32 v15, s8
	ds_min_u64 v2, v[15:16] offset:5184
.LBB101_73:                             ;   in Loop: Header=BB101_15 Depth=1
	s_or_b32 exec_lo, exec_lo, s7
	s_waitcnt lgkmcnt(0)
	s_waitcnt_vscnt null, 0x0
	s_barrier
	buffer_gl0_inv
	ds_load_b32 v16, v41
	s_waitcnt lgkmcnt(0)
	s_barrier
	buffer_gl0_inv
	s_and_saveexec_b32 s7, s3
	s_cbranch_execz .LBB101_75
; %bb.74:                               ;   in Loop: Header=BB101_15 Depth=1
	ds_load_b32 v15, v42
	s_waitcnt lgkmcnt(0)
	v_add_nc_u32_e32 v16, v15, v16
.LBB101_75:                             ;   in Loop: Header=BB101_15 Depth=1
	s_or_b32 exec_lo, exec_lo, s7
	s_barrier
	buffer_gl0_inv
	ds_store_b32 v41, v16
	s_waitcnt lgkmcnt(0)
	s_barrier
	buffer_gl0_inv
	s_and_saveexec_b32 s7, s4
	s_cbranch_execz .LBB101_77
; %bb.76:                               ;   in Loop: Header=BB101_15 Depth=1
	ds_load_b32 v15, v44
	s_waitcnt lgkmcnt(0)
	v_add_nc_u32_e32 v16, v15, v16
.LBB101_77:                             ;   in Loop: Header=BB101_15 Depth=1
	s_or_b32 exec_lo, exec_lo, s7
	s_barrier
	buffer_gl0_inv
	ds_store_b32 v41, v16
	;; [unrolled: 14-line block ×4, first 2 shown]
	s_waitcnt lgkmcnt(0)
	s_barrier
	buffer_gl0_inv
	ds_load_b32 v15, v2 offset:5180
	v_mov_b32_e32 v17, 0
	s_and_saveexec_b32 s7, s27
	s_cbranch_execz .LBB101_83
; %bb.82:                               ;   in Loop: Header=BB101_15 Depth=1
	ds_load_b32 v17, v42
.LBB101_83:                             ;   in Loop: Header=BB101_15 Depth=1
	s_or_b32 exec_lo, exec_lo, s7
	s_waitcnt lgkmcnt(0)
	v_cmp_eq_u32_e32 vcc_lo, v16, v17
	s_barrier
	buffer_gl0_inv
	s_and_b32 s8, s27, vcc_lo
	s_delay_alu instid0(SALU_CYCLE_1)
	s_and_saveexec_b32 s7, s8
	s_cbranch_execz .LBB101_85
; %bb.84:                               ;   in Loop: Header=BB101_15 Depth=1
	ds_store_b32 v41, v2
.LBB101_85:                             ;   in Loop: Header=BB101_15 Depth=1
	s_or_b32 exec_lo, exec_lo, s7
	v_add_co_u32 v16, vcc_lo, v11, -1
	v_add_co_ci_u32_e32 v17, vcc_lo, -1, v12, vcc_lo
	v_add_co_u32 v18, vcc_lo, s26, v13
	v_add_co_ci_u32_e32 v19, vcc_lo, 0, v14, vcc_lo
	v_dual_mov_b32 v20, v53 :: v_dual_mov_b32 v21, v35
	v_dual_mov_b32 v14, v2 :: v_dual_mov_b32 v13, v1
	s_mov_b32 s7, 0
	s_waitcnt lgkmcnt(0)
	s_barrier
	buffer_gl0_inv
	s_branch .LBB101_87
.LBB101_86:                             ;   in Loop: Header=BB101_87 Depth=2
	s_or_b32 exec_lo, exec_lo, s8
	v_add_co_u32 v13, vcc_lo, v13, 4
	v_add_co_ci_u32_e32 v14, vcc_lo, 0, v14, vcc_lo
	v_add_nc_u32_e32 v21, 0x400, v21
	s_delay_alu instid0(VALU_DEP_3) | instskip(SKIP_1) | instid1(VALU_DEP_2)
	v_add_nc_u32_e32 v22, -4, v13
	v_add_nc_u32_e32 v20, 16, v20
	v_cmp_lt_u32_e32 vcc_lo, 11, v22
	s_or_b32 s7, vcc_lo, s7
	s_delay_alu instid0(SALU_CYCLE_1)
	s_and_not1_b32 exec_lo, exec_lo, s7
	s_cbranch_execz .LBB101_14
.LBB101_87:                             ;   Parent Loop BB101_15 Depth=1
                                        ; =>  This Inner Loop Header: Depth=2
	ds_load_b32 v22, v20
	s_mov_b32 s8, exec_lo
	s_waitcnt lgkmcnt(0)
	v_cmpx_ne_u32_e32 0, v22
	s_cbranch_execz .LBB101_86
; %bb.88:                               ;   in Loop: Header=BB101_87 Depth=2
	v_ashrrev_i32_e32 v23, 31, v22
	v_add_co_u32 v24, vcc_lo, v11, v22
	s_delay_alu instid0(VALU_DEP_2) | instskip(SKIP_2) | instid1(VALU_DEP_3)
	v_add_co_ci_u32_e32 v25, vcc_lo, v12, v23, vcc_lo
	v_add_co_u32 v26, vcc_lo, v18, v13
	v_add_co_ci_u32_e32 v27, vcc_lo, v19, v14, vcc_lo
	v_lshlrev_b64 v[24:25], 3, v[24:25]
	s_delay_alu instid0(VALU_DEP_1) | instskip(NEXT) | instid1(VALU_DEP_2)
	v_add_co_u32 v24, vcc_lo, s57, v24
	v_add_co_ci_u32_e32 v25, vcc_lo, s58, v25, vcc_lo
	global_store_b64 v[24:25], v[26:27], off
	s_and_b32 exec_lo, exec_lo, s54
	s_cbranch_execz .LBB101_86
; %bb.89:                               ;   in Loop: Header=BB101_87 Depth=2
	v_add_co_u32 v24, vcc_lo, v16, v22
	v_add_co_ci_u32_e32 v22, vcc_lo, v17, v23, vcc_lo
	s_delay_alu instid0(VALU_DEP_2) | instskip(NEXT) | instid1(VALU_DEP_2)
	v_mul_lo_u32 v26, v24, s47
	v_mul_lo_u32 v25, v22, s46
	v_mad_u64_u32 v[22:23], null, v24, s46, 0
	ds_load_b32 v24, v21
	v_add3_u32 v23, v23, v26, v25
	s_delay_alu instid0(VALU_DEP_1) | instskip(NEXT) | instid1(VALU_DEP_1)
	v_lshlrev_b64 v[22:23], 2, v[22:23]
	v_add_co_u32 v22, vcc_lo, v48, v22
	s_delay_alu instid0(VALU_DEP_2)
	v_add_co_ci_u32_e32 v23, vcc_lo, v47, v23, vcc_lo
	s_waitcnt lgkmcnt(0)
	global_store_b32 v[22:23], v24, off
	s_branch .LBB101_86
.LBB101_90:
	s_endpgm
	.section	.rodata,"a",@progbits
	.p2align	6, 0x0
	.amdhsa_kernel _ZN9rocsparseL38bsrgemm_block_per_row_atomic_multipassILj256ELj16ELj8EllfEEv20rocsparse_direction_T3_S2_PKS2_S4_NS_24const_host_device_scalarIT4_EEPKT2_S4_PKS6_SA_S4_SC_S7_SA_S4_SC_SA_PS2_PS6_PS8_21rocsparse_index_base_SG_SG_SG_bbb
		.amdhsa_group_segment_fixed_size 5192
		.amdhsa_private_segment_fixed_size 0
		.amdhsa_kernarg_size 180
		.amdhsa_user_sgpr_count 15
		.amdhsa_user_sgpr_dispatch_ptr 0
		.amdhsa_user_sgpr_queue_ptr 0
		.amdhsa_user_sgpr_kernarg_segment_ptr 1
		.amdhsa_user_sgpr_dispatch_id 0
		.amdhsa_user_sgpr_private_segment_size 0
		.amdhsa_wavefront_size32 1
		.amdhsa_uses_dynamic_stack 0
		.amdhsa_enable_private_segment 0
		.amdhsa_system_sgpr_workgroup_id_x 1
		.amdhsa_system_sgpr_workgroup_id_y 0
		.amdhsa_system_sgpr_workgroup_id_z 0
		.amdhsa_system_sgpr_workgroup_info 0
		.amdhsa_system_vgpr_workitem_id 0
		.amdhsa_next_free_vgpr 60
		.amdhsa_next_free_sgpr 64
		.amdhsa_reserve_vcc 1
		.amdhsa_float_round_mode_32 0
		.amdhsa_float_round_mode_16_64 0
		.amdhsa_float_denorm_mode_32 3
		.amdhsa_float_denorm_mode_16_64 3
		.amdhsa_dx10_clamp 1
		.amdhsa_ieee_mode 1
		.amdhsa_fp16_overflow 0
		.amdhsa_workgroup_processor_mode 1
		.amdhsa_memory_ordered 1
		.amdhsa_forward_progress 0
		.amdhsa_shared_vgpr_count 0
		.amdhsa_exception_fp_ieee_invalid_op 0
		.amdhsa_exception_fp_denorm_src 0
		.amdhsa_exception_fp_ieee_div_zero 0
		.amdhsa_exception_fp_ieee_overflow 0
		.amdhsa_exception_fp_ieee_underflow 0
		.amdhsa_exception_fp_ieee_inexact 0
		.amdhsa_exception_int_div_zero 0
	.end_amdhsa_kernel
	.section	.text._ZN9rocsparseL38bsrgemm_block_per_row_atomic_multipassILj256ELj16ELj8EllfEEv20rocsparse_direction_T3_S2_PKS2_S4_NS_24const_host_device_scalarIT4_EEPKT2_S4_PKS6_SA_S4_SC_S7_SA_S4_SC_SA_PS2_PS6_PS8_21rocsparse_index_base_SG_SG_SG_bbb,"axG",@progbits,_ZN9rocsparseL38bsrgemm_block_per_row_atomic_multipassILj256ELj16ELj8EllfEEv20rocsparse_direction_T3_S2_PKS2_S4_NS_24const_host_device_scalarIT4_EEPKT2_S4_PKS6_SA_S4_SC_S7_SA_S4_SC_SA_PS2_PS6_PS8_21rocsparse_index_base_SG_SG_SG_bbb,comdat
.Lfunc_end101:
	.size	_ZN9rocsparseL38bsrgemm_block_per_row_atomic_multipassILj256ELj16ELj8EllfEEv20rocsparse_direction_T3_S2_PKS2_S4_NS_24const_host_device_scalarIT4_EEPKT2_S4_PKS6_SA_S4_SC_S7_SA_S4_SC_SA_PS2_PS6_PS8_21rocsparse_index_base_SG_SG_SG_bbb, .Lfunc_end101-_ZN9rocsparseL38bsrgemm_block_per_row_atomic_multipassILj256ELj16ELj8EllfEEv20rocsparse_direction_T3_S2_PKS2_S4_NS_24const_host_device_scalarIT4_EEPKT2_S4_PKS6_SA_S4_SC_S7_SA_S4_SC_SA_PS2_PS6_PS8_21rocsparse_index_base_SG_SG_SG_bbb
                                        ; -- End function
	.section	.AMDGPU.csdata,"",@progbits
; Kernel info:
; codeLenInByte = 3868
; NumSgprs: 66
; NumVgprs: 60
; ScratchSize: 0
; MemoryBound: 0
; FloatMode: 240
; IeeeMode: 1
; LDSByteSize: 5192 bytes/workgroup (compile time only)
; SGPRBlocks: 8
; VGPRBlocks: 7
; NumSGPRsForWavesPerEU: 66
; NumVGPRsForWavesPerEU: 60
; Occupancy: 16
; WaveLimiterHint : 1
; COMPUTE_PGM_RSRC2:SCRATCH_EN: 0
; COMPUTE_PGM_RSRC2:USER_SGPR: 15
; COMPUTE_PGM_RSRC2:TRAP_HANDLER: 0
; COMPUTE_PGM_RSRC2:TGID_X_EN: 1
; COMPUTE_PGM_RSRC2:TGID_Y_EN: 0
; COMPUTE_PGM_RSRC2:TGID_Z_EN: 0
; COMPUTE_PGM_RSRC2:TIDIG_COMP_CNT: 0
	.section	.text._ZN9rocsparseL38bsrgemm_block_per_row_atomic_multipassILj256ELj32ELj8EllfEEv20rocsparse_direction_T3_S2_PKS2_S4_NS_24const_host_device_scalarIT4_EEPKT2_S4_PKS6_SA_S4_SC_S7_SA_S4_SC_SA_PS2_PS6_PS8_21rocsparse_index_base_SG_SG_SG_bbb,"axG",@progbits,_ZN9rocsparseL38bsrgemm_block_per_row_atomic_multipassILj256ELj32ELj8EllfEEv20rocsparse_direction_T3_S2_PKS2_S4_NS_24const_host_device_scalarIT4_EEPKT2_S4_PKS6_SA_S4_SC_S7_SA_S4_SC_SA_PS2_PS6_PS8_21rocsparse_index_base_SG_SG_SG_bbb,comdat
	.globl	_ZN9rocsparseL38bsrgemm_block_per_row_atomic_multipassILj256ELj32ELj8EllfEEv20rocsparse_direction_T3_S2_PKS2_S4_NS_24const_host_device_scalarIT4_EEPKT2_S4_PKS6_SA_S4_SC_S7_SA_S4_SC_SA_PS2_PS6_PS8_21rocsparse_index_base_SG_SG_SG_bbb ; -- Begin function _ZN9rocsparseL38bsrgemm_block_per_row_atomic_multipassILj256ELj32ELj8EllfEEv20rocsparse_direction_T3_S2_PKS2_S4_NS_24const_host_device_scalarIT4_EEPKT2_S4_PKS6_SA_S4_SC_S7_SA_S4_SC_SA_PS2_PS6_PS8_21rocsparse_index_base_SG_SG_SG_bbb
	.p2align	8
	.type	_ZN9rocsparseL38bsrgemm_block_per_row_atomic_multipassILj256ELj32ELj8EllfEEv20rocsparse_direction_T3_S2_PKS2_S4_NS_24const_host_device_scalarIT4_EEPKT2_S4_PKS6_SA_S4_SC_S7_SA_S4_SC_SA_PS2_PS6_PS8_21rocsparse_index_base_SG_SG_SG_bbb,@function
_ZN9rocsparseL38bsrgemm_block_per_row_atomic_multipassILj256ELj32ELj8EllfEEv20rocsparse_direction_T3_S2_PKS2_S4_NS_24const_host_device_scalarIT4_EEPKT2_S4_PKS6_SA_S4_SC_S7_SA_S4_SC_SA_PS2_PS6_PS8_21rocsparse_index_base_SG_SG_SG_bbb: ; @_ZN9rocsparseL38bsrgemm_block_per_row_atomic_multipassILj256ELj32ELj8EllfEEv20rocsparse_direction_T3_S2_PKS2_S4_NS_24const_host_device_scalarIT4_EEPKT2_S4_PKS6_SA_S4_SC_S7_SA_S4_SC_SA_PS2_PS6_PS8_21rocsparse_index_base_SG_SG_SG_bbb
; %bb.0:
	s_clause 0x3
	s_load_b32 s3, s[0:1], 0xb0
	s_load_b128 s[28:31], s[0:1], 0xa0
	s_load_b64 s[6:7], s[0:1], 0x28
	s_load_b64 s[4:5], s[0:1], 0x60
	s_mov_b32 s2, s15
	s_waitcnt lgkmcnt(0)
	s_bitcmp1_b32 s3, 0
	s_cselect_b32 s9, -1, 0
	s_bitcmp1_b32 s3, 16
	s_cselect_b32 s8, -1, 0
	s_xor_b32 s10, s9, -1
	s_delay_alu instid0(SALU_CYCLE_1) | instskip(NEXT) | instid1(SALU_CYCLE_1)
	s_or_b32 s10, s10, s8
	s_and_b32 vcc_lo, exec_lo, s10
	s_cbranch_vccnz .LBB102_2
; %bb.1:
	s_load_b32 s6, s[6:7], 0x0
	s_waitcnt lgkmcnt(0)
	v_mov_b32_e32 v33, s6
	s_branch .LBB102_3
.LBB102_2:
	v_cndmask_b32_e64 v33, 0, s6, s9
.LBB102_3:
	s_load_b64 s[6:7], s[0:1], 0x20
	s_bitcmp1_b32 s3, 8
	s_cselect_b32 s33, -1, 0
	s_delay_alu instid0(SALU_CYCLE_1) | instskip(NEXT) | instid1(SALU_CYCLE_1)
	s_xor_b32 s3, s33, -1
	s_or_b32 s3, s3, s8
	s_delay_alu instid0(SALU_CYCLE_1)
	s_and_b32 vcc_lo, exec_lo, s3
	s_cbranch_vccnz .LBB102_5
; %bb.4:
	s_load_b32 s3, s[4:5], 0x0
	s_waitcnt lgkmcnt(0)
	v_mov_b32_e32 v34, s3
	s_branch .LBB102_6
.LBB102_5:
	v_cndmask_b32_e64 v34, 0, s4, s33
.LBB102_6:
	s_load_b64 s[4:5], s[0:1], 0x30
	s_mov_b64 s[34:35], 0
	s_waitcnt lgkmcnt(0)
	s_cmp_eq_u64 s[6:7], 0
	s_mov_b32 s3, 0
	s_cbranch_scc1 .LBB102_8
; %bb.7:
	s_load_b64 s[10:11], s[0:1], 0x18
	s_waitcnt lgkmcnt(0)
	s_load_b64 s[10:11], s[10:11], 0x0
	s_waitcnt lgkmcnt(0)
	s_lshl_b64 s[10:11], s[10:11], 3
	s_delay_alu instid0(SALU_CYCLE_1) | instskip(SKIP_2) | instid1(SALU_CYCLE_1)
	s_add_u32 s6, s6, s10
	s_addc_u32 s7, s7, s11
	s_lshl_b64 s[2:3], s[2:3], 3
	s_add_u32 s2, s6, s2
	s_addc_u32 s3, s7, s3
	s_load_b64 s[2:3], s[2:3], 0x0
.LBB102_8:
	s_and_not1_b32 vcc_lo, exec_lo, s9
	s_cbranch_vccz .LBB102_11
; %bb.9:
	s_and_not1_b32 vcc_lo, exec_lo, s9
	s_mov_b64 s[44:45], 0
	s_cbranch_vccz .LBB102_12
.LBB102_10:
	s_load_b128 s[36:39], s[0:1], 0x8
	s_waitcnt lgkmcnt(0)
	v_cmp_lt_i64_e64 s4, s[36:37], 1
	s_delay_alu instid0(VALU_DEP_1)
	s_and_b32 vcc_lo, exec_lo, s4
	s_cbranch_vccz .LBB102_13
	s_branch .LBB102_96
.LBB102_11:
	s_waitcnt lgkmcnt(0)
	s_lshl_b64 s[6:7], s[2:3], 3
	s_delay_alu instid0(SALU_CYCLE_1)
	s_add_u32 s6, s4, s6
	s_addc_u32 s7, s5, s7
	s_load_b64 s[6:7], s[6:7], 0x0
	s_waitcnt lgkmcnt(0)
	s_sub_u32 s34, s6, s28
	s_subb_u32 s35, s7, 0
	s_and_not1_b32 vcc_lo, exec_lo, s9
	s_mov_b64 s[44:45], 0
	s_cbranch_vccnz .LBB102_10
.LBB102_12:
	s_waitcnt lgkmcnt(0)
	s_lshl_b64 s[6:7], s[2:3], 3
	s_delay_alu instid0(SALU_CYCLE_1)
	s_add_u32 s4, s4, s6
	s_addc_u32 s5, s5, s7
	s_load_b64 s[4:5], s[4:5], 0x8
	s_waitcnt lgkmcnt(0)
	s_sub_u32 s44, s4, s28
	s_subb_u32 s45, s5, 0
	s_load_b128 s[36:39], s[0:1], 0x8
	s_waitcnt lgkmcnt(0)
	v_cmp_lt_i64_e64 s4, s[36:37], 1
	s_delay_alu instid0(VALU_DEP_1)
	s_and_b32 vcc_lo, exec_lo, s4
	s_cbranch_vccnz .LBB102_96
.LBB102_13:
	s_clause 0x4
	s_load_b256 s[12:19], s[0:1], 0x68
	s_load_b64 s[46:47], s[0:1], 0x98
	s_load_b128 s[40:43], s[0:1], 0x88
	s_load_b64 s[48:49], s[0:1], 0x58
	s_load_b256 s[20:27], s[0:1], 0x38
	v_bfe_u32 v7, v0, 3, 3
	v_dual_mov_b32 v2, 0 :: v_dual_and_b32 v3, 7, v0
	s_lshl_b64 s[6:7], s[2:3], 3
	s_mul_i32 s4, s38, s39
	s_delay_alu instid0(VALU_DEP_2)
	v_mad_u64_u32 v[5:6], null, v7, s38, 0
	v_and_b32_e32 v15, 63, v0
	v_mad_u64_u32 v[9:10], null, v3, s38, 0
	v_mov_b32_e32 v8, v2
	s_mul_hi_u32 s8, s38, s38
	s_load_b32 s5, s[0:1], 0x0
	s_delay_alu instid0(VALU_DEP_4)
	v_mov_b32_e32 v4, v6
	v_lshrrev_b32_e32 v1, 6, v0
	s_waitcnt lgkmcnt(0)
	s_add_u32 s2, s18, s6
	s_addc_u32 s3, s19, s7
	v_lshlrev_b32_e32 v35, 2, v0
	s_load_b64 s[2:3], s[2:3], 0x0
	v_mad_u64_u32 v[11:12], null, v7, s39, v[4:5]
	v_mov_b32_e32 v4, v10
	v_cmp_lt_i64_e64 s10, s[34:35], s[44:45]
	s_mov_b32 s56, s31
	v_cmp_gt_u32_e64 s0, 32, v0
	v_cmp_eq_u32_e64 s1, 0, v0
	v_mad_u64_u32 v[12:13], null, v3, s39, v[4:5]
	v_mov_b32_e32 v6, v11
	v_mov_b32_e32 v4, v2
	v_and_b32_e32 v38, 56, v0
	s_movk_i32 s11, 0x3e0
	v_or_b32_e32 v36, 0x2000, v35
	v_lshlrev_b64 v[13:14], 2, v[5:6]
	v_dual_mov_b32 v10, v12 :: v_dual_lshlrev_b32 v5, 2, v3
	v_cmp_gt_u64_e32 vcc_lo, s[38:39], v[7:8]
	v_mov_b32_e32 v6, v2
	s_waitcnt lgkmcnt(0)
	s_sub_u32 s18, s2, s30
	v_add_co_u32 v11, s2, s22, v13
	s_subb_u32 s19, s3, 0
	s_add_i32 s3, s8, s4
	v_add_co_ci_u32_e64 v12, s2, s23, v14, s2
	s_add_i32 s51, s3, s4
	v_cmp_gt_i64_e64 s3, s[38:39], v[3:4]
	v_cmp_gt_i64_e64 s2, s[38:39], v[7:8]
	v_lshlrev_b64 v[9:10], 2, v[9:10]
	v_add_co_u32 v4, s4, v11, v5
	s_delay_alu instid0(VALU_DEP_1) | instskip(NEXT) | instid1(VALU_DEP_4)
	v_add_co_ci_u32_e64 v37, s4, 0, v12, s4
	s_and_b32 s54, s3, s2
	v_lshlrev_b64 v[11:12], 2, v[7:8]
	s_delay_alu instid0(VALU_DEP_4) | instskip(NEXT) | instid1(VALU_DEP_1)
	v_add_co_u32 v8, s2, s42, v9
	v_add_co_ci_u32_e64 v16, s2, s43, v10, s2
	v_add_co_u32 v17, s2, s42, v13
	s_delay_alu instid0(VALU_DEP_1) | instskip(NEXT) | instid1(VALU_DEP_4)
	v_add_co_ci_u32_e64 v18, s2, s43, v14, s2
	v_add_co_u32 v8, s2, v8, v11
	s_delay_alu instid0(VALU_DEP_1) | instskip(NEXT) | instid1(VALU_DEP_4)
	v_add_co_ci_u32_e64 v16, s2, v16, v12, s2
	v_add_co_u32 v17, s2, v17, v5
	s_delay_alu instid0(VALU_DEP_1) | instskip(SKIP_1) | instid1(VALU_DEP_1)
	v_add_co_ci_u32_e64 v18, s2, 0, v18, s2
	v_add_co_u32 v9, s2, s16, v9
	v_add_co_ci_u32_e64 v10, s2, s17, v10, s2
	v_sub_co_u32 v39, s2, v1, s31
	s_delay_alu instid0(VALU_DEP_1) | instskip(NEXT) | instid1(VALU_DEP_4)
	v_sub_co_ci_u32_e64 v40, null, 0, 0, s2
	v_add_co_u32 v9, s2, v9, v11
	s_delay_alu instid0(VALU_DEP_1) | instskip(SKIP_1) | instid1(VALU_DEP_1)
	v_add_co_ci_u32_e64 v10, s2, v10, v12, s2
	v_add_co_u32 v12, s2, s16, v13
	v_add_co_ci_u32_e64 v13, s2, s17, v14, s2
	s_cmp_eq_u32 s5, 0
	s_delay_alu instid0(VALU_DEP_2) | instskip(NEXT) | instid1(VALU_DEP_1)
	v_add_co_u32 v12, s2, v12, v5
	v_add_co_ci_u32_e64 v13, s2, 0, v13, s2
	s_cselect_b32 s8, -1, 0
	v_and_b32_e32 v11, 31, v0
	v_cndmask_b32_e64 v49, v8, v17, s8
	s_delay_alu instid0(VALU_DEP_3)
	v_cndmask_b32_e64 v8, v10, v13, s8
	v_lshlrev_b32_e32 v10, 2, v7
	s_cmp_lg_u32 s5, 0
	v_lshlrev_b32_e32 v14, 2, v11
	s_cselect_b32 s55, -1, 0
	s_add_u32 s22, s12, s6
	s_addc_u32 s23, s13, s7
	v_add_co_u32 v19, s31, v11, -1
	s_and_b32 s58, s3, vcc_lo
	v_cmp_ne_u32_e64 s3, 0, v11
	v_cmp_lt_u32_e64 s4, 1, v11
	v_cmp_lt_u32_e64 s5, 3, v11
	;; [unrolled: 1-line block ×4, first 2 shown]
	v_or_b32_e32 v11, 0x400, v0
	s_and_b32 s57, s9, s10
	v_cmp_gt_u32_e64 s9, 0x200, v0
	v_cmp_gt_u32_e64 s10, 0x100, v0
	v_lshl_or_b32 v0, v1, 8, v10
	v_cndmask_b32_e64 v7, v9, v12, s8
	v_add_co_u32 v9, s12, s48, v5
	v_add_co_u32 v51, vcc_lo, v39, 4
	v_cmp_eq_u32_e64 s2, 63, v15
	v_cndmask_b32_e64 v48, v16, v18, s8
	v_cmp_gt_u32_e64 s8, 0x700, v11
	v_mov_b32_e32 v11, s18
	v_or_b32_e32 v41, 0x2400, v14
	v_add_nc_u32_e32 v44, 0x23f8, v14
	v_add_nc_u32_e32 v45, 0x23f0, v14
	;; [unrolled: 1-line block ×4, first 2 shown]
	v_mov_b32_e32 v13, 0
	v_mov_b32_e32 v15, 32
	v_lshl_add_u32 v42, v19, 2, 0x2400
	v_or_b32_e32 v43, 0x2400, v35
	s_add_u32 s59, s24, 8
	v_add_nc_u32_e32 v0, 0x2000, v0
	v_add_co_ci_u32_e64 v10, null, s49, 0, s12
	v_and_or_b32 v50, v35, s11, 0x2000
	v_add_co_ci_u32_e32 v52, vcc_lo, 0, v40, vcc_lo
	v_lshl_or_b32 v53, v1, 2, 0x2400
	v_mov_b32_e32 v14, 0
	v_mov_b32_e32 v16, 0
	;; [unrolled: 1-line block ×4, first 2 shown]
	s_mul_i32 s50, s38, s38
	s_addc_u32 s60, s25, 0
	s_add_u32 s61, s40, -8
	s_addc_u32 s62, s41, -1
	s_lshl_b64 s[40:41], s[38:39], 2
	s_lshl_b64 s[42:43], s[50:51], 2
	;; [unrolled: 1-line block ×3, first 2 shown]
	s_branch .LBB102_15
.LBB102_14:                             ;   in Loop: Header=BB102_15 Depth=1
	s_or_b32 exec_lo, exec_lo, s11
	s_waitcnt_vscnt null, 0x0
	s_barrier
	buffer_gl0_inv
	ds_load_b64 v[13:14], v2 offset:9344
	v_ashrrev_i32_e32 v16, 31, v15
	v_add_co_u32 v11, vcc_lo, v11, v15
	s_waitcnt lgkmcnt(0)
	s_barrier
	s_delay_alu instid0(VALU_DEP_2) | instskip(SKIP_3) | instid1(VALU_DEP_1)
	v_add_co_ci_u32_e32 v12, vcc_lo, v12, v16, vcc_lo
	buffer_gl0_inv
	v_cmp_le_i64_e32 vcc_lo, s[36:37], v[13:14]
	v_add_co_u32 v15, s11, v13, 32
	v_add_co_ci_u32_e64 v16, s11, 0, v14, s11
	s_cbranch_vccnz .LBB102_96
.LBB102_15:                             ; =>This Loop Header: Depth=1
                                        ;     Child Loop BB102_28 Depth 2
                                        ;       Child Loop BB102_43 Depth 3
                                        ;         Child Loop BB102_55 Depth 4
                                        ;         Child Loop BB102_51 Depth 4
                                        ;     Child Loop BB102_65 Depth 2
                                        ;     Child Loop BB102_74 Depth 2
	;; [unrolled: 1-line block ×3, first 2 shown]
	s_and_saveexec_b32 s11, s0
	s_cbranch_execz .LBB102_17
; %bb.16:                               ;   in Loop: Header=BB102_15 Depth=1
	ds_store_b32 v43, v2
.LBB102_17:                             ;   in Loop: Header=BB102_15 Depth=1
	s_or_b32 exec_lo, exec_lo, s11
	ds_store_2addr_stride64_b32 v35, v2, v2 offset1:4
	ds_store_2addr_stride64_b32 v35, v2, v2 offset0:8 offset1:12
	ds_store_b32 v35, v2 offset:4096
	s_and_saveexec_b32 s11, s8
	s_delay_alu instid0(SALU_CYCLE_1)
	s_xor_b32 s11, exec_lo, s11
	s_cbranch_execz .LBB102_23
; %bb.18:                               ;   in Loop: Header=BB102_15 Depth=1
	ds_store_b32 v35, v2 offset:5120
	s_and_saveexec_b32 s12, s9
	s_delay_alu instid0(SALU_CYCLE_1)
	s_xor_b32 s12, exec_lo, s12
	s_cbranch_execz .LBB102_22
; %bb.19:                               ;   in Loop: Header=BB102_15 Depth=1
	;; [unrolled: 6-line block ×3, first 2 shown]
	ds_store_b32 v35, v2 offset:7168
.LBB102_21:                             ;   in Loop: Header=BB102_15 Depth=1
	s_or_b32 exec_lo, exec_lo, s13
.LBB102_22:                             ;   in Loop: Header=BB102_15 Depth=1
	s_delay_alu instid0(SALU_CYCLE_1)
	s_or_b32 exec_lo, exec_lo, s12
.LBB102_23:                             ;   in Loop: Header=BB102_15 Depth=1
	s_delay_alu instid0(SALU_CYCLE_1)
	s_or_b32 exec_lo, exec_lo, s11
	s_and_saveexec_b32 s11, s1
	s_cbranch_execz .LBB102_25
; %bb.24:                               ;   in Loop: Header=BB102_15 Depth=1
	v_dual_mov_b32 v17, s36 :: v_dual_mov_b32 v18, s37
	ds_store_b64 v2, v[17:18] offset:9344
.LBB102_25:                             ;   in Loop: Header=BB102_15 Depth=1
	s_or_b32 exec_lo, exec_lo, s11
	v_dual_mov_b32 v17, s36 :: v_dual_mov_b32 v18, s37
	s_and_not1_b32 vcc_lo, exec_lo, s57
	s_waitcnt lgkmcnt(0)
	s_barrier
	buffer_gl0_inv
	s_cbranch_vccnz .LBB102_60
; %bb.26:                               ;   in Loop: Header=BB102_15 Depth=1
	v_cmp_ne_u64_e64 s11, 0, v[13:14]
	v_dual_mov_b32 v17, s36 :: v_dual_mov_b32 v18, s37
	s_mov_b64 s[16:17], s[34:35]
	s_branch .LBB102_28
.LBB102_27:                             ;   in Loop: Header=BB102_28 Depth=2
	s_or_b32 exec_lo, exec_lo, s13
	s_add_u32 s16, s16, 4
	s_addc_u32 s17, s17, 0
	s_delay_alu instid0(SALU_CYCLE_1) | instskip(NEXT) | instid1(VALU_DEP_1)
	v_cmp_lt_i64_e64 s12, s[16:17], s[44:45]
	s_and_b32 vcc_lo, exec_lo, s12
	s_cbranch_vccz .LBB102_60
.LBB102_28:                             ;   Parent Loop BB102_15 Depth=1
                                        ; =>  This Loop Header: Depth=2
                                        ;       Child Loop BB102_43 Depth 3
                                        ;         Child Loop BB102_55 Depth 4
                                        ;         Child Loop BB102_51 Depth 4
	v_add_co_u32 v19, s12, s16, v1
	s_delay_alu instid0(VALU_DEP_1) | instskip(NEXT) | instid1(VALU_DEP_1)
	v_add_co_ci_u32_e64 v20, null, s17, 0, s12
	s_waitcnt_vscnt null, 0x0
	s_barrier
	buffer_gl0_inv
	v_cmp_gt_i64_e64 s12, s[44:45], v[19:20]
	s_delay_alu instid0(VALU_DEP_1)
	s_and_saveexec_b32 s13, s12
	s_cbranch_execz .LBB102_32
; %bb.29:                               ;   in Loop: Header=BB102_28 Depth=2
	v_mov_b32_e32 v21, 0
	s_and_saveexec_b32 s18, s58
	s_cbranch_execz .LBB102_31
; %bb.30:                               ;   in Loop: Header=BB102_28 Depth=2
	v_mul_lo_u32 v23, v20, s50
	v_mul_lo_u32 v24, v19, s51
	v_mad_u64_u32 v[21:22], null, v19, s50, 0
	s_delay_alu instid0(VALU_DEP_1) | instskip(NEXT) | instid1(VALU_DEP_1)
	v_add3_u32 v22, v22, v24, v23
	v_lshlrev_b64 v[21:22], 2, v[21:22]
	s_delay_alu instid0(VALU_DEP_1) | instskip(NEXT) | instid1(VALU_DEP_2)
	v_add_co_u32 v21, vcc_lo, v4, v21
	v_add_co_ci_u32_e32 v22, vcc_lo, v37, v22, vcc_lo
	global_load_b32 v21, v[21:22], off
.LBB102_31:                             ;   in Loop: Header=BB102_28 Depth=2
	s_or_b32 exec_lo, exec_lo, s18
	s_waitcnt vmcnt(0)
	ds_store_b32 v36, v21
.LBB102_32:                             ;   in Loop: Header=BB102_28 Depth=2
	s_or_b32 exec_lo, exec_lo, s13
	v_mov_b32_e32 v21, 0
	v_lshlrev_b64 v[19:20], 3, v[19:20]
	v_mov_b32_e32 v22, 0
	s_waitcnt lgkmcnt(0)
	s_barrier
	buffer_gl0_inv
	s_and_saveexec_b32 s63, s12
	s_cbranch_execz .LBB102_58
; %bb.33:                               ;   in Loop: Header=BB102_28 Depth=2
	v_add_co_u32 v21, vcc_lo, s20, v19
	v_add_co_ci_u32_e32 v22, vcc_lo, s21, v20, vcc_lo
	s_and_b32 vcc_lo, exec_lo, s11
	global_load_b64 v[23:24], v[21:22], off
	s_cbranch_vccz .LBB102_35
; %bb.34:                               ;   in Loop: Header=BB102_28 Depth=2
	v_add_co_u32 v21, vcc_lo, s46, v19
	v_add_co_ci_u32_e32 v22, vcc_lo, s47, v20, vcc_lo
	s_mov_b32 s13, 0
	global_load_b64 v[21:22], v[21:22], off
	s_branch .LBB102_36
.LBB102_35:                             ;   in Loop: Header=BB102_28 Depth=2
	s_mov_b32 s13, -1
                                        ; implicit-def: $vgpr21_vgpr22
.LBB102_36:                             ;   in Loop: Header=BB102_28 Depth=2
	s_waitcnt vmcnt(0)
	v_sub_co_u32 v23, vcc_lo, v23, s28
	v_subrev_co_ci_u32_e32 v24, vcc_lo, 0, v24, vcc_lo
	s_and_not1_b32 vcc_lo, exec_lo, s13
	s_delay_alu instid0(VALU_DEP_1)
	v_lshlrev_b64 v[23:24], 3, v[23:24]
	s_cbranch_vccnz .LBB102_38
; %bb.37:                               ;   in Loop: Header=BB102_28 Depth=2
	s_delay_alu instid0(VALU_DEP_1) | instskip(NEXT) | instid1(VALU_DEP_2)
	v_add_co_u32 v21, vcc_lo, s24, v23
	v_add_co_ci_u32_e32 v22, vcc_lo, s25, v24, vcc_lo
	global_load_b64 v[21:22], v[21:22], off
	s_waitcnt vmcnt(0)
	v_sub_co_u32 v21, vcc_lo, v21, s29
	v_subrev_co_ci_u32_e32 v22, vcc_lo, 0, v22, vcc_lo
.LBB102_38:                             ;   in Loop: Header=BB102_28 Depth=2
	s_delay_alu instid0(VALU_DEP_1) | instskip(NEXT) | instid1(VALU_DEP_2)
	v_add_co_u32 v23, vcc_lo, s59, v23
	v_add_co_ci_u32_e32 v24, vcc_lo, s60, v24, vcc_lo
	s_mov_b32 s64, exec_lo
	global_load_b64 v[23:24], v[23:24], off
	s_waitcnt vmcnt(0)
	v_sub_co_u32 v23, vcc_lo, v23, s29
	v_subrev_co_ci_u32_e32 v24, vcc_lo, 0, v24, vcc_lo
	s_delay_alu instid0(VALU_DEP_1)
	v_cmpx_lt_i64_e64 v[21:22], v[23:24]
	s_cbranch_execz .LBB102_57
; %bb.39:                               ;   in Loop: Header=BB102_28 Depth=2
	v_mad_u64_u32 v[29:30], null, s40, v21, v[5:6]
	v_mul_lo_u32 v27, s40, v22
	v_mul_lo_u32 v28, s41, v21
	v_mad_u64_u32 v[25:26], null, s42, v21, v[9:10]
	v_mul_lo_u32 v31, s42, v22
	v_mul_lo_u32 v32, s43, v21
	;; [unrolled: 1-line block ×3, first 2 shown]
	s_mov_b32 s65, 0
	v_add3_u32 v30, v28, v30, v27
	v_mad_u64_u32 v[27:28], null, s38, v29, s[48:49]
	s_delay_alu instid0(VALU_DEP_4) | instskip(NEXT) | instid1(VALU_DEP_3)
	v_add3_u32 v26, v32, v26, v31
	v_mul_lo_u32 v29, s38, v30
	s_delay_alu instid0(VALU_DEP_1)
	v_add3_u32 v28, v55, v28, v29
	v_dual_mov_b32 v30, v22 :: v_dual_mov_b32 v29, v21
	s_branch .LBB102_43
.LBB102_40:                             ;   in Loop: Header=BB102_43 Depth=3
	s_delay_alu instid0(VALU_DEP_1) | instskip(NEXT) | instid1(VALU_DEP_1)
	v_dual_mul_f32 v32, v33, v56 :: v_dual_lshlrev_b32 v31, 6, v55
	v_or3_b32 v31, v31, v38, v3
	s_delay_alu instid0(VALU_DEP_1)
	v_lshlrev_b32_e32 v31, 2, v31
	ds_add_f32 v31, v32
.LBB102_41:                             ;   in Loop: Header=BB102_43 Depth=3
	s_or_b32 exec_lo, exec_lo, s67
	s_delay_alu instid0(SALU_CYCLE_1)
	s_or_b32 s13, s13, exec_lo
.LBB102_42:                             ;   in Loop: Header=BB102_43 Depth=3
	s_or_b32 exec_lo, exec_lo, s66
	v_add_co_u32 v21, vcc_lo, v21, 1
	v_add_co_ci_u32_e32 v22, vcc_lo, 0, v22, vcc_lo
	s_xor_b32 s18, s13, -1
	v_add_co_u32 v27, s13, v27, s42
	s_delay_alu instid0(VALU_DEP_2)
	v_cmp_ge_i64_e32 vcc_lo, v[21:22], v[23:24]
	v_add_co_ci_u32_e64 v28, s13, s43, v28, s13
	s_or_b32 s13, s18, vcc_lo
	v_add_co_u32 v25, vcc_lo, v25, s42
	v_add_co_ci_u32_e32 v26, vcc_lo, s43, v26, vcc_lo
	s_and_b32 s13, exec_lo, s13
	s_delay_alu instid0(SALU_CYCLE_1) | instskip(NEXT) | instid1(SALU_CYCLE_1)
	s_or_b32 s65, s13, s65
	s_and_not1_b32 exec_lo, exec_lo, s65
	s_cbranch_execz .LBB102_56
.LBB102_43:                             ;   Parent Loop BB102_15 Depth=1
                                        ;     Parent Loop BB102_28 Depth=2
                                        ; =>    This Loop Header: Depth=3
                                        ;         Child Loop BB102_55 Depth 4
                                        ;         Child Loop BB102_51 Depth 4
	v_lshlrev_b64 v[31:32], 3, v[21:22]
	s_delay_alu instid0(VALU_DEP_1) | instskip(NEXT) | instid1(VALU_DEP_2)
	v_add_co_u32 v31, vcc_lo, s26, v31
	v_add_co_ci_u32_e32 v32, vcc_lo, s27, v32, vcc_lo
	global_load_b64 v[31:32], v[31:32], off
	s_waitcnt vmcnt(0)
	v_sub_co_u32 v31, vcc_lo, v31, s29
	v_subrev_co_ci_u32_e32 v32, vcc_lo, 0, v32, vcc_lo
	s_delay_alu instid0(VALU_DEP_1) | instskip(SKIP_1) | instid1(VALU_DEP_2)
	v_cmp_lt_i64_e64 s13, v[31:32], v[13:14]
	v_cmp_ge_i64_e32 vcc_lo, v[31:32], v[15:16]
	s_or_b32 s18, s13, vcc_lo
                                        ; implicit-def: $sgpr13
	s_delay_alu instid0(SALU_CYCLE_1) | instskip(NEXT) | instid1(SALU_CYCLE_1)
	s_and_saveexec_b32 s19, s18
	s_xor_b32 s18, exec_lo, s19
	s_cbranch_execz .LBB102_47
; %bb.44:                               ;   in Loop: Header=BB102_43 Depth=3
	s_mov_b32 s19, -1
	s_and_saveexec_b32 s13, vcc_lo
; %bb.45:                               ;   in Loop: Header=BB102_43 Depth=3
	v_cmp_lt_i64_e32 vcc_lo, v[31:32], v[17:18]
	v_dual_mov_b32 v30, v22 :: v_dual_mov_b32 v29, v21
	s_xor_b32 s19, exec_lo, -1
	v_dual_cndmask_b32 v18, v18, v32 :: v_dual_cndmask_b32 v17, v17, v31
; %bb.46:                               ;   in Loop: Header=BB102_43 Depth=3
	s_or_b32 exec_lo, exec_lo, s13
	s_delay_alu instid0(SALU_CYCLE_1)
	s_and_b32 s13, s19, exec_lo
                                        ; implicit-def: $vgpr31_vgpr32
.LBB102_47:                             ;   in Loop: Header=BB102_43 Depth=3
	s_and_not1_saveexec_b32 s66, s18
	s_cbranch_execz .LBB102_42
; %bb.48:                               ;   in Loop: Header=BB102_43 Depth=3
	v_sub_nc_u32_e32 v55, v31, v13
	s_delay_alu instid0(VALU_DEP_1)
	v_lshlrev_b32_e32 v31, 2, v55
	ds_store_b32 v31, v54 offset:9216
	s_and_saveexec_b32 s67, s54
	s_cbranch_execz .LBB102_41
; %bb.49:                               ;   in Loop: Header=BB102_43 Depth=3
	s_and_not1_b32 vcc_lo, exec_lo, s55
	s_cbranch_vccnz .LBB102_53
; %bb.50:                               ;   in Loop: Header=BB102_43 Depth=3
	v_dual_mov_b32 v56, 0 :: v_dual_mov_b32 v57, v0
	v_dual_mov_b32 v32, v28 :: v_dual_mov_b32 v31, v27
	s_mov_b64 s[18:19], s[38:39]
.LBB102_51:                             ;   Parent Loop BB102_15 Depth=1
                                        ;     Parent Loop BB102_28 Depth=2
                                        ;       Parent Loop BB102_43 Depth=3
                                        ; =>      This Inner Loop Header: Depth=4
	global_load_b32 v58, v[31:32], off
	ds_load_b32 v59, v57
	v_add_co_u32 v31, vcc_lo, v31, 4
	v_add_co_ci_u32_e32 v32, vcc_lo, 0, v32, vcc_lo
	s_add_u32 s18, s18, -1
	v_add_nc_u32_e32 v57, 32, v57
	s_addc_u32 s19, s19, -1
	s_delay_alu instid0(SALU_CYCLE_1)
	s_cmp_lg_u64 s[18:19], 0
	s_waitcnt vmcnt(0) lgkmcnt(0)
	v_fmac_f32_e32 v56, v59, v58
	s_cbranch_scc1 .LBB102_51
; %bb.52:                               ;   in Loop: Header=BB102_43 Depth=3
	s_branch .LBB102_40
.LBB102_53:                             ;   in Loop: Header=BB102_43 Depth=3
                                        ; implicit-def: $vgpr56
	s_cbranch_execz .LBB102_40
; %bb.54:                               ;   in Loop: Header=BB102_43 Depth=3
	v_dual_mov_b32 v56, 0 :: v_dual_mov_b32 v57, v50
	v_dual_mov_b32 v32, v26 :: v_dual_mov_b32 v31, v25
	s_mov_b64 s[18:19], s[38:39]
.LBB102_55:                             ;   Parent Loop BB102_15 Depth=1
                                        ;     Parent Loop BB102_28 Depth=2
                                        ;       Parent Loop BB102_43 Depth=3
                                        ; =>      This Inner Loop Header: Depth=4
	global_load_b32 v58, v[31:32], off
	ds_load_b32 v59, v57
	v_add_co_u32 v31, vcc_lo, v31, s40
	s_add_u32 s18, s18, -1
	v_add_co_ci_u32_e32 v32, vcc_lo, s41, v32, vcc_lo
	v_add_nc_u32_e32 v57, 4, v57
	s_addc_u32 s19, s19, -1
	s_delay_alu instid0(SALU_CYCLE_1)
	s_cmp_eq_u64 s[18:19], 0
	s_waitcnt vmcnt(0) lgkmcnt(0)
	v_fmac_f32_e32 v56, v59, v58
	s_cbranch_scc0 .LBB102_55
	s_branch .LBB102_40
.LBB102_56:                             ;   in Loop: Header=BB102_28 Depth=2
	s_or_b32 exec_lo, exec_lo, s65
	v_dual_mov_b32 v21, v29 :: v_dual_mov_b32 v22, v30
.LBB102_57:                             ;   in Loop: Header=BB102_28 Depth=2
	s_or_b32 exec_lo, exec_lo, s64
.LBB102_58:                             ;   in Loop: Header=BB102_28 Depth=2
	s_delay_alu instid0(SALU_CYCLE_1)
	s_or_b32 exec_lo, exec_lo, s63
	s_waitcnt lgkmcnt(0)
	s_barrier
	buffer_gl0_inv
	s_and_saveexec_b32 s13, s12
	s_cbranch_execz .LBB102_27
; %bb.59:                               ;   in Loop: Header=BB102_28 Depth=2
	v_add_co_u32 v19, vcc_lo, s46, v19
	v_add_co_ci_u32_e32 v20, vcc_lo, s47, v20, vcc_lo
	global_store_b64 v[19:20], v[21:22], off
	s_branch .LBB102_27
.LBB102_60:                             ;   in Loop: Header=BB102_15 Depth=1
	s_and_not1_b32 vcc_lo, exec_lo, s33
	s_cbranch_vccnz .LBB102_72
; %bb.61:                               ;   in Loop: Header=BB102_15 Depth=1
	s_load_b128 s[16:19], s[22:23], 0x0
	s_waitcnt lgkmcnt(0)
	v_add_co_u32 v21, vcc_lo, s16, v39
	v_add_co_ci_u32_e32 v22, vcc_lo, s17, v40, vcc_lo
	s_sub_u32 s12, s18, s56
	s_subb_u32 s13, s19, 0
	s_mov_b32 s18, exec_lo
	s_delay_alu instid0(VALU_DEP_1)
	v_cmpx_gt_i64_e64 s[12:13], v[21:22]
	s_cbranch_execz .LBB102_71
; %bb.62:                               ;   in Loop: Header=BB102_15 Depth=1
	v_lshlrev_b64 v[23:24], 3, v[21:22]
	v_mad_u64_u32 v[19:20], null, s42, v21, v[7:8]
	v_mul_lo_u32 v25, s42, v22
	v_mul_lo_u32 v26, s43, v21
	s_delay_alu instid0(VALU_DEP_4) | instskip(SKIP_2) | instid1(VALU_DEP_4)
	v_add_co_u32 v21, vcc_lo, s14, v23
	v_add_co_ci_u32_e32 v22, vcc_lo, s15, v24, vcc_lo
	v_add_co_u32 v23, vcc_lo, v51, s16
	v_add3_u32 v20, v26, v20, v25
	v_add_co_ci_u32_e32 v24, vcc_lo, s17, v52, vcc_lo
	s_mov_b32 s16, 0
	s_branch .LBB102_65
.LBB102_63:                             ;   in Loop: Header=BB102_65 Depth=2
	s_or_b32 exec_lo, exec_lo, s19
	s_delay_alu instid0(SALU_CYCLE_1)
	s_or_b32 s11, s11, exec_lo
.LBB102_64:                             ;   in Loop: Header=BB102_65 Depth=2
	s_or_b32 exec_lo, exec_lo, s17
	v_cmp_le_i64_e32 vcc_lo, s[12:13], v[23:24]
	s_xor_b32 s17, s11, -1
	v_add_co_u32 v21, s11, v21, 32
	s_delay_alu instid0(VALU_DEP_1)
	v_add_co_ci_u32_e64 v22, s11, 0, v22, s11
	s_or_b32 s11, s17, vcc_lo
	v_add_co_u32 v19, vcc_lo, v19, s52
	v_add_co_ci_u32_e32 v20, vcc_lo, s53, v20, vcc_lo
	v_add_co_u32 v23, vcc_lo, v23, 4
	v_add_co_ci_u32_e32 v24, vcc_lo, 0, v24, vcc_lo
	s_and_b32 s11, exec_lo, s11
	s_delay_alu instid0(SALU_CYCLE_1) | instskip(NEXT) | instid1(SALU_CYCLE_1)
	s_or_b32 s16, s11, s16
	s_and_not1_b32 exec_lo, exec_lo, s16
	s_cbranch_execz .LBB102_70
.LBB102_65:                             ;   Parent Loop BB102_15 Depth=1
                                        ; =>  This Inner Loop Header: Depth=2
	global_load_b64 v[25:26], v[21:22], off
	s_waitcnt vmcnt(0)
	v_sub_co_u32 v25, vcc_lo, v25, s56
	v_subrev_co_ci_u32_e32 v26, vcc_lo, 0, v26, vcc_lo
	s_delay_alu instid0(VALU_DEP_1)
	v_cmp_lt_i64_e32 vcc_lo, v[25:26], v[15:16]
	v_cmp_lt_i64_e64 s11, v[25:26], v[13:14]
	s_xor_b32 s17, vcc_lo, -1
	s_delay_alu instid0(VALU_DEP_1) | instid1(SALU_CYCLE_1)
	s_or_b32 s17, s11, s17
                                        ; implicit-def: $sgpr11
	s_delay_alu instid0(SALU_CYCLE_1) | instskip(NEXT) | instid1(SALU_CYCLE_1)
	s_and_saveexec_b32 s19, s17
	s_xor_b32 s17, exec_lo, s19
; %bb.66:                               ;   in Loop: Header=BB102_65 Depth=2
	v_cmp_lt_i64_e64 s11, v[25:26], v[17:18]
	s_delay_alu instid0(VALU_DEP_1) | instskip(SKIP_2) | instid1(VALU_DEP_1)
	v_cndmask_b32_e64 v25, v17, v25, s11
	v_cndmask_b32_e64 v26, v18, v26, s11
	s_and_b32 s11, vcc_lo, exec_lo
	v_dual_cndmask_b32 v17, v25, v17 :: v_dual_cndmask_b32 v18, v26, v18
                                        ; implicit-def: $vgpr25
; %bb.67:                               ;   in Loop: Header=BB102_65 Depth=2
	s_and_not1_saveexec_b32 s17, s17
	s_cbranch_execz .LBB102_64
; %bb.68:                               ;   in Loop: Header=BB102_65 Depth=2
	v_sub_nc_u32_e32 v25, v25, v13
	s_delay_alu instid0(VALU_DEP_1)
	v_lshlrev_b32_e32 v26, 2, v25
	ds_store_b32 v26, v54 offset:9216
	s_and_saveexec_b32 s19, s58
	s_cbranch_execz .LBB102_63
; %bb.69:                               ;   in Loop: Header=BB102_65 Depth=2
	global_load_b32 v26, v[19:20], off
	s_waitcnt vmcnt(0)
	v_dual_mul_f32 v26, v34, v26 :: v_dual_lshlrev_b32 v25, 6, v25
	s_delay_alu instid0(VALU_DEP_1) | instskip(NEXT) | instid1(VALU_DEP_1)
	v_or3_b32 v25, v25, v38, v3
	v_lshlrev_b32_e32 v25, 2, v25
	ds_add_f32 v25, v26
	s_branch .LBB102_63
.LBB102_70:                             ;   in Loop: Header=BB102_15 Depth=1
	s_or_b32 exec_lo, exec_lo, s16
.LBB102_71:                             ;   in Loop: Header=BB102_15 Depth=1
	s_delay_alu instid0(SALU_CYCLE_1)
	s_or_b32 exec_lo, exec_lo, s18
.LBB102_72:                             ;   in Loop: Header=BB102_15 Depth=1
	s_and_saveexec_b32 s11, s2
	s_cbranch_execz .LBB102_77
; %bb.73:                               ;   in Loop: Header=BB102_15 Depth=1
	s_mov_b32 s16, exec_lo
	s_mov_b64 s[12:13], -1
.LBB102_74:                             ;   Parent Loop BB102_15 Depth=1
                                        ; =>  This Inner Loop Header: Depth=2
	s_ctz_i32_b32 s17, s16
	s_delay_alu instid0(SALU_CYCLE_1) | instskip(SKIP_1) | instid1(VALU_DEP_1)
	v_readlane_b32 s19, v18, s17
	v_readlane_b32 s18, v17, s17
	v_cmp_lt_u64_e64 s63, s[12:13], s[18:19]
	s_delay_alu instid0(VALU_DEP_1) | instskip(SKIP_3) | instid1(SALU_CYCLE_1)
	s_and_b32 s63, s63, exec_lo
	s_cselect_b32 s13, s13, s19
	s_cselect_b32 s12, s12, s18
	s_lshl_b32 s17, 1, s17
	s_and_not1_b32 s16, s16, s17
	s_delay_alu instid0(SALU_CYCLE_1)
	s_cmp_lg_u32 s16, 0
	s_cbranch_scc1 .LBB102_74
; %bb.75:                               ;   in Loop: Header=BB102_15 Depth=1
	v_mbcnt_lo_u32_b32 v15, exec_lo, 0
	s_mov_b32 s16, exec_lo
	s_delay_alu instid0(VALU_DEP_1)
	v_cmpx_eq_u32_e32 0, v15
	s_xor_b32 s16, exec_lo, s16
	s_cbranch_execz .LBB102_77
; %bb.76:                               ;   in Loop: Header=BB102_15 Depth=1
	v_dual_mov_b32 v16, s13 :: v_dual_mov_b32 v15, s12
	ds_min_u64 v2, v[15:16] offset:9344
.LBB102_77:                             ;   in Loop: Header=BB102_15 Depth=1
	s_or_b32 exec_lo, exec_lo, s11
	s_waitcnt lgkmcnt(0)
	s_waitcnt_vscnt null, 0x0
	s_barrier
	buffer_gl0_inv
	ds_load_b32 v16, v41
	s_waitcnt lgkmcnt(0)
	s_barrier
	buffer_gl0_inv
	s_and_saveexec_b32 s11, s3
	s_cbranch_execz .LBB102_79
; %bb.78:                               ;   in Loop: Header=BB102_15 Depth=1
	ds_load_b32 v15, v42
	s_waitcnt lgkmcnt(0)
	v_add_nc_u32_e32 v16, v15, v16
.LBB102_79:                             ;   in Loop: Header=BB102_15 Depth=1
	s_or_b32 exec_lo, exec_lo, s11
	s_barrier
	buffer_gl0_inv
	ds_store_b32 v41, v16
	s_waitcnt lgkmcnt(0)
	s_barrier
	buffer_gl0_inv
	s_and_saveexec_b32 s11, s4
	s_cbranch_execz .LBB102_81
; %bb.80:                               ;   in Loop: Header=BB102_15 Depth=1
	ds_load_b32 v15, v44
	s_waitcnt lgkmcnt(0)
	v_add_nc_u32_e32 v16, v15, v16
.LBB102_81:                             ;   in Loop: Header=BB102_15 Depth=1
	s_or_b32 exec_lo, exec_lo, s11
	s_barrier
	buffer_gl0_inv
	ds_store_b32 v41, v16
	;; [unrolled: 14-line block ×5, first 2 shown]
	s_waitcnt lgkmcnt(0)
	s_barrier
	buffer_gl0_inv
	ds_load_b32 v15, v2 offset:9340
	v_mov_b32_e32 v17, 0
	s_and_saveexec_b32 s11, s31
	s_cbranch_execz .LBB102_89
; %bb.88:                               ;   in Loop: Header=BB102_15 Depth=1
	ds_load_b32 v17, v42
.LBB102_89:                             ;   in Loop: Header=BB102_15 Depth=1
	s_or_b32 exec_lo, exec_lo, s11
	s_waitcnt lgkmcnt(0)
	v_cmp_eq_u32_e32 vcc_lo, v16, v17
	s_barrier
	buffer_gl0_inv
	s_and_b32 s12, s31, vcc_lo
	s_delay_alu instid0(SALU_CYCLE_1)
	s_and_saveexec_b32 s11, s12
	s_cbranch_execz .LBB102_91
; %bb.90:                               ;   in Loop: Header=BB102_15 Depth=1
	ds_store_b32 v41, v2
.LBB102_91:                             ;   in Loop: Header=BB102_15 Depth=1
	s_or_b32 exec_lo, exec_lo, s11
	v_add_co_u32 v16, vcc_lo, v11, -1
	v_add_co_ci_u32_e32 v17, vcc_lo, -1, v12, vcc_lo
	v_add_co_u32 v18, vcc_lo, s30, v13
	v_add_co_ci_u32_e32 v19, vcc_lo, 0, v14, vcc_lo
	v_dual_mov_b32 v20, v53 :: v_dual_mov_b32 v21, v35
	v_dual_mov_b32 v14, v2 :: v_dual_mov_b32 v13, v1
	s_mov_b32 s11, 0
	s_waitcnt lgkmcnt(0)
	s_barrier
	buffer_gl0_inv
	s_branch .LBB102_93
.LBB102_92:                             ;   in Loop: Header=BB102_93 Depth=2
	s_or_b32 exec_lo, exec_lo, s12
	v_add_co_u32 v13, vcc_lo, v13, 4
	v_add_co_ci_u32_e32 v14, vcc_lo, 0, v14, vcc_lo
	v_add_nc_u32_e32 v21, 0x400, v21
	s_delay_alu instid0(VALU_DEP_3) | instskip(SKIP_1) | instid1(VALU_DEP_2)
	v_add_nc_u32_e32 v22, -4, v13
	v_add_nc_u32_e32 v20, 16, v20
	v_cmp_lt_u32_e32 vcc_lo, 27, v22
	s_or_b32 s11, vcc_lo, s11
	s_delay_alu instid0(SALU_CYCLE_1)
	s_and_not1_b32 exec_lo, exec_lo, s11
	s_cbranch_execz .LBB102_14
.LBB102_93:                             ;   Parent Loop BB102_15 Depth=1
                                        ; =>  This Inner Loop Header: Depth=2
	ds_load_b32 v22, v20
	s_mov_b32 s12, exec_lo
	s_waitcnt lgkmcnt(0)
	v_cmpx_ne_u32_e32 0, v22
	s_cbranch_execz .LBB102_92
; %bb.94:                               ;   in Loop: Header=BB102_93 Depth=2
	v_ashrrev_i32_e32 v23, 31, v22
	v_add_co_u32 v24, vcc_lo, v11, v22
	s_delay_alu instid0(VALU_DEP_2) | instskip(SKIP_2) | instid1(VALU_DEP_3)
	v_add_co_ci_u32_e32 v25, vcc_lo, v12, v23, vcc_lo
	v_add_co_u32 v26, vcc_lo, v18, v13
	v_add_co_ci_u32_e32 v27, vcc_lo, v19, v14, vcc_lo
	v_lshlrev_b64 v[24:25], 3, v[24:25]
	s_delay_alu instid0(VALU_DEP_1) | instskip(NEXT) | instid1(VALU_DEP_2)
	v_add_co_u32 v24, vcc_lo, s61, v24
	v_add_co_ci_u32_e32 v25, vcc_lo, s62, v25, vcc_lo
	global_store_b64 v[24:25], v[26:27], off
	s_and_b32 exec_lo, exec_lo, s58
	s_cbranch_execz .LBB102_92
; %bb.95:                               ;   in Loop: Header=BB102_93 Depth=2
	v_add_co_u32 v24, vcc_lo, v16, v22
	v_add_co_ci_u32_e32 v22, vcc_lo, v17, v23, vcc_lo
	s_delay_alu instid0(VALU_DEP_2) | instskip(NEXT) | instid1(VALU_DEP_2)
	v_mul_lo_u32 v26, v24, s51
	v_mul_lo_u32 v25, v22, s50
	v_mad_u64_u32 v[22:23], null, v24, s50, 0
	ds_load_b32 v24, v21
	v_add3_u32 v23, v23, v26, v25
	s_delay_alu instid0(VALU_DEP_1) | instskip(NEXT) | instid1(VALU_DEP_1)
	v_lshlrev_b64 v[22:23], 2, v[22:23]
	v_add_co_u32 v22, vcc_lo, v49, v22
	s_delay_alu instid0(VALU_DEP_2)
	v_add_co_ci_u32_e32 v23, vcc_lo, v48, v23, vcc_lo
	s_waitcnt lgkmcnt(0)
	global_store_b32 v[22:23], v24, off
	s_branch .LBB102_92
.LBB102_96:
	s_endpgm
	.section	.rodata,"a",@progbits
	.p2align	6, 0x0
	.amdhsa_kernel _ZN9rocsparseL38bsrgemm_block_per_row_atomic_multipassILj256ELj32ELj8EllfEEv20rocsparse_direction_T3_S2_PKS2_S4_NS_24const_host_device_scalarIT4_EEPKT2_S4_PKS6_SA_S4_SC_S7_SA_S4_SC_SA_PS2_PS6_PS8_21rocsparse_index_base_SG_SG_SG_bbb
		.amdhsa_group_segment_fixed_size 9352
		.amdhsa_private_segment_fixed_size 0
		.amdhsa_kernarg_size 180
		.amdhsa_user_sgpr_count 15
		.amdhsa_user_sgpr_dispatch_ptr 0
		.amdhsa_user_sgpr_queue_ptr 0
		.amdhsa_user_sgpr_kernarg_segment_ptr 1
		.amdhsa_user_sgpr_dispatch_id 0
		.amdhsa_user_sgpr_private_segment_size 0
		.amdhsa_wavefront_size32 1
		.amdhsa_uses_dynamic_stack 0
		.amdhsa_enable_private_segment 0
		.amdhsa_system_sgpr_workgroup_id_x 1
		.amdhsa_system_sgpr_workgroup_id_y 0
		.amdhsa_system_sgpr_workgroup_id_z 0
		.amdhsa_system_sgpr_workgroup_info 0
		.amdhsa_system_vgpr_workitem_id 0
		.amdhsa_next_free_vgpr 60
		.amdhsa_next_free_sgpr 68
		.amdhsa_reserve_vcc 1
		.amdhsa_float_round_mode_32 0
		.amdhsa_float_round_mode_16_64 0
		.amdhsa_float_denorm_mode_32 3
		.amdhsa_float_denorm_mode_16_64 3
		.amdhsa_dx10_clamp 1
		.amdhsa_ieee_mode 1
		.amdhsa_fp16_overflow 0
		.amdhsa_workgroup_processor_mode 1
		.amdhsa_memory_ordered 1
		.amdhsa_forward_progress 0
		.amdhsa_shared_vgpr_count 0
		.amdhsa_exception_fp_ieee_invalid_op 0
		.amdhsa_exception_fp_denorm_src 0
		.amdhsa_exception_fp_ieee_div_zero 0
		.amdhsa_exception_fp_ieee_overflow 0
		.amdhsa_exception_fp_ieee_underflow 0
		.amdhsa_exception_fp_ieee_inexact 0
		.amdhsa_exception_int_div_zero 0
	.end_amdhsa_kernel
	.section	.text._ZN9rocsparseL38bsrgemm_block_per_row_atomic_multipassILj256ELj32ELj8EllfEEv20rocsparse_direction_T3_S2_PKS2_S4_NS_24const_host_device_scalarIT4_EEPKT2_S4_PKS6_SA_S4_SC_S7_SA_S4_SC_SA_PS2_PS6_PS8_21rocsparse_index_base_SG_SG_SG_bbb,"axG",@progbits,_ZN9rocsparseL38bsrgemm_block_per_row_atomic_multipassILj256ELj32ELj8EllfEEv20rocsparse_direction_T3_S2_PKS2_S4_NS_24const_host_device_scalarIT4_EEPKT2_S4_PKS6_SA_S4_SC_S7_SA_S4_SC_SA_PS2_PS6_PS8_21rocsparse_index_base_SG_SG_SG_bbb,comdat
.Lfunc_end102:
	.size	_ZN9rocsparseL38bsrgemm_block_per_row_atomic_multipassILj256ELj32ELj8EllfEEv20rocsparse_direction_T3_S2_PKS2_S4_NS_24const_host_device_scalarIT4_EEPKT2_S4_PKS6_SA_S4_SC_S7_SA_S4_SC_SA_PS2_PS6_PS8_21rocsparse_index_base_SG_SG_SG_bbb, .Lfunc_end102-_ZN9rocsparseL38bsrgemm_block_per_row_atomic_multipassILj256ELj32ELj8EllfEEv20rocsparse_direction_T3_S2_PKS2_S4_NS_24const_host_device_scalarIT4_EEPKT2_S4_PKS6_SA_S4_SC_S7_SA_S4_SC_SA_PS2_PS6_PS8_21rocsparse_index_base_SG_SG_SG_bbb
                                        ; -- End function
	.section	.AMDGPU.csdata,"",@progbits
; Kernel info:
; codeLenInByte = 4040
; NumSgprs: 70
; NumVgprs: 60
; ScratchSize: 0
; MemoryBound: 0
; FloatMode: 240
; IeeeMode: 1
; LDSByteSize: 9352 bytes/workgroup (compile time only)
; SGPRBlocks: 8
; VGPRBlocks: 7
; NumSGPRsForWavesPerEU: 70
; NumVGPRsForWavesPerEU: 60
; Occupancy: 16
; WaveLimiterHint : 1
; COMPUTE_PGM_RSRC2:SCRATCH_EN: 0
; COMPUTE_PGM_RSRC2:USER_SGPR: 15
; COMPUTE_PGM_RSRC2:TRAP_HANDLER: 0
; COMPUTE_PGM_RSRC2:TGID_X_EN: 1
; COMPUTE_PGM_RSRC2:TGID_Y_EN: 0
; COMPUTE_PGM_RSRC2:TGID_Z_EN: 0
; COMPUTE_PGM_RSRC2:TIDIG_COMP_CNT: 0
	.section	.text._ZN9rocsparseL31bsrgemm_block_per_row_multipassILj256ELj8ELj16EllfEEv20rocsparse_direction_T3_S2_PKS2_S4_NS_24const_host_device_scalarIT4_EEPKT2_S4_PKS6_SA_S4_SC_S7_SA_S4_SC_SA_PS2_PS6_PS8_21rocsparse_index_base_SG_SG_SG_bbb,"axG",@progbits,_ZN9rocsparseL31bsrgemm_block_per_row_multipassILj256ELj8ELj16EllfEEv20rocsparse_direction_T3_S2_PKS2_S4_NS_24const_host_device_scalarIT4_EEPKT2_S4_PKS6_SA_S4_SC_S7_SA_S4_SC_SA_PS2_PS6_PS8_21rocsparse_index_base_SG_SG_SG_bbb,comdat
	.globl	_ZN9rocsparseL31bsrgemm_block_per_row_multipassILj256ELj8ELj16EllfEEv20rocsparse_direction_T3_S2_PKS2_S4_NS_24const_host_device_scalarIT4_EEPKT2_S4_PKS6_SA_S4_SC_S7_SA_S4_SC_SA_PS2_PS6_PS8_21rocsparse_index_base_SG_SG_SG_bbb ; -- Begin function _ZN9rocsparseL31bsrgemm_block_per_row_multipassILj256ELj8ELj16EllfEEv20rocsparse_direction_T3_S2_PKS2_S4_NS_24const_host_device_scalarIT4_EEPKT2_S4_PKS6_SA_S4_SC_S7_SA_S4_SC_SA_PS2_PS6_PS8_21rocsparse_index_base_SG_SG_SG_bbb
	.p2align	8
	.type	_ZN9rocsparseL31bsrgemm_block_per_row_multipassILj256ELj8ELj16EllfEEv20rocsparse_direction_T3_S2_PKS2_S4_NS_24const_host_device_scalarIT4_EEPKT2_S4_PKS6_SA_S4_SC_S7_SA_S4_SC_SA_PS2_PS6_PS8_21rocsparse_index_base_SG_SG_SG_bbb,@function
_ZN9rocsparseL31bsrgemm_block_per_row_multipassILj256ELj8ELj16EllfEEv20rocsparse_direction_T3_S2_PKS2_S4_NS_24const_host_device_scalarIT4_EEPKT2_S4_PKS6_SA_S4_SC_S7_SA_S4_SC_SA_PS2_PS6_PS8_21rocsparse_index_base_SG_SG_SG_bbb: ; @_ZN9rocsparseL31bsrgemm_block_per_row_multipassILj256ELj8ELj16EllfEEv20rocsparse_direction_T3_S2_PKS2_S4_NS_24const_host_device_scalarIT4_EEPKT2_S4_PKS6_SA_S4_SC_S7_SA_S4_SC_SA_PS2_PS6_PS8_21rocsparse_index_base_SG_SG_SG_bbb
; %bb.0:
	s_clause 0x3
	s_load_b32 s3, s[0:1], 0xb0
	s_load_b128 s[24:27], s[0:1], 0xa0
	s_load_b64 s[6:7], s[0:1], 0x28
	s_load_b64 s[4:5], s[0:1], 0x60
	s_mov_b32 s2, s15
	s_waitcnt lgkmcnt(0)
	s_bitcmp1_b32 s3, 0
	s_cselect_b32 s48, -1, 0
	s_bitcmp1_b32 s3, 16
	s_cselect_b32 s8, -1, 0
	s_xor_b32 s9, s48, -1
	s_delay_alu instid0(SALU_CYCLE_1) | instskip(NEXT) | instid1(SALU_CYCLE_1)
	s_or_b32 s9, s9, s8
	s_and_b32 vcc_lo, exec_lo, s9
	s_cbranch_vccnz .LBB103_2
; %bb.1:
	s_load_b32 s6, s[6:7], 0x0
	s_waitcnt lgkmcnt(0)
	v_mov_b32_e32 v26, s6
	s_branch .LBB103_3
.LBB103_2:
	v_cndmask_b32_e64 v26, 0, s6, s48
.LBB103_3:
	s_load_b64 s[6:7], s[0:1], 0x20
	s_bitcmp1_b32 s3, 8
	s_cselect_b32 s33, -1, 0
	s_delay_alu instid0(SALU_CYCLE_1) | instskip(NEXT) | instid1(SALU_CYCLE_1)
	s_xor_b32 s3, s33, -1
	s_or_b32 s3, s3, s8
	s_delay_alu instid0(SALU_CYCLE_1)
	s_and_b32 vcc_lo, exec_lo, s3
	s_cbranch_vccnz .LBB103_5
; %bb.4:
	s_load_b32 s3, s[4:5], 0x0
	s_waitcnt lgkmcnt(0)
	v_mov_b32_e32 v27, s3
	s_branch .LBB103_6
.LBB103_5:
	v_cndmask_b32_e64 v27, 0, s4, s33
.LBB103_6:
	s_load_b64 s[4:5], s[0:1], 0x30
	s_mov_b64 s[34:35], 0
	s_waitcnt lgkmcnt(0)
	s_cmp_eq_u64 s[6:7], 0
	s_mov_b32 s3, 0
	s_cbranch_scc1 .LBB103_8
; %bb.7:
	s_load_b64 s[8:9], s[0:1], 0x18
	s_waitcnt lgkmcnt(0)
	s_load_b64 s[8:9], s[8:9], 0x0
	s_waitcnt lgkmcnt(0)
	s_lshl_b64 s[8:9], s[8:9], 3
	s_delay_alu instid0(SALU_CYCLE_1) | instskip(SKIP_2) | instid1(SALU_CYCLE_1)
	s_add_u32 s6, s6, s8
	s_addc_u32 s7, s7, s9
	s_lshl_b64 s[2:3], s[2:3], 3
	s_add_u32 s2, s6, s2
	s_addc_u32 s3, s7, s3
	s_load_b64 s[2:3], s[2:3], 0x0
.LBB103_8:
	s_and_not1_b32 vcc_lo, exec_lo, s48
	s_cbranch_vccz .LBB103_11
; %bb.9:
	s_and_not1_b32 vcc_lo, exec_lo, s48
	s_mov_b64 s[40:41], 0
	s_cbranch_vccz .LBB103_12
.LBB103_10:
	s_load_b128 s[28:31], s[0:1], 0x8
	s_waitcnt lgkmcnt(0)
	v_cmp_lt_i64_e64 s4, s[28:29], 1
	s_delay_alu instid0(VALU_DEP_1)
	s_and_b32 vcc_lo, exec_lo, s4
	s_cbranch_vccz .LBB103_13
	s_branch .LBB103_100
.LBB103_11:
	s_waitcnt lgkmcnt(0)
	s_lshl_b64 s[6:7], s[2:3], 3
	s_delay_alu instid0(SALU_CYCLE_1)
	s_add_u32 s6, s4, s6
	s_addc_u32 s7, s5, s7
	s_load_b64 s[6:7], s[6:7], 0x0
	s_waitcnt lgkmcnt(0)
	s_sub_u32 s34, s6, s24
	s_subb_u32 s35, s7, 0
	s_and_not1_b32 vcc_lo, exec_lo, s48
	s_mov_b64 s[40:41], 0
	s_cbranch_vccnz .LBB103_10
.LBB103_12:
	s_waitcnt lgkmcnt(0)
	s_lshl_b64 s[6:7], s[2:3], 3
	s_delay_alu instid0(SALU_CYCLE_1)
	s_add_u32 s4, s4, s6
	s_addc_u32 s5, s5, s7
	s_load_b64 s[4:5], s[4:5], 0x8
	s_waitcnt lgkmcnt(0)
	s_sub_u32 s40, s4, s24
	s_subb_u32 s41, s5, 0
	s_load_b128 s[28:31], s[0:1], 0x8
	s_waitcnt lgkmcnt(0)
	v_cmp_lt_i64_e64 s4, s[28:29], 1
	s_delay_alu instid0(VALU_DEP_1)
	s_and_b32 vcc_lo, exec_lo, s4
	s_cbranch_vccnz .LBB103_100
.LBB103_13:
	v_and_b32_e32 v1, 15, v0
	v_lshrrev_b32_e32 v4, 4, v0
	s_load_b256 s[16:23], s[0:1], 0x68
	s_lshl_b64 s[6:7], s[2:3], 3
	s_clause 0x3
	s_load_b64 s[42:43], s[0:1], 0x98
	s_load_b128 s[36:39], s[0:1], 0x88
	s_load_b64 s[44:45], s[0:1], 0x58
	s_load_b256 s[8:15], s[0:1], 0x38
	v_mad_u64_u32 v[6:7], null, v1, s30, 0
	v_mad_u64_u32 v[8:9], null, v4, s30, 0
	s_load_b32 s46, s[0:1], 0x0
	s_mov_b32 s47, 0
	v_dual_mov_b32 v37, 1 :: v_dual_and_b32 v28, 0xf0, v0
	s_delay_alu instid0(VALU_DEP_2) | instskip(NEXT) | instid1(VALU_DEP_1)
	v_dual_mov_b32 v2, v7 :: v_dual_mov_b32 v3, v9
	v_mad_u64_u32 v[9:10], null, v1, s31, v[2:3]
	v_mad_u64_u32 v[10:11], null, v4, s31, v[3:4]
	s_waitcnt lgkmcnt(0)
	s_add_u32 s0, s22, s6
	s_addc_u32 s1, s23, s7
	v_mov_b32_e32 v3, 0
	s_load_b64 s[2:3], s[0:1], 0x0
	s_delay_alu instid0(VALU_DEP_3) | instskip(SKIP_1) | instid1(VALU_DEP_3)
	v_mov_b32_e32 v7, v9
	v_cmp_lt_i64_e64 s22, s[34:35], s[40:41]
	v_dual_mov_b32 v9, v10 :: v_dual_mov_b32 v2, v3
	v_mov_b32_e32 v5, v3
	s_delay_alu instid0(VALU_DEP_4) | instskip(SKIP_1) | instid1(VALU_DEP_4)
	v_lshlrev_b64 v[6:7], 2, v[6:7]
	v_cmp_gt_u32_e64 s0, 8, v0
	v_lshlrev_b64 v[8:9], 2, v[8:9]
	v_cmp_gt_i64_e32 vcc_lo, s[30:31], v[1:2]
	v_lshlrev_b64 v[10:11], 2, v[4:5]
	v_lshlrev_b32_e32 v2, 2, v1
	v_add_co_u32 v12, s1, s20, v6
	s_delay_alu instid0(VALU_DEP_1) | instskip(SKIP_1) | instid1(VALU_DEP_1)
	v_add_co_ci_u32_e64 v13, s1, s21, v7, s1
	v_add_co_u32 v14, s1, s20, v8
	v_add_co_ci_u32_e64 v15, s1, s21, v9, s1
	s_delay_alu instid0(VALU_DEP_4)
	v_add_co_u32 v12, s1, v12, v10
	s_waitcnt lgkmcnt(0)
	s_sub_u32 s4, s2, s26
	v_add_co_ci_u32_e64 v13, s1, v13, v11, s1
	s_subb_u32 s5, s3, 0
	v_add_co_u32 v14, s1, v14, v2
	s_cmp_eq_u32 s46, 0
	v_add_co_ci_u32_e64 v15, s1, 0, v15, s1
	s_cselect_b32 s1, -1, 0
	s_cmp_lg_u32 s46, 0
	s_mul_i32 s3, s30, s31
	s_mul_hi_u32 s2, s30, s30
	s_cselect_b32 s62, -1, 0
	s_add_i32 s20, s2, s3
	v_cmp_gt_u64_e64 s2, s[30:31], v[4:5]
	s_add_i32 s21, s20, s3
	v_add_co_u32 v5, s3, s38, v6
	s_delay_alu instid0(VALU_DEP_1) | instskip(SKIP_1) | instid1(VALU_DEP_2)
	v_add_co_ci_u32_e64 v6, s3, s39, v7, s3
	s_add_u32 s16, s16, s6
	v_add_co_u32 v29, s3, v5, v10
	s_delay_alu instid0(VALU_DEP_1) | instskip(SKIP_1) | instid1(VALU_DEP_1)
	v_add_co_ci_u32_e64 v30, s3, v6, v11, s3
	v_add_co_u32 v5, s3, s38, v8
	v_add_co_ci_u32_e64 v6, s3, s39, v9, s3
	s_mul_i32 s20, s30, s30
	s_delay_alu instid0(VALU_DEP_2)
	v_add_co_u32 v31, s3, v5, v2
	s_addc_u32 s17, s17, s7
	s_and_b32 s63, s48, s22
	s_and_b32 s64, vcc_lo, s2
	v_add_co_ci_u32_e64 v32, s3, 0, v6, s3
	s_add_u32 s65, s12, 8
	s_addc_u32 s66, s13, 0
	s_mul_i32 s2, s34, s21
	s_mul_hi_u32 s3, s34, s20
	s_add_u32 s67, s36, -8
	s_addc_u32 s68, s37, -1
	s_add_i32 s2, s3, s2
	s_mul_i32 s3, s35, s20
	s_lshl_b64 s[22:23], s[30:31], 2
	s_add_i32 s3, s2, s3
	s_mul_i32 s2, s34, s20
	s_lshl_b64 s[38:39], s[20:21], 2
	s_lshl_b64 s[2:3], s[2:3], 2
	s_mul_hi_u32 s7, s34, s30
	s_add_u32 s6, s10, s2
	s_mul_i32 s2, s34, s31
	s_addc_u32 s50, s11, s3
	s_add_i32 s2, s7, s2
	s_mul_i32 s3, s35, s30
	v_lshlrev_b32_e32 v8, 2, v4
	s_add_i32 s3, s2, s3
	s_mul_i32 s2, s34, s30
	v_or_b32_e32 v7, v28, v1
	s_lshl_b64 s[2:3], s[2:3], 2
	v_or_b32_e32 v6, 0x400, v0
	v_add_co_u32 v9, s2, s2, v8
	s_delay_alu instid0(VALU_DEP_3)
	v_lshlrev_b32_e32 v34, 2, v7
	v_add_co_ci_u32_e64 v7, null, s3, 0, s2
	v_cndmask_b32_e64 v5, v13, v15, s1
	v_cndmask_b32_e64 v4, v12, v14, s1
	;; [unrolled: 1-line block ×4, first 2 shown]
	v_cmp_gt_u32_e64 s1, 0x700, v6
	v_mul_lo_u32 v10, s30, v7
	v_mul_lo_u32 v11, s31, v9
	v_mad_u64_u32 v[6:7], null, s30, v9, s[10:11]
	s_mov_b32 s46, s27
	v_add_co_u32 v8, s6, s6, v8
	s_delay_alu instid0(VALU_DEP_1) | instskip(SKIP_1) | instid1(VALU_DEP_3)
	v_add_co_ci_u32_e64 v9, null, s50, 0, s6
	s_lshl_b64 s[6:7], s[46:47], 3
	v_add3_u32 v7, v11, v7, v10
	v_add_co_u32 v10, s10, s44, v2
	v_mov_b32_e32 v13, s5
	v_dual_mov_b32 v12, s4 :: v_dual_lshlrev_b32 v33, 2, v0
	v_cmp_gt_u32_e64 s2, 0x200, v0
	v_cmp_gt_u32_e64 s3, 0x100, v0
	v_add_co_ci_u32_e64 v11, null, s45, 0, s10
	s_sub_u32 s47, s18, s6
	s_subb_u32 s69, s19, s7
	s_sub_u32 s27, 1, s27
	s_mov_b64 s[48:49], 8
	s_subb_u32 s70, 0, 0
	s_mov_b64 s[18:19], 0
	s_branch .LBB103_16
.LBB103_14:                             ;   in Loop: Header=BB103_16 Depth=1
	s_or_b32 exec_lo, exec_lo, s4
.LBB103_15:                             ;   in Loop: Header=BB103_16 Depth=1
	v_cmp_lt_i64_e64 s4, s[10:11], s[28:29]
	s_delay_alu instid0(VALU_DEP_2)
	v_dual_mov_b32 v12, v14 :: v_dual_mov_b32 v13, v15
	s_waitcnt lgkmcnt(0)
	s_waitcnt_vscnt null, 0x0
	s_barrier
	buffer_gl0_inv
	s_and_b32 vcc_lo, s4, exec_lo
	s_cselect_b32 s18, s10, s28
	s_cselect_b32 s19, s11, s29
	s_add_u32 s48, s18, 8
	s_addc_u32 s49, s19, 0
	s_barrier
	buffer_gl0_inv
	s_cbranch_vccz .LBB103_100
.LBB103_16:                             ; =>This Loop Header: Depth=1
                                        ;     Child Loop BB103_26 Depth 2
                                        ;       Child Loop BB103_31 Depth 3
                                        ;         Child Loop BB103_43 Depth 4
                                        ;         Child Loop BB103_39 Depth 4
                                        ;     Child Loop BB103_55 Depth 2
	s_and_saveexec_b32 s4, s0
	s_cbranch_execz .LBB103_18
; %bb.17:                               ;   in Loop: Header=BB103_16 Depth=1
	ds_store_b8 v0, v3 offset:8192
.LBB103_18:                             ;   in Loop: Header=BB103_16 Depth=1
	s_or_b32 exec_lo, exec_lo, s4
	ds_store_2addr_stride64_b32 v33, v3, v3 offset1:4
	ds_store_2addr_stride64_b32 v33, v3, v3 offset0:8 offset1:12
	ds_store_b32 v33, v3 offset:4096
	s_and_saveexec_b32 s4, s1
	s_delay_alu instid0(SALU_CYCLE_1)
	s_xor_b32 s4, exec_lo, s4
	s_cbranch_execz .LBB103_24
; %bb.19:                               ;   in Loop: Header=BB103_16 Depth=1
	ds_store_b32 v33, v3 offset:5120
	s_and_saveexec_b32 s5, s2
	s_delay_alu instid0(SALU_CYCLE_1)
	s_xor_b32 s5, exec_lo, s5
	s_cbranch_execz .LBB103_23
; %bb.20:                               ;   in Loop: Header=BB103_16 Depth=1
	;; [unrolled: 6-line block ×3, first 2 shown]
	ds_store_b32 v33, v3 offset:7168
.LBB103_22:                             ;   in Loop: Header=BB103_16 Depth=1
	s_or_b32 exec_lo, exec_lo, s6
.LBB103_23:                             ;   in Loop: Header=BB103_16 Depth=1
	s_delay_alu instid0(SALU_CYCLE_1)
	s_or_b32 exec_lo, exec_lo, s5
.LBB103_24:                             ;   in Loop: Header=BB103_16 Depth=1
	s_delay_alu instid0(SALU_CYCLE_1) | instskip(NEXT) | instid1(SALU_CYCLE_1)
	s_or_b32 exec_lo, exec_lo, s4
	s_and_not1_b32 vcc_lo, exec_lo, s63
	s_mov_b64 s[10:11], s[28:29]
	s_waitcnt lgkmcnt(0)
	s_barrier
	buffer_gl0_inv
	s_cbranch_vccnz .LBB103_52
; %bb.25:                               ;   in Loop: Header=BB103_16 Depth=1
	v_dual_mov_b32 v15, v7 :: v_dual_mov_b32 v14, v6
	v_dual_mov_b32 v17, v9 :: v_dual_mov_b32 v16, v8
	s_cmp_lg_u64 s[18:19], 0
	s_mov_b64 s[50:51], s[28:29]
	s_cselect_b32 s71, -1, 0
	s_mov_b64 s[4:5], s[34:35]
.LBB103_26:                             ;   Parent Loop BB103_16 Depth=1
                                        ; =>  This Loop Header: Depth=2
                                        ;       Child Loop BB103_31 Depth 3
                                        ;         Child Loop BB103_43 Depth 4
                                        ;         Child Loop BB103_39 Depth 4
	s_delay_alu instid0(SALU_CYCLE_1) | instskip(NEXT) | instid1(SALU_CYCLE_1)
	s_lshl_b64 s[6:7], s[4:5], 3
	s_add_u32 s10, s8, s6
	s_addc_u32 s11, s9, s7
	s_load_b64 s[10:11], s[10:11], 0x0
	s_waitcnt lgkmcnt(0)
	s_sub_u32 s10, s10, s24
	s_subb_u32 s11, s11, 0
	s_and_b32 vcc_lo, exec_lo, s71
	s_cbranch_vccz .LBB103_51
; %bb.27:                               ;   in Loop: Header=BB103_26 Depth=2
	s_add_u32 s52, s42, s6
	s_addc_u32 s53, s43, s7
	global_load_b64 v[18:19], v3, s[52:53]
	s_waitcnt vmcnt(0)
	v_readfirstlane_b32 s52, v18
	v_readfirstlane_b32 s53, v19
	s_cbranch_execnz .LBB103_29
.LBB103_28:                             ;   in Loop: Header=BB103_26 Depth=2
	s_lshl_b64 s[52:53], s[10:11], 3
	s_delay_alu instid0(SALU_CYCLE_1)
	s_add_u32 s52, s12, s52
	s_addc_u32 s53, s13, s53
	s_load_b64 s[52:53], s[52:53], 0x0
	s_waitcnt lgkmcnt(0)
	s_sub_u32 s52, s52, s25
	s_subb_u32 s53, s53, 0
.LBB103_29:                             ;   in Loop: Header=BB103_26 Depth=2
	s_lshl_b64 s[10:11], s[10:11], 3
	s_delay_alu instid0(SALU_CYCLE_1)
	s_add_u32 s10, s65, s10
	s_addc_u32 s11, s66, s11
	s_load_b64 s[10:11], s[10:11], 0x0
	s_waitcnt lgkmcnt(0)
	s_sub_u32 s54, s10, s25
	s_subb_u32 s55, s11, 0
	s_delay_alu instid0(SALU_CYCLE_1) | instskip(NEXT) | instid1(VALU_DEP_1)
	v_cmp_ge_i64_e64 s10, s[52:53], s[54:55]
	s_and_b32 vcc_lo, exec_lo, s10
	s_cbranch_vccnz .LBB103_48
; %bb.30:                               ;   in Loop: Header=BB103_26 Depth=2
	v_mad_u64_u32 v[20:21], null, s22, s52, v[2:3]
	s_mul_i32 s10, s23, s52
	s_mul_i32 s11, s22, s53
	s_mov_b64 s[56:57], s[52:53]
	s_delay_alu instid0(VALU_DEP_1) | instskip(NEXT) | instid1(VALU_DEP_2)
	v_add3_u32 v21, s11, s10, v21
	v_mul_lo_u32 v22, s31, v20
	v_mad_u64_u32 v[18:19], null, s30, v20, s[44:45]
	s_mul_i32 s10, s39, s52
	s_delay_alu instid0(VALU_DEP_3) | instskip(SKIP_2) | instid1(VALU_DEP_2)
	v_mul_lo_u32 v23, s30, v21
	v_mad_u64_u32 v[20:21], null, s38, s52, v[10:11]
	s_mul_i32 s11, s38, s53
	v_add3_u32 v19, v22, v19, v23
	s_delay_alu instid0(VALU_DEP_2)
	v_add3_u32 v21, s11, s10, v21
.LBB103_31:                             ;   Parent Loop BB103_16 Depth=1
                                        ;     Parent Loop BB103_26 Depth=2
                                        ; =>    This Loop Header: Depth=3
                                        ;         Child Loop BB103_43 Depth 4
                                        ;         Child Loop BB103_39 Depth 4
	s_lshl_b64 s[10:11], s[52:53], 3
	s_mov_b32 s73, -1
	s_add_u32 s10, s14, s10
	s_addc_u32 s11, s15, s11
                                        ; implicit-def: $sgpr58_sgpr59
                                        ; implicit-def: $sgpr72
	s_load_b64 s[10:11], s[10:11], 0x0
	s_waitcnt lgkmcnt(0)
	s_sub_u32 s60, s10, s25
	s_subb_u32 s61, s11, 0
	s_delay_alu instid0(SALU_CYCLE_1) | instskip(SKIP_2) | instid1(VALU_DEP_2)
	v_cmp_ge_i64_e64 s10, s[60:61], s[18:19]
	v_cmp_lt_i64_e64 s11, s[60:61], s[48:49]
	v_cmp_ge_i64_e64 s74, s[60:61], s[48:49]
	s_and_b32 s10, s10, s11
	s_delay_alu instid0(SALU_CYCLE_1)
	s_and_not1_b32 vcc_lo, exec_lo, s10
                                        ; implicit-def: $sgpr10_sgpr11
	s_cbranch_vccz .LBB103_35
; %bb.32:                               ;   in Loop: Header=BB103_31 Depth=3
	s_mov_b32 s72, -1
	s_delay_alu instid0(VALU_DEP_1)
	s_and_not1_b32 vcc_lo, exec_lo, s74
	s_mov_b64 s[58:59], s[56:57]
	s_mov_b64 s[10:11], s[50:51]
	s_cbranch_vccnz .LBB103_34
; %bb.33:                               ;   in Loop: Header=BB103_31 Depth=3
	v_cmp_lt_i64_e64 s10, s[60:61], s[50:51]
	s_mov_b32 s72, 0
	s_mov_b64 s[58:59], s[52:53]
	s_delay_alu instid0(VALU_DEP_1)
	s_and_b32 s10, s10, exec_lo
	s_cselect_b32 s11, s61, s51
	s_cselect_b32 s10, s60, s50
.LBB103_34:                             ;   in Loop: Header=BB103_31 Depth=3
	s_mov_b32 s73, 0
.LBB103_35:                             ;   in Loop: Header=BB103_31 Depth=3
	s_delay_alu instid0(SALU_CYCLE_1)
	s_and_not1_b32 vcc_lo, exec_lo, s73
	s_cbranch_vccnz .LBB103_46
; %bb.36:                               ;   in Loop: Header=BB103_31 Depth=3
	s_sub_i32 s59, s60, s18
	s_delay_alu instid0(SALU_CYCLE_1)
	v_mov_b32_e32 v22, s59
	ds_store_b8 v22, v37 offset:8192
	s_and_saveexec_b32 s58, s64
	s_cbranch_execz .LBB103_45
; %bb.37:                               ;   in Loop: Header=BB103_31 Depth=3
	s_and_not1_b32 vcc_lo, exec_lo, s62
	s_cbranch_vccnz .LBB103_41
; %bb.38:                               ;   in Loop: Header=BB103_31 Depth=3
	v_dual_mov_b32 v38, 0 :: v_dual_mov_b32 v23, v17
	v_dual_mov_b32 v22, v16 :: v_dual_mov_b32 v25, v19
	v_mov_b32_e32 v24, v18
	s_mov_b64 s[10:11], s[30:31]
.LBB103_39:                             ;   Parent Loop BB103_16 Depth=1
                                        ;     Parent Loop BB103_26 Depth=2
                                        ;       Parent Loop BB103_31 Depth=3
                                        ; =>      This Inner Loop Header: Depth=4
	global_load_b32 v39, v[22:23], off
	global_load_b32 v40, v[24:25], off
	v_add_co_u32 v24, vcc_lo, v24, 4
	v_add_co_ci_u32_e32 v25, vcc_lo, 0, v25, vcc_lo
	v_add_co_u32 v22, vcc_lo, v22, s22
	s_add_u32 s10, s10, -1
	v_add_co_ci_u32_e32 v23, vcc_lo, s23, v23, vcc_lo
	s_addc_u32 s11, s11, -1
	s_delay_alu instid0(SALU_CYCLE_1)
	s_cmp_lg_u64 s[10:11], 0
	s_waitcnt vmcnt(0)
	v_fmac_f32_e32 v38, v39, v40
	s_cbranch_scc1 .LBB103_39
; %bb.40:                               ;   in Loop: Header=BB103_31 Depth=3
	s_branch .LBB103_44
.LBB103_41:                             ;   in Loop: Header=BB103_31 Depth=3
                                        ; implicit-def: $vgpr38
	s_cbranch_execz .LBB103_44
; %bb.42:                               ;   in Loop: Header=BB103_31 Depth=3
	v_dual_mov_b32 v38, 0 :: v_dual_mov_b32 v23, v21
	v_dual_mov_b32 v22, v20 :: v_dual_mov_b32 v25, v15
	v_mov_b32_e32 v24, v14
	s_mov_b64 s[10:11], s[30:31]
.LBB103_43:                             ;   Parent Loop BB103_16 Depth=1
                                        ;     Parent Loop BB103_26 Depth=2
                                        ;       Parent Loop BB103_31 Depth=3
                                        ; =>      This Inner Loop Header: Depth=4
	global_load_b32 v39, v[24:25], off
	global_load_b32 v40, v[22:23], off
	v_add_co_u32 v24, vcc_lo, v24, 4
	v_add_co_ci_u32_e32 v25, vcc_lo, 0, v25, vcc_lo
	v_add_co_u32 v22, vcc_lo, v22, s22
	s_add_u32 s10, s10, -1
	v_add_co_ci_u32_e32 v23, vcc_lo, s23, v23, vcc_lo
	s_addc_u32 s11, s11, -1
	s_delay_alu instid0(SALU_CYCLE_1)
	s_cmp_eq_u64 s[10:11], 0
	s_waitcnt vmcnt(0)
	v_fmac_f32_e32 v38, v39, v40
	s_cbranch_scc0 .LBB103_43
.LBB103_44:                             ;   in Loop: Header=BB103_31 Depth=3
	s_lshl_b32 s10, s59, 8
	s_delay_alu instid0(SALU_CYCLE_1) | instskip(NEXT) | instid1(VALU_DEP_1)
	v_or3_b32 v22, s10, v28, v1
	v_lshlrev_b32_e32 v22, 2, v22
	ds_load_b32 v23, v22
	s_waitcnt lgkmcnt(0)
	v_fmac_f32_e32 v23, v26, v38
	ds_store_b32 v22, v23
.LBB103_45:                             ;   in Loop: Header=BB103_31 Depth=3
	s_or_b32 exec_lo, exec_lo, s58
	s_mov_b32 s72, -1
	s_mov_b64 s[58:59], s[56:57]
	s_mov_b64 s[10:11], s[50:51]
	s_waitcnt lgkmcnt(0)
	s_waitcnt_vscnt null, 0x0
	s_barrier
	buffer_gl0_inv
.LBB103_46:                             ;   in Loop: Header=BB103_31 Depth=3
	s_add_u32 s52, s52, 1
	s_addc_u32 s53, s53, 0
	v_add_co_u32 v18, vcc_lo, v18, s38
	v_cmp_lt_i64_e64 s50, s[52:53], s[54:55]
	v_add_co_ci_u32_e32 v19, vcc_lo, s39, v19, vcc_lo
	v_add_co_u32 v20, vcc_lo, v20, s38
	v_add_co_ci_u32_e32 v21, vcc_lo, s39, v21, vcc_lo
	s_delay_alu instid0(VALU_DEP_4) | instskip(NEXT) | instid1(SALU_CYCLE_1)
	s_and_b32 s50, s72, s50
	s_and_b32 vcc_lo, exec_lo, s50
	s_cbranch_vccz .LBB103_49
; %bb.47:                               ;   in Loop: Header=BB103_31 Depth=3
	s_mov_b64 s[56:57], s[58:59]
	s_mov_b64 s[50:51], s[10:11]
	s_branch .LBB103_31
.LBB103_48:                             ;   in Loop: Header=BB103_26 Depth=2
	s_mov_b64 s[58:59], s[52:53]
	s_mov_b64 s[10:11], s[50:51]
.LBB103_49:                             ;   in Loop: Header=BB103_26 Depth=2
	s_add_u32 s6, s42, s6
	s_addc_u32 s7, s43, s7
	s_add_u32 s4, s4, 1
	s_addc_u32 s5, s5, 0
	v_add_co_u32 v16, vcc_lo, v16, s38
	v_cmp_lt_i64_e64 s50, s[4:5], s[40:41]
	v_add_co_ci_u32_e32 v17, vcc_lo, s39, v17, vcc_lo
	v_add_co_u32 v14, vcc_lo, v14, s38
	v_dual_mov_b32 v18, s58 :: v_dual_mov_b32 v19, s59
	v_add_co_ci_u32_e32 v15, vcc_lo, s39, v15, vcc_lo
	s_and_b32 vcc_lo, exec_lo, s50
	global_store_b64 v3, v[18:19], s[6:7]
	s_cbranch_vccz .LBB103_52
; %bb.50:                               ;   in Loop: Header=BB103_26 Depth=2
	s_mov_b64 s[50:51], s[10:11]
	s_branch .LBB103_26
.LBB103_51:                             ;   in Loop: Header=BB103_26 Depth=2
                                        ; implicit-def: $sgpr52_sgpr53
	s_branch .LBB103_28
.LBB103_52:                             ;   in Loop: Header=BB103_16 Depth=1
	s_and_not1_b32 vcc_lo, exec_lo, s33
	s_cbranch_vccnz .LBB103_64
; %bb.53:                               ;   in Loop: Header=BB103_16 Depth=1
	s_load_b128 s[4:7], s[16:17], 0x0
	s_waitcnt lgkmcnt(0)
	v_cmp_ge_i64_e64 s50, s[4:5], s[6:7]
	s_delay_alu instid0(VALU_DEP_1)
	s_and_b32 vcc_lo, exec_lo, s50
	s_cbranch_vccnz .LBB103_64
; %bb.54:                               ;   in Loop: Header=BB103_16 Depth=1
	s_sub_u32 s6, s6, s46
	s_subb_u32 s7, s7, 0
	s_sub_u32 s52, s4, s46
	s_subb_u32 s53, s5, 0
	v_mad_u64_u32 v[14:15], null, s38, s52, v[4:5]
	s_lshl_b64 s[50:51], s[4:5], 3
	s_mul_i32 s52, s39, s52
	s_mul_i32 s53, s38, s53
	s_add_u32 s50, s47, s50
	s_addc_u32 s51, s69, s51
	s_add_u32 s4, s27, s4
	s_delay_alu instid0(VALU_DEP_1)
	v_add3_u32 v15, s53, s52, v15
	s_addc_u32 s5, s70, s5
.LBB103_55:                             ;   Parent Loop BB103_16 Depth=1
                                        ; =>  This Inner Loop Header: Depth=2
	s_load_b64 s[52:53], s[50:51], 0x0
	s_mov_b32 s57, -1
	s_waitcnt lgkmcnt(0)
	s_sub_u32 s54, s52, s46
	s_subb_u32 s55, s53, 0
	s_delay_alu instid0(SALU_CYCLE_1) | instskip(SKIP_1) | instid1(VALU_DEP_1)
	v_cmp_ge_i64_e64 s52, s[54:55], s[18:19]
	v_cmp_lt_i64_e64 s56, s[54:55], s[48:49]
	s_and_b32 s52, s52, s56
	s_delay_alu instid0(SALU_CYCLE_1)
	s_and_not1_b32 vcc_lo, exec_lo, s52
                                        ; implicit-def: $sgpr52_sgpr53
	s_cbranch_vccz .LBB103_57
; %bb.56:                               ;   in Loop: Header=BB103_55 Depth=2
	v_cmp_lt_i64_e64 s52, s[54:55], s[10:11]
	s_mov_b32 s57, 0
	s_delay_alu instid0(VALU_DEP_1)
	s_and_b32 s52, s52, exec_lo
	s_cselect_b32 s52, s54, s10
	s_cselect_b32 s53, s55, s11
	s_and_b32 s55, s56, exec_lo
	s_cselect_b32 s53, s11, s53
	s_cselect_b32 s52, s10, s52
.LBB103_57:                             ;   in Loop: Header=BB103_55 Depth=2
	s_and_not1_b32 vcc_lo, exec_lo, s57
	s_cbranch_vccnz .LBB103_61
; %bb.58:                               ;   in Loop: Header=BB103_55 Depth=2
	s_sub_i32 s53, s54, s18
	s_delay_alu instid0(SALU_CYCLE_1)
	v_mov_b32_e32 v16, s53
	ds_store_b8 v16, v37 offset:8192
	s_and_saveexec_b32 s52, s64
	s_cbranch_execz .LBB103_60
; %bb.59:                               ;   in Loop: Header=BB103_55 Depth=2
	global_load_b32 v16, v[14:15], off
	s_lshl_b32 s53, s53, 8
	s_delay_alu instid0(SALU_CYCLE_1) | instskip(NEXT) | instid1(VALU_DEP_1)
	v_or3_b32 v17, s53, v28, v1
	v_lshlrev_b32_e32 v17, 2, v17
	ds_load_b32 v18, v17
	s_waitcnt vmcnt(0) lgkmcnt(0)
	v_fmac_f32_e32 v18, v27, v16
	ds_store_b32 v17, v18
.LBB103_60:                             ;   in Loop: Header=BB103_55 Depth=2
	s_or_b32 exec_lo, exec_lo, s52
	s_mov_b32 s56, -1
	s_mov_b64 s[52:53], s[10:11]
	s_waitcnt lgkmcnt(0)
	s_waitcnt_vscnt null, 0x0
	s_barrier
	buffer_gl0_inv
.LBB103_61:                             ;   in Loop: Header=BB103_55 Depth=2
	v_cmp_lt_i64_e64 s10, s[4:5], s[6:7]
	v_add_co_u32 v14, vcc_lo, v14, s38
	v_add_co_ci_u32_e32 v15, vcc_lo, s39, v15, vcc_lo
	s_delay_alu instid0(VALU_DEP_3)
	s_and_b32 s10, s56, s10
	s_add_u32 s50, s50, 8
	s_addc_u32 s51, s51, 0
	s_add_u32 s4, s4, 1
	s_addc_u32 s5, s5, 0
	s_and_b32 vcc_lo, exec_lo, s10
	s_cbranch_vccz .LBB103_63
; %bb.62:                               ;   in Loop: Header=BB103_55 Depth=2
	s_mov_b64 s[10:11], s[52:53]
	s_branch .LBB103_55
.LBB103_63:                             ;   in Loop: Header=BB103_16 Depth=1
	s_mov_b64 s[10:11], s[52:53]
.LBB103_64:                             ;   in Loop: Header=BB103_16 Depth=1
	s_waitcnt_vscnt null, 0x0
	s_barrier
	buffer_gl0_inv
	ds_load_u8 v14, v3 offset:8192
	s_add_u32 s6, s18, s26
	s_addc_u32 s7, s19, 0
	s_mov_b32 s5, 0
	s_waitcnt lgkmcnt(0)
	v_cmp_eq_u32_e32 vcc_lo, 0, v14
	s_cbranch_vccnz .LBB103_68
; %bb.65:                               ;   in Loop: Header=BB103_16 Depth=1
	v_lshlrev_b64 v[14:15], 3, v[12:13]
	v_dual_mov_b32 v17, s7 :: v_dual_mov_b32 v16, s6
	s_delay_alu instid0(VALU_DEP_2) | instskip(NEXT) | instid1(VALU_DEP_3)
	v_add_co_u32 v14, vcc_lo, s36, v14
	v_add_co_ci_u32_e32 v15, vcc_lo, s37, v15, vcc_lo
	global_store_b64 v[14:15], v[16:17], off
	s_and_saveexec_b32 s4, s64
	s_cbranch_execz .LBB103_67
; %bb.66:                               ;   in Loop: Header=BB103_16 Depth=1
	v_mul_lo_u32 v16, v13, s20
	v_mul_lo_u32 v17, v12, s21
	v_mad_u64_u32 v[14:15], null, v12, s20, 0
	ds_load_b32 v18, v33
	v_add3_u32 v15, v15, v17, v16
	s_delay_alu instid0(VALU_DEP_1) | instskip(NEXT) | instid1(VALU_DEP_1)
	v_lshlrev_b64 v[14:15], 2, v[14:15]
	v_add_co_u32 v14, vcc_lo, v36, v14
	s_delay_alu instid0(VALU_DEP_2)
	v_add_co_ci_u32_e32 v15, vcc_lo, v35, v15, vcc_lo
	s_waitcnt lgkmcnt(0)
	global_store_b32 v[14:15], v18, off
.LBB103_67:                             ;   in Loop: Header=BB103_16 Depth=1
	s_or_b32 exec_lo, exec_lo, s4
	s_mov_b32 s5, 1
.LBB103_68:                             ;   in Loop: Header=BB103_16 Depth=1
	ds_load_u8 v14, v3 offset:8193
	v_add_co_u32 v16, s4, v12, -1
	s_delay_alu instid0(VALU_DEP_1)
	v_add_co_ci_u32_e64 v17, s4, -1, v13, s4
	s_waitcnt lgkmcnt(0)
	v_cmp_eq_u32_e32 vcc_lo, 0, v14
	s_cbranch_vccz .LBB103_74
; %bb.69:                               ;   in Loop: Header=BB103_16 Depth=1
	ds_load_u8 v14, v3 offset:8194
	s_waitcnt lgkmcnt(0)
	v_cmp_eq_u32_e32 vcc_lo, 0, v14
	s_cbranch_vccz .LBB103_77
.LBB103_70:                             ;   in Loop: Header=BB103_16 Depth=1
	ds_load_u8 v14, v3 offset:8195
	s_waitcnt lgkmcnt(0)
	v_cmp_eq_u32_e32 vcc_lo, 0, v14
	s_cbranch_vccz .LBB103_80
.LBB103_71:                             ;   in Loop: Header=BB103_16 Depth=1
	ds_load_u8 v14, v3 offset:8196
	s_waitcnt lgkmcnt(0)
	v_cmp_eq_u32_e32 vcc_lo, 0, v14
	s_cbranch_vccz .LBB103_83
.LBB103_72:                             ;   in Loop: Header=BB103_16 Depth=1
	ds_load_u8 v14, v3 offset:8197
	s_waitcnt lgkmcnt(0)
	v_cmp_eq_u32_e32 vcc_lo, 0, v14
	s_cbranch_vccz .LBB103_86
.LBB103_73:                             ;   in Loop: Header=BB103_16 Depth=1
	ds_load_u8 v14, v3 offset:8198
	s_waitcnt lgkmcnt(0)
	v_cmp_eq_u32_e32 vcc_lo, 0, v14
	s_cbranch_vccz .LBB103_89
	s_branch .LBB103_92
.LBB103_74:                             ;   in Loop: Header=BB103_16 Depth=1
	s_add_i32 s5, s5, 1
	s_add_u32 s18, s6, 1
	v_add_co_u32 v14, vcc_lo, v12, s5
	v_add_co_ci_u32_e32 v15, vcc_lo, 0, v13, vcc_lo
	s_addc_u32 s19, s7, 0
	s_delay_alu instid0(SALU_CYCLE_1) | instskip(NEXT) | instid1(VALU_DEP_2)
	v_dual_mov_b32 v18, s18 :: v_dual_mov_b32 v19, s19
	v_lshlrev_b64 v[14:15], 3, v[14:15]
	s_delay_alu instid0(VALU_DEP_1) | instskip(NEXT) | instid1(VALU_DEP_2)
	v_add_co_u32 v14, vcc_lo, s67, v14
	v_add_co_ci_u32_e32 v15, vcc_lo, s68, v15, vcc_lo
	global_store_b64 v[14:15], v[18:19], off
	s_and_saveexec_b32 s4, s64
	s_cbranch_execz .LBB103_76
; %bb.75:                               ;   in Loop: Header=BB103_16 Depth=1
	v_add_co_u32 v18, vcc_lo, v16, s5
	v_add_co_ci_u32_e32 v14, vcc_lo, 0, v17, vcc_lo
	s_delay_alu instid0(VALU_DEP_2) | instskip(NEXT) | instid1(VALU_DEP_2)
	v_mul_lo_u32 v20, v18, s21
	v_mul_lo_u32 v19, v14, s20
	v_mad_u64_u32 v[14:15], null, v18, s20, 0
	ds_load_b32 v18, v34 offset:1024
	v_add3_u32 v15, v15, v20, v19
	s_delay_alu instid0(VALU_DEP_1) | instskip(NEXT) | instid1(VALU_DEP_1)
	v_lshlrev_b64 v[14:15], 2, v[14:15]
	v_add_co_u32 v14, vcc_lo, v36, v14
	s_delay_alu instid0(VALU_DEP_2)
	v_add_co_ci_u32_e32 v15, vcc_lo, v35, v15, vcc_lo
	s_waitcnt lgkmcnt(0)
	global_store_b32 v[14:15], v18, off
.LBB103_76:                             ;   in Loop: Header=BB103_16 Depth=1
	s_or_b32 exec_lo, exec_lo, s4
	ds_load_u8 v14, v3 offset:8194
	s_waitcnt lgkmcnt(0)
	v_cmp_eq_u32_e32 vcc_lo, 0, v14
	s_cbranch_vccnz .LBB103_70
.LBB103_77:                             ;   in Loop: Header=BB103_16 Depth=1
	s_add_i32 s5, s5, 1
	s_add_u32 s18, s6, 2
	v_add_co_u32 v14, vcc_lo, v12, s5
	v_add_co_ci_u32_e32 v15, vcc_lo, 0, v13, vcc_lo
	s_addc_u32 s19, s7, 0
	s_delay_alu instid0(SALU_CYCLE_1) | instskip(NEXT) | instid1(VALU_DEP_2)
	v_dual_mov_b32 v18, s18 :: v_dual_mov_b32 v19, s19
	v_lshlrev_b64 v[14:15], 3, v[14:15]
	s_delay_alu instid0(VALU_DEP_1) | instskip(NEXT) | instid1(VALU_DEP_2)
	v_add_co_u32 v14, vcc_lo, s67, v14
	v_add_co_ci_u32_e32 v15, vcc_lo, s68, v15, vcc_lo
	global_store_b64 v[14:15], v[18:19], off
	s_and_saveexec_b32 s4, s64
	s_cbranch_execz .LBB103_79
; %bb.78:                               ;   in Loop: Header=BB103_16 Depth=1
	v_add_co_u32 v18, vcc_lo, v16, s5
	v_add_co_ci_u32_e32 v14, vcc_lo, 0, v17, vcc_lo
	s_delay_alu instid0(VALU_DEP_2) | instskip(NEXT) | instid1(VALU_DEP_2)
	v_mul_lo_u32 v20, v18, s21
	v_mul_lo_u32 v19, v14, s20
	v_mad_u64_u32 v[14:15], null, v18, s20, 0
	ds_load_b32 v18, v34 offset:2048
	v_add3_u32 v15, v15, v20, v19
	s_delay_alu instid0(VALU_DEP_1) | instskip(NEXT) | instid1(VALU_DEP_1)
	v_lshlrev_b64 v[14:15], 2, v[14:15]
	v_add_co_u32 v14, vcc_lo, v36, v14
	s_delay_alu instid0(VALU_DEP_2)
	v_add_co_ci_u32_e32 v15, vcc_lo, v35, v15, vcc_lo
	s_waitcnt lgkmcnt(0)
	global_store_b32 v[14:15], v18, off
.LBB103_79:                             ;   in Loop: Header=BB103_16 Depth=1
	s_or_b32 exec_lo, exec_lo, s4
	ds_load_u8 v14, v3 offset:8195
	s_waitcnt lgkmcnt(0)
	v_cmp_eq_u32_e32 vcc_lo, 0, v14
	s_cbranch_vccnz .LBB103_71
.LBB103_80:                             ;   in Loop: Header=BB103_16 Depth=1
	s_add_i32 s5, s5, 1
	s_add_u32 s18, s6, 3
	v_add_co_u32 v14, vcc_lo, v12, s5
	v_add_co_ci_u32_e32 v15, vcc_lo, 0, v13, vcc_lo
	s_addc_u32 s19, s7, 0
	s_delay_alu instid0(SALU_CYCLE_1) | instskip(NEXT) | instid1(VALU_DEP_2)
	v_dual_mov_b32 v18, s18 :: v_dual_mov_b32 v19, s19
	v_lshlrev_b64 v[14:15], 3, v[14:15]
	s_delay_alu instid0(VALU_DEP_1) | instskip(NEXT) | instid1(VALU_DEP_2)
	v_add_co_u32 v14, vcc_lo, s67, v14
	v_add_co_ci_u32_e32 v15, vcc_lo, s68, v15, vcc_lo
	global_store_b64 v[14:15], v[18:19], off
	s_and_saveexec_b32 s4, s64
	s_cbranch_execz .LBB103_82
; %bb.81:                               ;   in Loop: Header=BB103_16 Depth=1
	v_add_co_u32 v18, vcc_lo, v16, s5
	v_add_co_ci_u32_e32 v14, vcc_lo, 0, v17, vcc_lo
	s_delay_alu instid0(VALU_DEP_2) | instskip(NEXT) | instid1(VALU_DEP_2)
	v_mul_lo_u32 v20, v18, s21
	v_mul_lo_u32 v19, v14, s20
	v_mad_u64_u32 v[14:15], null, v18, s20, 0
	ds_load_b32 v18, v34 offset:3072
	v_add3_u32 v15, v15, v20, v19
	s_delay_alu instid0(VALU_DEP_1) | instskip(NEXT) | instid1(VALU_DEP_1)
	v_lshlrev_b64 v[14:15], 2, v[14:15]
	v_add_co_u32 v14, vcc_lo, v36, v14
	s_delay_alu instid0(VALU_DEP_2)
	v_add_co_ci_u32_e32 v15, vcc_lo, v35, v15, vcc_lo
	s_waitcnt lgkmcnt(0)
	global_store_b32 v[14:15], v18, off
.LBB103_82:                             ;   in Loop: Header=BB103_16 Depth=1
	s_or_b32 exec_lo, exec_lo, s4
	ds_load_u8 v14, v3 offset:8196
	s_waitcnt lgkmcnt(0)
	v_cmp_eq_u32_e32 vcc_lo, 0, v14
	s_cbranch_vccnz .LBB103_72
.LBB103_83:                             ;   in Loop: Header=BB103_16 Depth=1
	s_add_i32 s5, s5, 1
	s_add_u32 s18, s6, 4
	v_add_co_u32 v14, vcc_lo, v12, s5
	v_add_co_ci_u32_e32 v15, vcc_lo, 0, v13, vcc_lo
	s_addc_u32 s19, s7, 0
	s_delay_alu instid0(SALU_CYCLE_1) | instskip(NEXT) | instid1(VALU_DEP_2)
	v_dual_mov_b32 v18, s18 :: v_dual_mov_b32 v19, s19
	v_lshlrev_b64 v[14:15], 3, v[14:15]
	s_delay_alu instid0(VALU_DEP_1) | instskip(NEXT) | instid1(VALU_DEP_2)
	v_add_co_u32 v14, vcc_lo, s67, v14
	v_add_co_ci_u32_e32 v15, vcc_lo, s68, v15, vcc_lo
	global_store_b64 v[14:15], v[18:19], off
	s_and_saveexec_b32 s4, s64
	s_cbranch_execz .LBB103_85
; %bb.84:                               ;   in Loop: Header=BB103_16 Depth=1
	v_add_co_u32 v18, vcc_lo, v16, s5
	v_add_co_ci_u32_e32 v14, vcc_lo, 0, v17, vcc_lo
	s_delay_alu instid0(VALU_DEP_2) | instskip(NEXT) | instid1(VALU_DEP_2)
	v_mul_lo_u32 v20, v18, s21
	v_mul_lo_u32 v19, v14, s20
	v_mad_u64_u32 v[14:15], null, v18, s20, 0
	ds_load_b32 v18, v33 offset:4096
	v_add3_u32 v15, v15, v20, v19
	s_delay_alu instid0(VALU_DEP_1) | instskip(NEXT) | instid1(VALU_DEP_1)
	v_lshlrev_b64 v[14:15], 2, v[14:15]
	v_add_co_u32 v14, vcc_lo, v36, v14
	s_delay_alu instid0(VALU_DEP_2)
	v_add_co_ci_u32_e32 v15, vcc_lo, v35, v15, vcc_lo
	s_waitcnt lgkmcnt(0)
	global_store_b32 v[14:15], v18, off
.LBB103_85:                             ;   in Loop: Header=BB103_16 Depth=1
	s_or_b32 exec_lo, exec_lo, s4
	ds_load_u8 v14, v3 offset:8197
	s_waitcnt lgkmcnt(0)
	v_cmp_eq_u32_e32 vcc_lo, 0, v14
	s_cbranch_vccnz .LBB103_73
.LBB103_86:                             ;   in Loop: Header=BB103_16 Depth=1
	s_add_i32 s5, s5, 1
	s_add_u32 s18, s6, 5
	v_add_co_u32 v14, vcc_lo, v12, s5
	v_add_co_ci_u32_e32 v15, vcc_lo, 0, v13, vcc_lo
	s_addc_u32 s19, s7, 0
	s_delay_alu instid0(SALU_CYCLE_1) | instskip(NEXT) | instid1(VALU_DEP_2)
	v_dual_mov_b32 v18, s18 :: v_dual_mov_b32 v19, s19
	v_lshlrev_b64 v[14:15], 3, v[14:15]
	s_delay_alu instid0(VALU_DEP_1) | instskip(NEXT) | instid1(VALU_DEP_2)
	v_add_co_u32 v14, vcc_lo, s67, v14
	v_add_co_ci_u32_e32 v15, vcc_lo, s68, v15, vcc_lo
	global_store_b64 v[14:15], v[18:19], off
	s_and_saveexec_b32 s4, s64
	s_cbranch_execz .LBB103_88
; %bb.87:                               ;   in Loop: Header=BB103_16 Depth=1
	v_add_co_u32 v18, vcc_lo, v16, s5
	v_add_co_ci_u32_e32 v14, vcc_lo, 0, v17, vcc_lo
	s_delay_alu instid0(VALU_DEP_2) | instskip(NEXT) | instid1(VALU_DEP_2)
	v_mul_lo_u32 v20, v18, s21
	v_mul_lo_u32 v19, v14, s20
	v_mad_u64_u32 v[14:15], null, v18, s20, 0
	ds_load_b32 v18, v34 offset:5120
	v_add3_u32 v15, v15, v20, v19
	s_delay_alu instid0(VALU_DEP_1) | instskip(NEXT) | instid1(VALU_DEP_1)
	v_lshlrev_b64 v[14:15], 2, v[14:15]
	v_add_co_u32 v14, vcc_lo, v36, v14
	s_delay_alu instid0(VALU_DEP_2)
	v_add_co_ci_u32_e32 v15, vcc_lo, v35, v15, vcc_lo
	s_waitcnt lgkmcnt(0)
	global_store_b32 v[14:15], v18, off
.LBB103_88:                             ;   in Loop: Header=BB103_16 Depth=1
	s_or_b32 exec_lo, exec_lo, s4
	ds_load_u8 v14, v3 offset:8198
	s_waitcnt lgkmcnt(0)
	v_cmp_eq_u32_e32 vcc_lo, 0, v14
	s_cbranch_vccnz .LBB103_92
.LBB103_89:                             ;   in Loop: Header=BB103_16 Depth=1
	s_add_i32 s5, s5, 1
	s_add_u32 s18, s6, 6
	v_add_co_u32 v14, vcc_lo, v12, s5
	v_add_co_ci_u32_e32 v15, vcc_lo, 0, v13, vcc_lo
	s_addc_u32 s19, s7, 0
	s_delay_alu instid0(SALU_CYCLE_1) | instskip(NEXT) | instid1(VALU_DEP_2)
	v_dual_mov_b32 v18, s18 :: v_dual_mov_b32 v19, s19
	v_lshlrev_b64 v[14:15], 3, v[14:15]
	s_delay_alu instid0(VALU_DEP_1) | instskip(NEXT) | instid1(VALU_DEP_2)
	v_add_co_u32 v14, vcc_lo, s67, v14
	v_add_co_ci_u32_e32 v15, vcc_lo, s68, v15, vcc_lo
	global_store_b64 v[14:15], v[18:19], off
	s_and_saveexec_b32 s4, s64
	s_cbranch_execz .LBB103_91
; %bb.90:                               ;   in Loop: Header=BB103_16 Depth=1
	v_add_co_u32 v18, vcc_lo, v16, s5
	v_add_co_ci_u32_e32 v14, vcc_lo, 0, v17, vcc_lo
	s_delay_alu instid0(VALU_DEP_2) | instskip(NEXT) | instid1(VALU_DEP_2)
	v_mul_lo_u32 v20, v18, s21
	v_mul_lo_u32 v19, v14, s20
	v_mad_u64_u32 v[14:15], null, v18, s20, 0
	ds_load_b32 v18, v34 offset:6144
	v_add3_u32 v15, v15, v20, v19
	s_delay_alu instid0(VALU_DEP_1) | instskip(NEXT) | instid1(VALU_DEP_1)
	v_lshlrev_b64 v[14:15], 2, v[14:15]
	v_add_co_u32 v14, vcc_lo, v36, v14
	s_delay_alu instid0(VALU_DEP_2)
	v_add_co_ci_u32_e32 v15, vcc_lo, v35, v15, vcc_lo
	s_waitcnt lgkmcnt(0)
	global_store_b32 v[14:15], v18, off
.LBB103_91:                             ;   in Loop: Header=BB103_16 Depth=1
	s_or_b32 exec_lo, exec_lo, s4
.LBB103_92:                             ;   in Loop: Header=BB103_16 Depth=1
	ds_load_u8 v14, v3 offset:8199
	s_waitcnt lgkmcnt(0)
	v_and_b32_e32 v14, 1, v14
	s_delay_alu instid0(VALU_DEP_1)
	v_cmp_eq_u32_e32 vcc_lo, 1, v14
	s_cbranch_vccnz .LBB103_94
; %bb.93:                               ;   in Loop: Header=BB103_16 Depth=1
	v_add_co_u32 v14, vcc_lo, s5, v12
	v_add_co_ci_u32_e32 v15, vcc_lo, 0, v13, vcc_lo
	s_cbranch_execnz .LBB103_15
	s_branch .LBB103_95
.LBB103_94:                             ;   in Loop: Header=BB103_16 Depth=1
                                        ; implicit-def: $vgpr14_vgpr15
.LBB103_95:                             ;   in Loop: Header=BB103_16 Depth=1
	s_add_i32 s5, s5, 1
	s_add_u32 s6, s6, 7
	v_add_co_u32 v14, vcc_lo, v12, s5
	v_add_co_ci_u32_e32 v15, vcc_lo, 0, v13, vcc_lo
	s_addc_u32 s7, s7, 0
	s_delay_alu instid0(SALU_CYCLE_1) | instskip(NEXT) | instid1(VALU_DEP_2)
	v_dual_mov_b32 v19, s7 :: v_dual_mov_b32 v18, s6
	v_lshlrev_b64 v[12:13], 3, v[14:15]
	s_delay_alu instid0(VALU_DEP_1) | instskip(NEXT) | instid1(VALU_DEP_2)
	v_add_co_u32 v12, vcc_lo, s67, v12
	v_add_co_ci_u32_e32 v13, vcc_lo, s68, v13, vcc_lo
	global_store_b64 v[12:13], v[18:19], off
	s_and_saveexec_b32 s4, s64
	s_cbranch_execz .LBB103_14
; %bb.96:                               ;   in Loop: Header=BB103_16 Depth=1
	v_add_co_u32 v18, vcc_lo, v16, s5
	v_add_co_ci_u32_e32 v12, vcc_lo, 0, v17, vcc_lo
	ds_load_b32 v16, v34 offset:7168
	v_mul_lo_u32 v19, v18, s21
	s_and_not1_b32 vcc_lo, exec_lo, s62
	v_mul_lo_u32 v17, v12, s20
	v_mad_u64_u32 v[12:13], null, v18, s20, 0
	s_delay_alu instid0(VALU_DEP_1) | instskip(NEXT) | instid1(VALU_DEP_1)
	v_add3_u32 v13, v13, v19, v17
	v_lshlrev_b64 v[12:13], 2, v[12:13]
	s_cbranch_vccnz .LBB103_98
; %bb.97:                               ;   in Loop: Header=BB103_16 Depth=1
	s_delay_alu instid0(VALU_DEP_1) | instskip(NEXT) | instid1(VALU_DEP_2)
	v_add_co_u32 v17, vcc_lo, v29, v12
	v_add_co_ci_u32_e32 v18, vcc_lo, v30, v13, vcc_lo
	s_waitcnt lgkmcnt(0)
	global_store_b32 v[17:18], v16, off
	s_cbranch_execnz .LBB103_14
	s_branch .LBB103_99
.LBB103_98:                             ;   in Loop: Header=BB103_16 Depth=1
.LBB103_99:                             ;   in Loop: Header=BB103_16 Depth=1
	s_delay_alu instid0(VALU_DEP_1) | instskip(NEXT) | instid1(VALU_DEP_2)
	v_add_co_u32 v12, vcc_lo, v31, v12
	v_add_co_ci_u32_e32 v13, vcc_lo, v32, v13, vcc_lo
	s_waitcnt lgkmcnt(0)
	global_store_b32 v[12:13], v16, off
	s_branch .LBB103_14
.LBB103_100:
	s_endpgm
	.section	.rodata,"a",@progbits
	.p2align	6, 0x0
	.amdhsa_kernel _ZN9rocsparseL31bsrgemm_block_per_row_multipassILj256ELj8ELj16EllfEEv20rocsparse_direction_T3_S2_PKS2_S4_NS_24const_host_device_scalarIT4_EEPKT2_S4_PKS6_SA_S4_SC_S7_SA_S4_SC_SA_PS2_PS6_PS8_21rocsparse_index_base_SG_SG_SG_bbb
		.amdhsa_group_segment_fixed_size 8200
		.amdhsa_private_segment_fixed_size 0
		.amdhsa_kernarg_size 180
		.amdhsa_user_sgpr_count 15
		.amdhsa_user_sgpr_dispatch_ptr 0
		.amdhsa_user_sgpr_queue_ptr 0
		.amdhsa_user_sgpr_kernarg_segment_ptr 1
		.amdhsa_user_sgpr_dispatch_id 0
		.amdhsa_user_sgpr_private_segment_size 0
		.amdhsa_wavefront_size32 1
		.amdhsa_uses_dynamic_stack 0
		.amdhsa_enable_private_segment 0
		.amdhsa_system_sgpr_workgroup_id_x 1
		.amdhsa_system_sgpr_workgroup_id_y 0
		.amdhsa_system_sgpr_workgroup_id_z 0
		.amdhsa_system_sgpr_workgroup_info 0
		.amdhsa_system_vgpr_workitem_id 0
		.amdhsa_next_free_vgpr 41
		.amdhsa_next_free_sgpr 75
		.amdhsa_reserve_vcc 1
		.amdhsa_float_round_mode_32 0
		.amdhsa_float_round_mode_16_64 0
		.amdhsa_float_denorm_mode_32 3
		.amdhsa_float_denorm_mode_16_64 3
		.amdhsa_dx10_clamp 1
		.amdhsa_ieee_mode 1
		.amdhsa_fp16_overflow 0
		.amdhsa_workgroup_processor_mode 1
		.amdhsa_memory_ordered 1
		.amdhsa_forward_progress 0
		.amdhsa_shared_vgpr_count 0
		.amdhsa_exception_fp_ieee_invalid_op 0
		.amdhsa_exception_fp_denorm_src 0
		.amdhsa_exception_fp_ieee_div_zero 0
		.amdhsa_exception_fp_ieee_overflow 0
		.amdhsa_exception_fp_ieee_underflow 0
		.amdhsa_exception_fp_ieee_inexact 0
		.amdhsa_exception_int_div_zero 0
	.end_amdhsa_kernel
	.section	.text._ZN9rocsparseL31bsrgemm_block_per_row_multipassILj256ELj8ELj16EllfEEv20rocsparse_direction_T3_S2_PKS2_S4_NS_24const_host_device_scalarIT4_EEPKT2_S4_PKS6_SA_S4_SC_S7_SA_S4_SC_SA_PS2_PS6_PS8_21rocsparse_index_base_SG_SG_SG_bbb,"axG",@progbits,_ZN9rocsparseL31bsrgemm_block_per_row_multipassILj256ELj8ELj16EllfEEv20rocsparse_direction_T3_S2_PKS2_S4_NS_24const_host_device_scalarIT4_EEPKT2_S4_PKS6_SA_S4_SC_S7_SA_S4_SC_SA_PS2_PS6_PS8_21rocsparse_index_base_SG_SG_SG_bbb,comdat
.Lfunc_end103:
	.size	_ZN9rocsparseL31bsrgemm_block_per_row_multipassILj256ELj8ELj16EllfEEv20rocsparse_direction_T3_S2_PKS2_S4_NS_24const_host_device_scalarIT4_EEPKT2_S4_PKS6_SA_S4_SC_S7_SA_S4_SC_SA_PS2_PS6_PS8_21rocsparse_index_base_SG_SG_SG_bbb, .Lfunc_end103-_ZN9rocsparseL31bsrgemm_block_per_row_multipassILj256ELj8ELj16EllfEEv20rocsparse_direction_T3_S2_PKS2_S4_NS_24const_host_device_scalarIT4_EEPKT2_S4_PKS6_SA_S4_SC_S7_SA_S4_SC_SA_PS2_PS6_PS8_21rocsparse_index_base_SG_SG_SG_bbb
                                        ; -- End function
	.section	.AMDGPU.csdata,"",@progbits
; Kernel info:
; codeLenInByte = 4496
; NumSgprs: 77
; NumVgprs: 41
; ScratchSize: 0
; MemoryBound: 1
; FloatMode: 240
; IeeeMode: 1
; LDSByteSize: 8200 bytes/workgroup (compile time only)
; SGPRBlocks: 9
; VGPRBlocks: 5
; NumSGPRsForWavesPerEU: 77
; NumVGPRsForWavesPerEU: 41
; Occupancy: 16
; WaveLimiterHint : 1
; COMPUTE_PGM_RSRC2:SCRATCH_EN: 0
; COMPUTE_PGM_RSRC2:USER_SGPR: 15
; COMPUTE_PGM_RSRC2:TRAP_HANDLER: 0
; COMPUTE_PGM_RSRC2:TGID_X_EN: 1
; COMPUTE_PGM_RSRC2:TGID_Y_EN: 0
; COMPUTE_PGM_RSRC2:TGID_Z_EN: 0
; COMPUTE_PGM_RSRC2:TIDIG_COMP_CNT: 0
	.section	.text._ZN9rocsparseL31bsrgemm_block_per_row_multipassILj256ELj2ELj32EllfEEv20rocsparse_direction_T3_S2_PKS2_S4_NS_24const_host_device_scalarIT4_EEPKT2_S4_PKS6_SA_S4_SC_S7_SA_S4_SC_SA_PS2_PS6_PS8_21rocsparse_index_base_SG_SG_SG_bbb,"axG",@progbits,_ZN9rocsparseL31bsrgemm_block_per_row_multipassILj256ELj2ELj32EllfEEv20rocsparse_direction_T3_S2_PKS2_S4_NS_24const_host_device_scalarIT4_EEPKT2_S4_PKS6_SA_S4_SC_S7_SA_S4_SC_SA_PS2_PS6_PS8_21rocsparse_index_base_SG_SG_SG_bbb,comdat
	.globl	_ZN9rocsparseL31bsrgemm_block_per_row_multipassILj256ELj2ELj32EllfEEv20rocsparse_direction_T3_S2_PKS2_S4_NS_24const_host_device_scalarIT4_EEPKT2_S4_PKS6_SA_S4_SC_S7_SA_S4_SC_SA_PS2_PS6_PS8_21rocsparse_index_base_SG_SG_SG_bbb ; -- Begin function _ZN9rocsparseL31bsrgemm_block_per_row_multipassILj256ELj2ELj32EllfEEv20rocsparse_direction_T3_S2_PKS2_S4_NS_24const_host_device_scalarIT4_EEPKT2_S4_PKS6_SA_S4_SC_S7_SA_S4_SC_SA_PS2_PS6_PS8_21rocsparse_index_base_SG_SG_SG_bbb
	.p2align	8
	.type	_ZN9rocsparseL31bsrgemm_block_per_row_multipassILj256ELj2ELj32EllfEEv20rocsparse_direction_T3_S2_PKS2_S4_NS_24const_host_device_scalarIT4_EEPKT2_S4_PKS6_SA_S4_SC_S7_SA_S4_SC_SA_PS2_PS6_PS8_21rocsparse_index_base_SG_SG_SG_bbb,@function
_ZN9rocsparseL31bsrgemm_block_per_row_multipassILj256ELj2ELj32EllfEEv20rocsparse_direction_T3_S2_PKS2_S4_NS_24const_host_device_scalarIT4_EEPKT2_S4_PKS6_SA_S4_SC_S7_SA_S4_SC_SA_PS2_PS6_PS8_21rocsparse_index_base_SG_SG_SG_bbb: ; @_ZN9rocsparseL31bsrgemm_block_per_row_multipassILj256ELj2ELj32EllfEEv20rocsparse_direction_T3_S2_PKS2_S4_NS_24const_host_device_scalarIT4_EEPKT2_S4_PKS6_SA_S4_SC_S7_SA_S4_SC_SA_PS2_PS6_PS8_21rocsparse_index_base_SG_SG_SG_bbb
; %bb.0:
	s_clause 0x3
	s_load_b32 s3, s[0:1], 0xb0
	s_load_b128 s[20:23], s[0:1], 0xa0
	s_load_b64 s[6:7], s[0:1], 0x28
	s_load_b64 s[4:5], s[0:1], 0x60
	s_mov_b32 s2, s15
	s_waitcnt lgkmcnt(0)
	s_bitcmp1_b32 s3, 0
	s_cselect_b32 s38, -1, 0
	s_bitcmp1_b32 s3, 16
	s_cselect_b32 s8, -1, 0
	s_xor_b32 s9, s38, -1
	s_delay_alu instid0(SALU_CYCLE_1) | instskip(NEXT) | instid1(SALU_CYCLE_1)
	s_or_b32 s9, s9, s8
	s_and_b32 vcc_lo, exec_lo, s9
	s_cbranch_vccnz .LBB104_2
; %bb.1:
	s_load_b32 s6, s[6:7], 0x0
	s_waitcnt lgkmcnt(0)
	v_mov_b32_e32 v45, s6
	s_branch .LBB104_3
.LBB104_2:
	v_cndmask_b32_e64 v45, 0, s6, s38
.LBB104_3:
	s_load_b64 s[6:7], s[0:1], 0x20
	s_bitcmp1_b32 s3, 8
	s_cselect_b32 s33, -1, 0
	s_delay_alu instid0(SALU_CYCLE_1) | instskip(NEXT) | instid1(SALU_CYCLE_1)
	s_xor_b32 s3, s33, -1
	s_or_b32 s3, s3, s8
	s_delay_alu instid0(SALU_CYCLE_1)
	s_and_b32 vcc_lo, exec_lo, s3
	s_cbranch_vccnz .LBB104_5
; %bb.4:
	s_load_b32 s3, s[4:5], 0x0
	s_waitcnt lgkmcnt(0)
	v_mov_b32_e32 v46, s3
	s_branch .LBB104_6
.LBB104_5:
	v_cndmask_b32_e64 v46, 0, s4, s33
.LBB104_6:
	s_load_b64 s[4:5], s[0:1], 0x30
	s_mov_b64 s[34:35], 0
	s_waitcnt lgkmcnt(0)
	s_cmp_eq_u64 s[6:7], 0
	s_mov_b32 s3, 0
	s_cbranch_scc1 .LBB104_8
; %bb.7:
	s_load_b64 s[8:9], s[0:1], 0x18
	s_waitcnt lgkmcnt(0)
	s_load_b64 s[8:9], s[8:9], 0x0
	s_waitcnt lgkmcnt(0)
	s_lshl_b64 s[8:9], s[8:9], 3
	s_delay_alu instid0(SALU_CYCLE_1) | instskip(SKIP_2) | instid1(SALU_CYCLE_1)
	s_add_u32 s6, s6, s8
	s_addc_u32 s7, s7, s9
	s_lshl_b64 s[2:3], s[2:3], 3
	s_add_u32 s2, s6, s2
	s_addc_u32 s3, s7, s3
	s_load_b64 s[2:3], s[2:3], 0x0
.LBB104_8:
	s_and_not1_b32 vcc_lo, exec_lo, s38
	s_cbranch_vccz .LBB104_11
; %bb.9:
	s_and_not1_b32 vcc_lo, exec_lo, s38
	s_mov_b64 s[40:41], 0
	s_cbranch_vccz .LBB104_12
.LBB104_10:
	s_load_b128 s[24:27], s[0:1], 0x8
	s_waitcnt lgkmcnt(0)
	v_cmp_lt_i64_e64 s4, s[24:25], 1
	s_delay_alu instid0(VALU_DEP_1)
	s_and_b32 vcc_lo, exec_lo, s4
	s_cbranch_vccz .LBB104_13
	s_branch .LBB104_121
.LBB104_11:
	s_waitcnt lgkmcnt(0)
	s_lshl_b64 s[6:7], s[2:3], 3
	s_delay_alu instid0(SALU_CYCLE_1)
	s_add_u32 s6, s4, s6
	s_addc_u32 s7, s5, s7
	s_load_b64 s[6:7], s[6:7], 0x0
	s_waitcnt lgkmcnt(0)
	s_sub_u32 s34, s6, s20
	s_subb_u32 s35, s7, 0
	s_and_not1_b32 vcc_lo, exec_lo, s38
	s_mov_b64 s[40:41], 0
	s_cbranch_vccnz .LBB104_10
.LBB104_12:
	s_waitcnt lgkmcnt(0)
	s_lshl_b64 s[6:7], s[2:3], 3
	s_delay_alu instid0(SALU_CYCLE_1)
	s_add_u32 s4, s4, s6
	s_addc_u32 s5, s5, s7
	s_load_b64 s[4:5], s[4:5], 0x8
	s_waitcnt lgkmcnt(0)
	s_sub_u32 s40, s4, s20
	s_subb_u32 s41, s5, 0
	s_load_b128 s[24:27], s[0:1], 0x8
	s_waitcnt lgkmcnt(0)
	v_cmp_lt_i64_e64 s4, s[24:25], 1
	s_delay_alu instid0(VALU_DEP_1)
	s_and_b32 vcc_lo, exec_lo, s4
	s_cbranch_vccnz .LBB104_121
.LBB104_13:
	v_lshrrev_b32_e32 v11, 3, v0
	s_clause 0x4
	s_load_b256 s[4:11], s[0:1], 0x68
	s_load_b64 s[42:43], s[0:1], 0x98
	s_load_b128 s[28:31], s[0:1], 0x88
	s_load_b64 s[44:45], s[0:1], 0x58
	s_load_b256 s[12:19], s[0:1], 0x38
	v_dual_mov_b32 v2, 0 :: v_dual_and_b32 v1, 7, v0
	s_lshl_b64 s[48:49], s[2:3], 3
	v_mad_u64_u32 v[5:6], null, v11, s26, 0
	s_load_b32 s39, s[0:1], 0x0
	s_delay_alu instid0(VALU_DEP_2) | instskip(SKIP_3) | instid1(VALU_DEP_4)
	v_dual_mov_b32 v12, v2 :: v_dual_lshlrev_b32 v47, 5, v11
	v_or_b32_e32 v14, 16, v1
	v_or_b32_e32 v16, 24, v1
	s_mul_hi_u32 s51, s26, s26
	v_mov_b32_e32 v3, v6
	v_cmp_gt_i64_e32 vcc_lo, s[26:27], v[1:2]
	v_cmp_lt_i64_e64 s50, s[34:35], s[40:41]
	s_mov_b32 s47, 0
	s_waitcnt lgkmcnt(0)
	s_add_u32 s2, s10, s48
	v_mad_u64_u32 v[6:7], null, v11, s27, v[3:4]
	s_addc_u32 s3, s11, s49
	v_mad_u64_u32 v[3:4], null, v1, s26, 0
	s_load_b64 s[36:37], s[2:3], 0x0
	v_lshlrev_b64 v[7:8], 2, v[11:12]
	v_cmp_gt_u64_e64 s2, s[26:27], v[11:12]
	s_delay_alu instid0(VALU_DEP_4) | instskip(SKIP_4) | instid1(VALU_DEP_3)
	v_lshlrev_b64 v[5:6], 2, v[5:6]
	v_or_b32_e32 v12, 8, v1
	s_mul_i32 s11, s26, s27
	s_mul_i32 s10, s26, s26
	v_add_co_u32 v48, s3, s30, v7
	v_mad_u64_u32 v[9:10], null, v1, s27, v[4:5]
	v_add_co_ci_u32_e64 v49, s3, s31, v8, s3
	v_add_co_u32 v50, s3, s30, v5
	s_delay_alu instid0(VALU_DEP_1) | instskip(NEXT) | instid1(VALU_DEP_4)
	v_add_co_ci_u32_e64 v51, s3, s31, v6, s3
	v_mov_b32_e32 v4, v9
	v_mad_u64_u32 v[5:6], null, v12, s26, 0
	v_mad_u64_u32 v[7:8], null, v14, s26, 0
	;; [unrolled: 1-line block ×3, first 2 shown]
	s_waitcnt lgkmcnt(0)
	s_sub_u32 s36, s36, s22
	s_subb_u32 s37, s37, 0
	s_cmp_eq_u32 s39, 0
	v_lshlrev_b32_e32 v11, 2, v11
	s_delay_alu instid0(VALU_DEP_3) | instskip(NEXT) | instid1(VALU_DEP_3)
	v_mad_u64_u32 v[18:19], null, v12, s27, v[6:7]
	v_mad_u64_u32 v[19:20], null, v14, s27, v[8:9]
	v_mov_b32_e32 v8, v10
	s_cselect_b32 s1, -1, 0
	s_cmp_lg_u32 s39, 0
	v_mov_b32_e32 v13, v2
	s_cselect_b32 s66, -1, 0
	s_add_i32 s39, s51, s11
	v_mad_u64_u32 v[20:21], null, v16, s27, v[8:9]
	v_mov_b32_e32 v8, v19
	s_add_i32 s11, s39, s11
	s_add_u32 s30, s4, s48
	s_addc_u32 s31, s5, s49
	s_and_b32 s67, vcc_lo, s2
	v_cmp_gt_i64_e32 vcc_lo, s[26:27], v[12:13]
	s_delay_alu instid0(VALU_DEP_3) | instskip(SKIP_3) | instid1(VALU_DEP_3)
	v_dual_mov_b32 v15, v2 :: v_dual_mov_b32 v10, v20
	v_or_b32_e32 v13, v47, v1
	v_mov_b32_e32 v17, v2
	s_and_b32 s5, s38, s50
	v_cmp_gt_i64_e64 s3, s[26:27], v[14:15]
	s_and_b32 s68, vcc_lo, s2
	v_lshlrev_b32_e32 v52, 2, v13
	v_cmp_gt_i64_e32 vcc_lo, s[26:27], v[16:17]
	s_mul_hi_u32 s4, s34, s26
	v_or_b32_e32 v12, v47, v12
	s_and_b32 s69, s3, s2
	s_mul_hi_u32 s3, s34, s10
	v_or_b32_e32 v14, v47, v14
	s_and_b32 s70, vcc_lo, s2
	s_add_u32 s71, s16, 8
	s_addc_u32 s72, s17, 0
	s_mul_i32 s2, s34, s11
	s_add_u32 s73, s28, -8
	s_addc_u32 s74, s29, -1
	s_add_i32 s2, s3, s2
	s_mul_i32 s3, s35, s10
	s_lshl_b64 s[48:49], s[26:27], 2
	s_add_i32 s3, s2, s3
	s_mul_i32 s2, s34, s10
	s_lshl_b64 s[50:51], s[10:11], 2
	s_lshl_b64 s[2:3], s[2:3], 2
	v_lshlrev_b32_e32 v53, 2, v12
	s_add_u32 s38, s14, s2
	s_mul_i32 s2, s34, s27
	s_addc_u32 s39, s15, s3
	s_add_i32 s2, s4, s2
	s_mul_i32 s3, s35, s26
	v_or_b32_e32 v12, v47, v16
	s_add_i32 s3, s2, s3
	s_mul_i32 s2, s34, s26
	v_mov_b32_e32 v16, v2
	s_lshl_b64 s[2:3], s[2:3], 2
	v_dual_mov_b32 v6, v18 :: v_dual_lshlrev_b32 v55, 2, v12
	v_add_co_u32 v15, s2, s2, v11
	s_delay_alu instid0(VALU_DEP_1) | instskip(SKIP_2) | instid1(VALU_DEP_4)
	v_add_co_ci_u32_e64 v13, null, s3, 0, s2
	v_lshlrev_b32_e32 v54, 2, v14
	v_or_b32_e32 v12, 0x400, v0
	v_mul_lo_u32 v20, s27, v15
	s_delay_alu instid0(VALU_DEP_4)
	v_mul_lo_u32 v19, s26, v13
	v_mad_u64_u32 v[13:14], null, s26, v15, s[14:15]
	v_lshlrev_b32_e32 v15, 2, v1
	v_cmp_gt_u32_e64 s2, 0x700, v12
	v_mov_b32_e32 v12, v2
	v_add_co_u32 v17, s14, s38, v11
	s_delay_alu instid0(VALU_DEP_4)
	v_or_b32_e32 v57, 32, v15
	v_or_b32_e32 v60, 64, v15
	v_add_co_ci_u32_e64 v18, null, s39, 0, s14
	v_add_co_u32 v58, s14, s44, v15
	v_or_b32_e32 v63, 0x60, v15
	v_add_co_ci_u32_e64 v59, null, s45, 0, s14
	v_add_co_u32 v61, s14, s44, v57
	s_mov_b32 s46, s23
	v_add_co_ci_u32_e64 v62, null, s45, 0, s14
	v_add_co_u32 v64, s14, s44, v60
	s_delay_alu instid0(VALU_DEP_1)
	v_add_co_ci_u32_e64 v65, null, s45, 0, s14
	s_lshl_b64 s[14:15], s[46:47], 3
	v_add_co_u32 v66, s38, s44, v63
	v_add3_u32 v14, v20, v14, v19
	v_mov_b32_e32 v19, s36
	v_cmp_gt_u32_e64 s0, 2, v0
	v_lshlrev_b32_e32 v56, 2, v0
	v_cmp_gt_u32_e64 s3, 0x200, v0
	v_cmp_gt_u32_e64 s4, 0x100, v0
	v_add_co_ci_u32_e64 v67, null, s45, 0, s38
	s_sub_u32 s47, s6, s14
	v_mov_b32_e32 v20, s37
	v_mov_b32_e32 v68, 1
	s_subb_u32 s75, s7, s15
	s_sub_u32 s23, 1, s23
	s_subb_u32 s76, 0, 0
	s_mov_b64 s[14:15], 2
	s_mov_b64 s[6:7], 0
	s_branch .LBB104_16
.LBB104_14:                             ;   in Loop: Header=BB104_16 Depth=1
	s_or_b32 exec_lo, exec_lo, s6
.LBB104_15:                             ;   in Loop: Header=BB104_16 Depth=1
	v_cmp_lt_i64_e64 s6, s[52:53], s[24:25]
	s_delay_alu instid0(VALU_DEP_2)
	v_dual_mov_b32 v19, v21 :: v_dual_mov_b32 v20, v22
	s_waitcnt lgkmcnt(0)
	s_waitcnt_vscnt null, 0x0
	s_barrier
	buffer_gl0_inv
	s_and_b32 vcc_lo, s6, exec_lo
	s_cselect_b32 s6, s52, s24
	s_cselect_b32 s7, s53, s25
	s_add_u32 s14, s6, 2
	s_addc_u32 s15, s7, 0
	s_barrier
	buffer_gl0_inv
	s_cbranch_vccz .LBB104_121
.LBB104_16:                             ; =>This Loop Header: Depth=1
                                        ;     Child Loop BB104_26 Depth 2
                                        ;       Child Loop BB104_31 Depth 3
                                        ;         Child Loop BB104_46 Depth 4
                                        ;         Child Loop BB104_42 Depth 4
	;; [unrolled: 1-line block ×8, first 2 shown]
                                        ;     Child Loop BB104_82 Depth 2
	s_and_saveexec_b32 s36, s0
	s_cbranch_execz .LBB104_18
; %bb.17:                               ;   in Loop: Header=BB104_16 Depth=1
	ds_store_b8 v0, v2 offset:8192
.LBB104_18:                             ;   in Loop: Header=BB104_16 Depth=1
	s_or_b32 exec_lo, exec_lo, s36
	ds_store_2addr_stride64_b32 v56, v2, v2 offset1:4
	ds_store_2addr_stride64_b32 v56, v2, v2 offset0:8 offset1:12
	ds_store_b32 v56, v2 offset:4096
	s_and_saveexec_b32 s36, s2
	s_delay_alu instid0(SALU_CYCLE_1)
	s_xor_b32 s36, exec_lo, s36
	s_cbranch_execz .LBB104_24
; %bb.19:                               ;   in Loop: Header=BB104_16 Depth=1
	ds_store_b32 v56, v2 offset:5120
	s_and_saveexec_b32 s37, s3
	s_delay_alu instid0(SALU_CYCLE_1)
	s_xor_b32 s37, exec_lo, s37
	s_cbranch_execz .LBB104_23
; %bb.20:                               ;   in Loop: Header=BB104_16 Depth=1
	;; [unrolled: 6-line block ×3, first 2 shown]
	ds_store_b32 v56, v2 offset:7168
.LBB104_22:                             ;   in Loop: Header=BB104_16 Depth=1
	s_or_b32 exec_lo, exec_lo, s38
.LBB104_23:                             ;   in Loop: Header=BB104_16 Depth=1
	s_delay_alu instid0(SALU_CYCLE_1)
	s_or_b32 exec_lo, exec_lo, s37
.LBB104_24:                             ;   in Loop: Header=BB104_16 Depth=1
	s_delay_alu instid0(SALU_CYCLE_1) | instskip(NEXT) | instid1(SALU_CYCLE_1)
	s_or_b32 exec_lo, exec_lo, s36
	s_and_not1_b32 vcc_lo, exec_lo, s5
	s_mov_b64 s[52:53], s[24:25]
	s_waitcnt lgkmcnt(0)
	s_barrier
	buffer_gl0_inv
	s_cbranch_vccnz .LBB104_79
; %bb.25:                               ;   in Loop: Header=BB104_16 Depth=1
	v_dual_mov_b32 v22, v14 :: v_dual_mov_b32 v21, v13
	v_dual_mov_b32 v24, v18 :: v_dual_mov_b32 v23, v17
	s_cmp_lg_u64 s[6:7], 0
	s_mov_b64 s[56:57], s[24:25]
	s_cselect_b32 s77, -1, 0
	s_mov_b64 s[36:37], s[34:35]
.LBB104_26:                             ;   Parent Loop BB104_16 Depth=1
                                        ; =>  This Loop Header: Depth=2
                                        ;       Child Loop BB104_31 Depth 3
                                        ;         Child Loop BB104_46 Depth 4
                                        ;         Child Loop BB104_42 Depth 4
	;; [unrolled: 1-line block ×8, first 2 shown]
	s_delay_alu instid0(SALU_CYCLE_1) | instskip(NEXT) | instid1(SALU_CYCLE_1)
	s_lshl_b64 s[38:39], s[36:37], 3
	s_add_u32 s52, s12, s38
	s_addc_u32 s53, s13, s39
	s_load_b64 s[52:53], s[52:53], 0x0
	s_waitcnt lgkmcnt(0)
	s_sub_u32 s52, s52, s20
	s_subb_u32 s53, s53, 0
	s_and_b32 vcc_lo, exec_lo, s77
	s_cbranch_vccz .LBB104_78
; %bb.27:                               ;   in Loop: Header=BB104_26 Depth=2
	s_add_u32 s54, s42, s38
	s_addc_u32 s55, s43, s39
	global_load_b64 v[25:26], v2, s[54:55]
	s_waitcnt vmcnt(0)
	v_readfirstlane_b32 s54, v25
	v_readfirstlane_b32 s55, v26
	s_cbranch_execnz .LBB104_29
.LBB104_28:                             ;   in Loop: Header=BB104_26 Depth=2
	s_lshl_b64 s[54:55], s[52:53], 3
	s_delay_alu instid0(SALU_CYCLE_1)
	s_add_u32 s54, s16, s54
	s_addc_u32 s55, s17, s55
	s_load_b64 s[54:55], s[54:55], 0x0
	s_waitcnt lgkmcnt(0)
	s_sub_u32 s54, s54, s21
	s_subb_u32 s55, s55, 0
.LBB104_29:                             ;   in Loop: Header=BB104_26 Depth=2
	s_lshl_b64 s[52:53], s[52:53], 3
	s_delay_alu instid0(SALU_CYCLE_1)
	s_add_u32 s52, s71, s52
	s_addc_u32 s53, s72, s53
	s_load_b64 s[52:53], s[52:53], 0x0
	s_waitcnt lgkmcnt(0)
	s_sub_u32 s58, s52, s21
	s_subb_u32 s59, s53, 0
	s_delay_alu instid0(SALU_CYCLE_1) | instskip(NEXT) | instid1(VALU_DEP_1)
	v_cmp_ge_i64_e64 s52, s[54:55], s[58:59]
	s_and_b32 vcc_lo, exec_lo, s52
	s_cbranch_vccnz .LBB104_75
; %bb.30:                               ;   in Loop: Header=BB104_26 Depth=2
	s_mul_i32 s52, s48, s55
	s_mul_hi_u32 s53, s48, s54
	s_mul_i32 s60, s49, s54
	s_add_i32 s52, s53, s52
	s_mul_i32 s53, s48, s54
	s_add_i32 s52, s52, s60
	v_add_co_u32 v27, s60, v15, s53
	s_delay_alu instid0(VALU_DEP_1) | instskip(SKIP_1) | instid1(VALU_DEP_3)
	v_add_co_ci_u32_e64 v25, null, 0, s52, s60
	v_add_co_u32 v31, s61, v57, s53
	v_mul_lo_u32 v29, s27, v27
	s_delay_alu instid0(VALU_DEP_3)
	v_mul_lo_u32 v30, s26, v25
	v_mad_u64_u32 v[25:26], null, s26, v27, s[44:45]
	v_add_co_ci_u32_e64 v27, null, 0, s52, s61
	v_mul_lo_u32 v33, s27, v31
	s_mul_i32 s60, s50, s55
	s_mul_hi_u32 s61, s50, s54
	s_delay_alu instid0(VALU_DEP_2)
	v_mul_lo_u32 v32, s26, v27
	v_mad_u64_u32 v[27:28], null, s26, v31, s[44:45]
	s_add_i32 s60, s61, s60
	s_mul_i32 s61, s51, s54
	v_add3_u32 v26, v29, v26, v30
	s_add_i32 s60, s60, s61
	s_mul_i32 s61, s50, s54
	s_delay_alu instid0(VALU_DEP_2) | instskip(SKIP_1) | instid1(VALU_DEP_1)
	v_add3_u32 v28, v33, v28, v32
	v_add_co_u32 v33, s62, v60, s53
	v_add_co_ci_u32_e64 v31, null, 0, s52, s62
	v_add_co_u32 v35, s53, v63, s53
	s_delay_alu instid0(VALU_DEP_1) | instskip(NEXT) | instid1(VALU_DEP_3)
	v_add_co_ci_u32_e64 v34, null, 0, s52, s53
	v_mul_lo_u32 v37, s26, v31
	v_mul_lo_u32 v38, s27, v33
	v_mad_u64_u32 v[31:32], null, s26, v33, s[44:45]
	v_add_co_u32 v29, vcc_lo, v58, s61
	v_mul_lo_u32 v39, s26, v34
	v_mul_lo_u32 v40, s27, v35
	v_mad_u64_u32 v[33:34], null, s26, v35, s[44:45]
	v_add_co_ci_u32_e32 v30, vcc_lo, s60, v59, vcc_lo
	v_add_co_u32 v35, vcc_lo, v61, s61
	v_add_co_ci_u32_e32 v36, vcc_lo, s60, v62, vcc_lo
	v_add3_u32 v32, v38, v32, v37
	v_add_co_u32 v37, vcc_lo, v64, s61
	v_add_co_ci_u32_e32 v38, vcc_lo, s60, v65, vcc_lo
	v_add3_u32 v34, v40, v34, v39
	v_add_co_u32 v39, vcc_lo, v66, s61
	v_add_co_ci_u32_e32 v40, vcc_lo, s60, v67, vcc_lo
	s_mov_b64 s[60:61], s[54:55]
.LBB104_31:                             ;   Parent Loop BB104_16 Depth=1
                                        ;     Parent Loop BB104_26 Depth=2
                                        ; =>    This Loop Header: Depth=3
                                        ;         Child Loop BB104_46 Depth 4
                                        ;         Child Loop BB104_42 Depth 4
	;; [unrolled: 1-line block ×8, first 2 shown]
	s_lshl_b64 s[52:53], s[54:55], 3
	s_mov_b32 s79, -1
	s_add_u32 s52, s18, s52
	s_addc_u32 s53, s19, s53
                                        ; implicit-def: $sgpr62_sgpr63
                                        ; implicit-def: $sgpr78
	s_load_b64 s[52:53], s[52:53], 0x0
	s_waitcnt lgkmcnt(0)
	s_sub_u32 s64, s52, s21
	s_subb_u32 s65, s53, 0
	s_delay_alu instid0(SALU_CYCLE_1) | instskip(SKIP_2) | instid1(VALU_DEP_2)
	v_cmp_ge_i64_e64 s52, s[64:65], s[6:7]
	v_cmp_lt_i64_e64 s53, s[64:65], s[14:15]
	v_cmp_ge_i64_e64 s80, s[64:65], s[14:15]
	s_and_b32 s52, s52, s53
	s_delay_alu instid0(SALU_CYCLE_1)
	s_and_not1_b32 vcc_lo, exec_lo, s52
                                        ; implicit-def: $sgpr52_sgpr53
	s_cbranch_vccz .LBB104_35
; %bb.32:                               ;   in Loop: Header=BB104_31 Depth=3
	s_mov_b32 s78, -1
	s_delay_alu instid0(VALU_DEP_1)
	s_and_not1_b32 vcc_lo, exec_lo, s80
	s_mov_b64 s[62:63], s[60:61]
	s_mov_b64 s[52:53], s[56:57]
	s_cbranch_vccnz .LBB104_34
; %bb.33:                               ;   in Loop: Header=BB104_31 Depth=3
	v_cmp_lt_i64_e64 s52, s[64:65], s[56:57]
	s_mov_b32 s78, 0
	s_mov_b64 s[62:63], s[54:55]
	s_delay_alu instid0(VALU_DEP_1)
	s_and_b32 s52, s52, exec_lo
	s_cselect_b32 s53, s65, s57
	s_cselect_b32 s52, s64, s56
.LBB104_34:                             ;   in Loop: Header=BB104_31 Depth=3
	s_mov_b32 s79, 0
.LBB104_35:                             ;   in Loop: Header=BB104_31 Depth=3
	s_delay_alu instid0(SALU_CYCLE_1)
	s_and_not1_b32 vcc_lo, exec_lo, s79
	s_cbranch_vccnz .LBB104_73
; %bb.36:                               ;   in Loop: Header=BB104_31 Depth=3
	s_sub_i32 s52, s64, s6
	s_delay_alu instid0(SALU_CYCLE_1)
	v_mov_b32_e32 v41, s52
	v_lshl_add_u32 v69, s52, 10, v47
	ds_store_b8 v41, v68 offset:8192
	s_and_saveexec_b32 s62, s67
	s_cbranch_execnz .LBB104_40
; %bb.37:                               ;   in Loop: Header=BB104_31 Depth=3
	s_or_b32 exec_lo, exec_lo, s62
	s_and_saveexec_b32 s62, s68
	s_cbranch_execnz .LBB104_48
.LBB104_38:                             ;   in Loop: Header=BB104_31 Depth=3
	s_or_b32 exec_lo, exec_lo, s62
	s_and_saveexec_b32 s62, s69
	s_cbranch_execnz .LBB104_56
.LBB104_39:                             ;   in Loop: Header=BB104_31 Depth=3
	s_or_b32 exec_lo, exec_lo, s62
	s_and_saveexec_b32 s62, s70
	s_cbranch_execnz .LBB104_64
	s_branch .LBB104_72
.LBB104_40:                             ;   in Loop: Header=BB104_31 Depth=3
	s_and_not1_b32 vcc_lo, exec_lo, s66
	s_cbranch_vccnz .LBB104_44
; %bb.41:                               ;   in Loop: Header=BB104_31 Depth=3
	v_mov_b32_e32 v42, v24
	v_dual_mov_b32 v44, v26 :: v_dual_mov_b32 v43, v25
	v_dual_mov_b32 v70, 0 :: v_dual_mov_b32 v41, v23
	s_mov_b64 s[52:53], s[26:27]
.LBB104_42:                             ;   Parent Loop BB104_16 Depth=1
                                        ;     Parent Loop BB104_26 Depth=2
                                        ;       Parent Loop BB104_31 Depth=3
                                        ; =>      This Inner Loop Header: Depth=4
	global_load_b32 v71, v[41:42], off
	global_load_b32 v72, v[43:44], off
	v_add_co_u32 v43, vcc_lo, v43, 4
	v_add_co_ci_u32_e32 v44, vcc_lo, 0, v44, vcc_lo
	v_add_co_u32 v41, vcc_lo, v41, s48
	s_add_u32 s52, s52, -1
	v_add_co_ci_u32_e32 v42, vcc_lo, s49, v42, vcc_lo
	s_addc_u32 s53, s53, -1
	s_delay_alu instid0(SALU_CYCLE_1)
	s_cmp_lg_u64 s[52:53], 0
	s_waitcnt vmcnt(0)
	v_fmac_f32_e32 v70, v71, v72
	s_cbranch_scc1 .LBB104_42
; %bb.43:                               ;   in Loop: Header=BB104_31 Depth=3
	s_branch .LBB104_47
.LBB104_44:                             ;   in Loop: Header=BB104_31 Depth=3
                                        ; implicit-def: $vgpr70
	s_cbranch_execz .LBB104_47
; %bb.45:                               ;   in Loop: Header=BB104_31 Depth=3
	v_mov_b32_e32 v42, v30
	v_dual_mov_b32 v44, v22 :: v_dual_mov_b32 v43, v21
	v_dual_mov_b32 v70, 0 :: v_dual_mov_b32 v41, v29
	s_mov_b64 s[52:53], s[26:27]
.LBB104_46:                             ;   Parent Loop BB104_16 Depth=1
                                        ;     Parent Loop BB104_26 Depth=2
                                        ;       Parent Loop BB104_31 Depth=3
                                        ; =>      This Inner Loop Header: Depth=4
	global_load_b32 v71, v[43:44], off
	global_load_b32 v72, v[41:42], off
	v_add_co_u32 v43, vcc_lo, v43, 4
	v_add_co_ci_u32_e32 v44, vcc_lo, 0, v44, vcc_lo
	v_add_co_u32 v41, vcc_lo, v41, s48
	s_add_u32 s52, s52, -1
	v_add_co_ci_u32_e32 v42, vcc_lo, s49, v42, vcc_lo
	s_addc_u32 s53, s53, -1
	s_delay_alu instid0(SALU_CYCLE_1)
	s_cmp_eq_u64 s[52:53], 0
	s_waitcnt vmcnt(0)
	v_fmac_f32_e32 v70, v71, v72
	s_cbranch_scc0 .LBB104_46
.LBB104_47:                             ;   in Loop: Header=BB104_31 Depth=3
	v_or_b32_e32 v41, v69, v1
	s_delay_alu instid0(VALU_DEP_1)
	v_lshlrev_b32_e32 v41, 2, v41
	ds_load_b32 v42, v41
	s_waitcnt lgkmcnt(0)
	v_fmac_f32_e32 v42, v45, v70
	ds_store_b32 v41, v42
	s_or_b32 exec_lo, exec_lo, s62
	s_and_saveexec_b32 s62, s68
	s_cbranch_execz .LBB104_38
.LBB104_48:                             ;   in Loop: Header=BB104_31 Depth=3
	s_and_not1_b32 vcc_lo, exec_lo, s66
	s_cbranch_vccnz .LBB104_52
; %bb.49:                               ;   in Loop: Header=BB104_31 Depth=3
	v_mov_b32_e32 v42, v24
	v_dual_mov_b32 v44, v28 :: v_dual_mov_b32 v43, v27
	v_dual_mov_b32 v70, 0 :: v_dual_mov_b32 v41, v23
	s_mov_b64 s[52:53], s[26:27]
.LBB104_50:                             ;   Parent Loop BB104_16 Depth=1
                                        ;     Parent Loop BB104_26 Depth=2
                                        ;       Parent Loop BB104_31 Depth=3
                                        ; =>      This Inner Loop Header: Depth=4
	global_load_b32 v71, v[41:42], off
	global_load_b32 v72, v[43:44], off
	v_add_co_u32 v43, vcc_lo, v43, 4
	v_add_co_ci_u32_e32 v44, vcc_lo, 0, v44, vcc_lo
	v_add_co_u32 v41, vcc_lo, v41, s48
	s_add_u32 s52, s52, -1
	v_add_co_ci_u32_e32 v42, vcc_lo, s49, v42, vcc_lo
	s_addc_u32 s53, s53, -1
	s_delay_alu instid0(SALU_CYCLE_1)
	s_cmp_eq_u64 s[52:53], 0
	s_waitcnt vmcnt(0)
	v_fmac_f32_e32 v70, v71, v72
	s_cbranch_scc0 .LBB104_50
; %bb.51:                               ;   in Loop: Header=BB104_31 Depth=3
	s_branch .LBB104_55
.LBB104_52:                             ;   in Loop: Header=BB104_31 Depth=3
                                        ; implicit-def: $vgpr70
	s_cbranch_execz .LBB104_55
; %bb.53:                               ;   in Loop: Header=BB104_31 Depth=3
	v_mov_b32_e32 v42, v36
	v_dual_mov_b32 v44, v22 :: v_dual_mov_b32 v43, v21
	v_dual_mov_b32 v70, 0 :: v_dual_mov_b32 v41, v35
	s_mov_b64 s[52:53], s[26:27]
.LBB104_54:                             ;   Parent Loop BB104_16 Depth=1
                                        ;     Parent Loop BB104_26 Depth=2
                                        ;       Parent Loop BB104_31 Depth=3
                                        ; =>      This Inner Loop Header: Depth=4
	global_load_b32 v71, v[43:44], off
	global_load_b32 v72, v[41:42], off
	v_add_co_u32 v43, vcc_lo, v43, 4
	v_add_co_ci_u32_e32 v44, vcc_lo, 0, v44, vcc_lo
	v_add_co_u32 v41, vcc_lo, v41, s48
	s_add_u32 s52, s52, -1
	v_add_co_ci_u32_e32 v42, vcc_lo, s49, v42, vcc_lo
	s_addc_u32 s53, s53, -1
	s_delay_alu instid0(SALU_CYCLE_1)
	s_cmp_eq_u64 s[52:53], 0
	s_waitcnt vmcnt(0)
	v_fmac_f32_e32 v70, v71, v72
	s_cbranch_scc0 .LBB104_54
.LBB104_55:                             ;   in Loop: Header=BB104_31 Depth=3
	v_add_lshl_u32 v41, v69, v1, 2
	ds_load_b32 v42, v41 offset:32
	s_waitcnt lgkmcnt(0)
	v_fmac_f32_e32 v42, v45, v70
	ds_store_b32 v41, v42 offset:32
	s_or_b32 exec_lo, exec_lo, s62
	s_and_saveexec_b32 s62, s69
	s_cbranch_execz .LBB104_39
.LBB104_56:                             ;   in Loop: Header=BB104_31 Depth=3
	s_and_not1_b32 vcc_lo, exec_lo, s66
	s_cbranch_vccnz .LBB104_60
; %bb.57:                               ;   in Loop: Header=BB104_31 Depth=3
	v_mov_b32_e32 v42, v24
	v_dual_mov_b32 v44, v32 :: v_dual_mov_b32 v43, v31
	v_dual_mov_b32 v70, 0 :: v_dual_mov_b32 v41, v23
	s_mov_b64 s[52:53], s[26:27]
.LBB104_58:                             ;   Parent Loop BB104_16 Depth=1
                                        ;     Parent Loop BB104_26 Depth=2
                                        ;       Parent Loop BB104_31 Depth=3
                                        ; =>      This Inner Loop Header: Depth=4
	global_load_b32 v71, v[41:42], off
	global_load_b32 v72, v[43:44], off
	v_add_co_u32 v43, vcc_lo, v43, 4
	v_add_co_ci_u32_e32 v44, vcc_lo, 0, v44, vcc_lo
	v_add_co_u32 v41, vcc_lo, v41, s48
	s_add_u32 s52, s52, -1
	v_add_co_ci_u32_e32 v42, vcc_lo, s49, v42, vcc_lo
	s_addc_u32 s53, s53, -1
	s_delay_alu instid0(SALU_CYCLE_1)
	s_cmp_eq_u64 s[52:53], 0
	s_waitcnt vmcnt(0)
	v_fmac_f32_e32 v70, v71, v72
	s_cbranch_scc0 .LBB104_58
; %bb.59:                               ;   in Loop: Header=BB104_31 Depth=3
	s_branch .LBB104_63
.LBB104_60:                             ;   in Loop: Header=BB104_31 Depth=3
                                        ; implicit-def: $vgpr70
	s_cbranch_execz .LBB104_63
; %bb.61:                               ;   in Loop: Header=BB104_31 Depth=3
	v_mov_b32_e32 v42, v38
	v_dual_mov_b32 v44, v22 :: v_dual_mov_b32 v43, v21
	v_dual_mov_b32 v70, 0 :: v_dual_mov_b32 v41, v37
	s_mov_b64 s[52:53], s[26:27]
.LBB104_62:                             ;   Parent Loop BB104_16 Depth=1
                                        ;     Parent Loop BB104_26 Depth=2
                                        ;       Parent Loop BB104_31 Depth=3
                                        ; =>      This Inner Loop Header: Depth=4
	global_load_b32 v71, v[43:44], off
	global_load_b32 v72, v[41:42], off
	v_add_co_u32 v43, vcc_lo, v43, 4
	v_add_co_ci_u32_e32 v44, vcc_lo, 0, v44, vcc_lo
	v_add_co_u32 v41, vcc_lo, v41, s48
	s_add_u32 s52, s52, -1
	v_add_co_ci_u32_e32 v42, vcc_lo, s49, v42, vcc_lo
	s_addc_u32 s53, s53, -1
	s_delay_alu instid0(SALU_CYCLE_1)
	s_cmp_eq_u64 s[52:53], 0
	s_waitcnt vmcnt(0)
	v_fmac_f32_e32 v70, v71, v72
	s_cbranch_scc0 .LBB104_62
.LBB104_63:                             ;   in Loop: Header=BB104_31 Depth=3
	v_add_lshl_u32 v41, v69, v1, 2
	ds_load_b32 v42, v41 offset:64
	s_waitcnt lgkmcnt(0)
	v_fmac_f32_e32 v42, v45, v70
	ds_store_b32 v41, v42 offset:64
	s_or_b32 exec_lo, exec_lo, s62
	s_and_saveexec_b32 s62, s70
	s_cbranch_execz .LBB104_72
.LBB104_64:                             ;   in Loop: Header=BB104_31 Depth=3
	s_and_not1_b32 vcc_lo, exec_lo, s66
	s_cbranch_vccnz .LBB104_68
; %bb.65:                               ;   in Loop: Header=BB104_31 Depth=3
	v_mov_b32_e32 v42, v24
	v_dual_mov_b32 v44, v34 :: v_dual_mov_b32 v43, v33
	v_dual_mov_b32 v70, 0 :: v_dual_mov_b32 v41, v23
	s_mov_b64 s[52:53], s[26:27]
.LBB104_66:                             ;   Parent Loop BB104_16 Depth=1
                                        ;     Parent Loop BB104_26 Depth=2
                                        ;       Parent Loop BB104_31 Depth=3
                                        ; =>      This Inner Loop Header: Depth=4
	global_load_b32 v71, v[41:42], off
	global_load_b32 v72, v[43:44], off
	v_add_co_u32 v43, vcc_lo, v43, 4
	v_add_co_ci_u32_e32 v44, vcc_lo, 0, v44, vcc_lo
	v_add_co_u32 v41, vcc_lo, v41, s48
	s_add_u32 s52, s52, -1
	v_add_co_ci_u32_e32 v42, vcc_lo, s49, v42, vcc_lo
	s_addc_u32 s53, s53, -1
	s_delay_alu instid0(SALU_CYCLE_1)
	s_cmp_eq_u64 s[52:53], 0
	s_waitcnt vmcnt(0)
	v_fmac_f32_e32 v70, v71, v72
	s_cbranch_scc0 .LBB104_66
; %bb.67:                               ;   in Loop: Header=BB104_31 Depth=3
	s_branch .LBB104_71
.LBB104_68:                             ;   in Loop: Header=BB104_31 Depth=3
                                        ; implicit-def: $vgpr70
	s_cbranch_execz .LBB104_71
; %bb.69:                               ;   in Loop: Header=BB104_31 Depth=3
	v_mov_b32_e32 v42, v40
	v_dual_mov_b32 v44, v22 :: v_dual_mov_b32 v43, v21
	v_dual_mov_b32 v70, 0 :: v_dual_mov_b32 v41, v39
	s_mov_b64 s[52:53], s[26:27]
.LBB104_70:                             ;   Parent Loop BB104_16 Depth=1
                                        ;     Parent Loop BB104_26 Depth=2
                                        ;       Parent Loop BB104_31 Depth=3
                                        ; =>      This Inner Loop Header: Depth=4
	global_load_b32 v71, v[43:44], off
	global_load_b32 v72, v[41:42], off
	v_add_co_u32 v43, vcc_lo, v43, 4
	v_add_co_ci_u32_e32 v44, vcc_lo, 0, v44, vcc_lo
	v_add_co_u32 v41, vcc_lo, v41, s48
	s_add_u32 s52, s52, -1
	v_add_co_ci_u32_e32 v42, vcc_lo, s49, v42, vcc_lo
	s_addc_u32 s53, s53, -1
	s_delay_alu instid0(SALU_CYCLE_1)
	s_cmp_eq_u64 s[52:53], 0
	s_waitcnt vmcnt(0)
	v_fmac_f32_e32 v70, v71, v72
	s_cbranch_scc0 .LBB104_70
.LBB104_71:                             ;   in Loop: Header=BB104_31 Depth=3
	v_add_lshl_u32 v41, v69, v1, 2
	ds_load_b32 v42, v41 offset:96
	s_waitcnt lgkmcnt(0)
	v_fmac_f32_e32 v42, v45, v70
	ds_store_b32 v41, v42 offset:96
.LBB104_72:                             ;   in Loop: Header=BB104_31 Depth=3
	s_or_b32 exec_lo, exec_lo, s62
	s_mov_b32 s78, -1
	s_mov_b64 s[62:63], s[60:61]
	s_mov_b64 s[52:53], s[56:57]
	s_waitcnt lgkmcnt(0)
	s_waitcnt_vscnt null, 0x0
	s_barrier
	buffer_gl0_inv
.LBB104_73:                             ;   in Loop: Header=BB104_31 Depth=3
	v_add_co_u32 v25, vcc_lo, v25, s50
	v_add_co_ci_u32_e32 v26, vcc_lo, s51, v26, vcc_lo
	v_add_co_u32 v29, vcc_lo, v29, s50
	v_add_co_ci_u32_e32 v30, vcc_lo, s51, v30, vcc_lo
	;; [unrolled: 2-line block ×5, first 2 shown]
	s_add_u32 s54, s54, 1
	v_add_co_u32 v37, vcc_lo, v37, s50
	s_addc_u32 s55, s55, 0
	v_add_co_ci_u32_e32 v38, vcc_lo, s51, v38, vcc_lo
	v_cmp_lt_i64_e64 s56, s[54:55], s[58:59]
	v_add_co_u32 v33, vcc_lo, v33, s50
	v_add_co_ci_u32_e32 v34, vcc_lo, s51, v34, vcc_lo
	v_add_co_u32 v39, vcc_lo, v39, s50
	v_add_co_ci_u32_e32 v40, vcc_lo, s51, v40, vcc_lo
	s_and_b32 s56, s78, s56
	s_delay_alu instid0(SALU_CYCLE_1)
	s_and_b32 vcc_lo, exec_lo, s56
	s_cbranch_vccz .LBB104_76
; %bb.74:                               ;   in Loop: Header=BB104_31 Depth=3
	s_mov_b64 s[60:61], s[62:63]
	s_mov_b64 s[56:57], s[52:53]
	s_branch .LBB104_31
.LBB104_75:                             ;   in Loop: Header=BB104_26 Depth=2
	s_mov_b64 s[62:63], s[54:55]
	s_mov_b64 s[52:53], s[56:57]
.LBB104_76:                             ;   in Loop: Header=BB104_26 Depth=2
	s_add_u32 s38, s42, s38
	s_addc_u32 s39, s43, s39
	s_add_u32 s36, s36, 1
	s_addc_u32 s37, s37, 0
	v_add_co_u32 v23, vcc_lo, v23, s50
	v_cmp_lt_i64_e64 s54, s[36:37], s[40:41]
	v_add_co_ci_u32_e32 v24, vcc_lo, s51, v24, vcc_lo
	v_add_co_u32 v21, vcc_lo, v21, s50
	v_dual_mov_b32 v25, s62 :: v_dual_mov_b32 v26, s63
	v_add_co_ci_u32_e32 v22, vcc_lo, s51, v22, vcc_lo
	s_and_b32 vcc_lo, exec_lo, s54
	global_store_b64 v2, v[25:26], s[38:39]
	s_cbranch_vccz .LBB104_79
; %bb.77:                               ;   in Loop: Header=BB104_26 Depth=2
	s_mov_b64 s[56:57], s[52:53]
	s_branch .LBB104_26
.LBB104_78:                             ;   in Loop: Header=BB104_26 Depth=2
                                        ; implicit-def: $sgpr54_sgpr55
	s_branch .LBB104_28
.LBB104_79:                             ;   in Loop: Header=BB104_16 Depth=1
	s_and_not1_b32 vcc_lo, exec_lo, s33
	s_cbranch_vccnz .LBB104_97
; %bb.80:                               ;   in Loop: Header=BB104_16 Depth=1
	s_load_b128 s[36:39], s[30:31], 0x0
	s_waitcnt lgkmcnt(0)
	v_cmp_ge_i64_e64 s54, s[36:37], s[38:39]
	s_delay_alu instid0(VALU_DEP_1)
	s_and_b32 vcc_lo, exec_lo, s54
	s_cbranch_vccnz .LBB104_97
; %bb.81:                               ;   in Loop: Header=BB104_16 Depth=1
	s_sub_u32 s38, s38, s46
	s_subb_u32 s39, s39, 0
	s_sub_u32 s56, s36, s46
	s_subb_u32 s57, s37, 0
	s_lshl_b64 s[54:55], s[36:37], 3
	s_mul_i32 s57, s48, s57
	s_mul_hi_u32 s58, s48, s56
	s_add_u32 s54, s47, s54
	s_addc_u32 s55, s75, s55
	s_add_i32 s57, s58, s57
	s_mul_i32 s58, s49, s56
	s_mul_i32 s56, s48, s56
	s_add_i32 s57, s57, s58
	v_add_co_u32 v23, s58, v11, s56
	s_delay_alu instid0(VALU_DEP_1) | instskip(SKIP_1) | instid1(VALU_DEP_3)
	v_add_co_ci_u32_e64 v21, null, 0, s57, s58
	v_add_co_u32 v25, s58, v15, s56
	v_mul_lo_u32 v32, s27, v23
	s_delay_alu instid0(VALU_DEP_3) | instskip(SKIP_3) | instid1(VALU_DEP_1)
	v_mul_lo_u32 v31, s26, v21
	v_mad_u64_u32 v[21:22], null, s26, v23, v[15:16]
	v_add_co_ci_u32_e64 v23, null, 0, s57, s58
	v_add_co_u32 v27, s58, v57, s56
	v_add_co_ci_u32_e64 v26, null, 0, s57, s58
	v_add_co_u32 v29, s58, v60, s56
	v_add_co_u32 v37, s56, v63, s56
	v_mul_lo_u32 v33, s26, v23
	v_mul_lo_u32 v34, s27, v25
	v_mad_u64_u32 v[23:24], null, s26, v25, v[11:12]
	v_mul_lo_u32 v35, s26, v26
	v_mul_lo_u32 v36, s27, v27
	v_mad_u64_u32 v[25:26], null, s26, v27, v[11:12]
	v_add_co_ci_u32_e64 v27, null, 0, s57, s58
	v_add_co_ci_u32_e64 v30, null, 0, s57, s56
	v_mul_lo_u32 v39, s27, v29
	s_delay_alu instid0(VALU_DEP_3) | instskip(SKIP_1) | instid1(VALU_DEP_4)
	v_mul_lo_u32 v38, s26, v27
	v_mad_u64_u32 v[27:28], null, s26, v29, v[11:12]
	v_mul_lo_u32 v40, s26, v30
	v_mul_lo_u32 v41, s27, v37
	v_mad_u64_u32 v[29:30], null, s26, v37, v[11:12]
	v_add3_u32 v22, v32, v22, v31
	v_add3_u32 v24, v34, v24, v33
	;; [unrolled: 1-line block ×4, first 2 shown]
	s_add_u32 s36, s23, s36
	s_addc_u32 s37, s76, s37
	v_add3_u32 v30, v41, v30, v40
	s_mov_b64 s[56:57], s[8:9]
.LBB104_82:                             ;   Parent Loop BB104_16 Depth=1
                                        ; =>  This Inner Loop Header: Depth=2
	s_load_b64 s[58:59], s[54:55], 0x0
	s_mov_b32 s63, -1
	s_waitcnt lgkmcnt(0)
	s_sub_u32 s60, s58, s46
	s_subb_u32 s61, s59, 0
	s_delay_alu instid0(SALU_CYCLE_1) | instskip(SKIP_1) | instid1(VALU_DEP_1)
	v_cmp_ge_i64_e64 s58, s[60:61], s[6:7]
	v_cmp_lt_i64_e64 s62, s[60:61], s[14:15]
	s_and_b32 s58, s58, s62
	s_delay_alu instid0(SALU_CYCLE_1)
	s_and_not1_b32 vcc_lo, exec_lo, s58
                                        ; implicit-def: $sgpr58_sgpr59
	s_cbranch_vccz .LBB104_84
; %bb.83:                               ;   in Loop: Header=BB104_82 Depth=2
	v_cmp_lt_i64_e64 s58, s[60:61], s[52:53]
	s_mov_b32 s63, 0
	s_delay_alu instid0(VALU_DEP_1)
	s_and_b32 s58, s58, exec_lo
	s_cselect_b32 s58, s60, s52
	s_cselect_b32 s59, s61, s53
	s_and_b32 s61, s62, exec_lo
	s_cselect_b32 s59, s53, s59
	s_cselect_b32 s58, s52, s58
.LBB104_84:                             ;   in Loop: Header=BB104_82 Depth=2
	s_and_not1_b32 vcc_lo, exec_lo, s63
	s_cbranch_vccnz .LBB104_91
; %bb.85:                               ;   in Loop: Header=BB104_82 Depth=2
	s_sub_i32 s58, s60, s6
	s_delay_alu instid0(SALU_CYCLE_1)
	v_mov_b32_e32 v32, s58
	v_lshl_add_u32 v31, s58, 10, v47
	ds_store_b8 v32, v68 offset:8192
	s_and_saveexec_b32 s58, s67
	s_cbranch_execnz .LBB104_93
; %bb.86:                               ;   in Loop: Header=BB104_82 Depth=2
	s_or_b32 exec_lo, exec_lo, s58
	v_add_lshl_u32 v31, v31, v1, 2
	s_and_saveexec_b32 s58, s68
	s_cbranch_execnz .LBB104_94
.LBB104_87:                             ;   in Loop: Header=BB104_82 Depth=2
	s_or_b32 exec_lo, exec_lo, s58
	s_and_saveexec_b32 s58, s69
	s_cbranch_execnz .LBB104_95
.LBB104_88:                             ;   in Loop: Header=BB104_82 Depth=2
	s_or_b32 exec_lo, exec_lo, s58
	s_and_saveexec_b32 s58, s70
	s_cbranch_execz .LBB104_90
.LBB104_89:                             ;   in Loop: Header=BB104_82 Depth=2
	v_add_co_u32 v32, vcc_lo, s56, v21
	v_add_co_ci_u32_e32 v33, vcc_lo, s57, v22, vcc_lo
	s_delay_alu instid0(VALU_DEP_2) | instskip(NEXT) | instid1(VALU_DEP_2)
	v_add_co_u32 v32, vcc_lo, 0x60, v32
	v_add_co_ci_u32_e32 v33, vcc_lo, 0, v33, vcc_lo
	v_add_co_u32 v34, vcc_lo, s56, v29
	v_add_co_ci_u32_e32 v35, vcc_lo, s57, v30, vcc_lo
	s_delay_alu instid0(VALU_DEP_2) | instskip(NEXT) | instid1(VALU_DEP_2)
	v_cndmask_b32_e64 v32, v34, v32, s1
	v_cndmask_b32_e64 v33, v35, v33, s1
	global_load_b32 v32, v[32:33], off
	ds_load_b32 v33, v31 offset:96
	s_waitcnt vmcnt(0) lgkmcnt(0)
	v_fmac_f32_e32 v33, v46, v32
	ds_store_b32 v31, v33 offset:96
.LBB104_90:                             ;   in Loop: Header=BB104_82 Depth=2
	s_or_b32 exec_lo, exec_lo, s58
	s_mov_b32 s62, -1
	s_mov_b64 s[58:59], s[52:53]
	s_waitcnt lgkmcnt(0)
	s_waitcnt_vscnt null, 0x0
	s_barrier
	buffer_gl0_inv
.LBB104_91:                             ;   in Loop: Header=BB104_82 Depth=2
	v_cmp_lt_i64_e64 s52, s[36:37], s[38:39]
	s_delay_alu instid0(VALU_DEP_1)
	s_and_b32 s52, s62, s52
	s_add_u32 s54, s54, 8
	s_addc_u32 s55, s55, 0
	s_add_u32 s56, s56, s50
	s_addc_u32 s57, s57, s51
	;; [unrolled: 2-line block ×3, first 2 shown]
	s_and_b32 vcc_lo, exec_lo, s52
	s_cbranch_vccz .LBB104_96
; %bb.92:                               ;   in Loop: Header=BB104_82 Depth=2
	s_mov_b64 s[52:53], s[58:59]
	s_branch .LBB104_82
.LBB104_93:                             ;   in Loop: Header=BB104_82 Depth=2
	v_cndmask_b32_e64 v32, v23, v21, s1
	v_cndmask_b32_e64 v33, v24, v22, s1
	s_delay_alu instid0(VALU_DEP_2) | instskip(NEXT) | instid1(VALU_DEP_2)
	v_add_co_u32 v32, vcc_lo, s56, v32
	v_add_co_ci_u32_e32 v33, vcc_lo, s57, v33, vcc_lo
	global_load_b32 v32, v[32:33], off
	v_or_b32_e32 v33, v31, v1
	s_delay_alu instid0(VALU_DEP_1)
	v_lshlrev_b32_e32 v33, 2, v33
	ds_load_b32 v34, v33
	s_waitcnt vmcnt(0) lgkmcnt(0)
	v_fmac_f32_e32 v34, v46, v32
	ds_store_b32 v33, v34
	s_or_b32 exec_lo, exec_lo, s58
	v_add_lshl_u32 v31, v31, v1, 2
	s_and_saveexec_b32 s58, s68
	s_cbranch_execz .LBB104_87
.LBB104_94:                             ;   in Loop: Header=BB104_82 Depth=2
	v_add_co_u32 v32, vcc_lo, s56, v21
	v_add_co_ci_u32_e32 v33, vcc_lo, s57, v22, vcc_lo
	s_delay_alu instid0(VALU_DEP_2) | instskip(NEXT) | instid1(VALU_DEP_2)
	v_add_co_u32 v32, vcc_lo, v32, 32
	v_add_co_ci_u32_e32 v33, vcc_lo, 0, v33, vcc_lo
	v_add_co_u32 v34, vcc_lo, s56, v25
	v_add_co_ci_u32_e32 v35, vcc_lo, s57, v26, vcc_lo
	s_delay_alu instid0(VALU_DEP_2) | instskip(NEXT) | instid1(VALU_DEP_2)
	v_cndmask_b32_e64 v32, v34, v32, s1
	v_cndmask_b32_e64 v33, v35, v33, s1
	global_load_b32 v32, v[32:33], off
	ds_load_b32 v33, v31 offset:32
	s_waitcnt vmcnt(0) lgkmcnt(0)
	v_fmac_f32_e32 v33, v46, v32
	ds_store_b32 v31, v33 offset:32
	s_or_b32 exec_lo, exec_lo, s58
	s_and_saveexec_b32 s58, s69
	s_cbranch_execz .LBB104_88
.LBB104_95:                             ;   in Loop: Header=BB104_82 Depth=2
	v_add_co_u32 v32, vcc_lo, s56, v21
	v_add_co_ci_u32_e32 v33, vcc_lo, s57, v22, vcc_lo
	s_delay_alu instid0(VALU_DEP_2) | instskip(NEXT) | instid1(VALU_DEP_2)
	v_add_co_u32 v32, vcc_lo, v32, 64
	v_add_co_ci_u32_e32 v33, vcc_lo, 0, v33, vcc_lo
	v_add_co_u32 v34, vcc_lo, s56, v27
	v_add_co_ci_u32_e32 v35, vcc_lo, s57, v28, vcc_lo
	s_delay_alu instid0(VALU_DEP_2) | instskip(NEXT) | instid1(VALU_DEP_2)
	v_cndmask_b32_e64 v32, v34, v32, s1
	v_cndmask_b32_e64 v33, v35, v33, s1
	global_load_b32 v32, v[32:33], off
	ds_load_b32 v33, v31 offset:64
	s_waitcnt vmcnt(0) lgkmcnt(0)
	v_fmac_f32_e32 v33, v46, v32
	ds_store_b32 v31, v33 offset:64
	s_or_b32 exec_lo, exec_lo, s58
	s_and_saveexec_b32 s58, s70
	s_cbranch_execnz .LBB104_89
	s_branch .LBB104_90
.LBB104_96:                             ;   in Loop: Header=BB104_16 Depth=1
	s_mov_b64 s[52:53], s[58:59]
.LBB104_97:                             ;   in Loop: Header=BB104_16 Depth=1
	s_waitcnt_vscnt null, 0x0
	s_barrier
	buffer_gl0_inv
	ds_load_u8 v21, v2 offset:8192
	s_add_u32 s6, s6, s22
	s_addc_u32 s7, s7, 0
	s_mov_b32 s14, 0
	s_waitcnt lgkmcnt(0)
	v_cmp_eq_u32_e32 vcc_lo, 0, v21
	s_cbranch_vccnz .LBB104_104
; %bb.98:                               ;   in Loop: Header=BB104_16 Depth=1
	v_mul_lo_u32 v23, v20, s10
	v_mul_lo_u32 v24, v19, s11
	v_mad_u64_u32 v[21:22], null, v19, s10, 0
	v_dual_mov_b32 v26, s7 :: v_dual_mov_b32 v25, s6
	s_delay_alu instid0(VALU_DEP_2) | instskip(SKIP_1) | instid1(VALU_DEP_2)
	v_add3_u32 v22, v22, v24, v23
	v_lshlrev_b64 v[23:24], 3, v[19:20]
	v_lshlrev_b64 v[27:28], 2, v[21:22]
	s_delay_alu instid0(VALU_DEP_2) | instskip(NEXT) | instid1(VALU_DEP_3)
	v_add_co_u32 v29, vcc_lo, s28, v23
	v_add_co_ci_u32_e32 v30, vcc_lo, s29, v24, vcc_lo
	s_delay_alu instid0(VALU_DEP_3) | instskip(NEXT) | instid1(VALU_DEP_4)
	v_add_co_u32 v21, vcc_lo, v48, v27
	v_add_co_ci_u32_e32 v22, vcc_lo, v49, v28, vcc_lo
	v_add_co_u32 v23, vcc_lo, v50, v27
	v_add_co_ci_u32_e32 v24, vcc_lo, v51, v28, vcc_lo
	global_store_b64 v[29:30], v[25:26], off
	s_and_saveexec_b32 s14, s67
	s_cbranch_execnz .LBB104_111
; %bb.99:                               ;   in Loop: Header=BB104_16 Depth=1
	s_or_b32 exec_lo, exec_lo, s14
	s_and_saveexec_b32 s14, s68
	s_cbranch_execnz .LBB104_112
.LBB104_100:                            ;   in Loop: Header=BB104_16 Depth=1
	s_or_b32 exec_lo, exec_lo, s14
	s_and_saveexec_b32 s14, s69
	s_cbranch_execnz .LBB104_113
.LBB104_101:                            ;   in Loop: Header=BB104_16 Depth=1
	s_or_b32 exec_lo, exec_lo, s14
	s_and_saveexec_b32 s14, s70
	s_cbranch_execz .LBB104_103
.LBB104_102:                            ;   in Loop: Header=BB104_16 Depth=1
	v_lshlrev_b32_e32 v27, 2, v1
	v_lshlrev_b64 v[25:26], 2, v[9:10]
	ds_load_b32 v28, v52 offset:96
	v_add_co_u32 v23, vcc_lo, v23, v27
	v_add_co_ci_u32_e32 v24, vcc_lo, 0, v24, vcc_lo
	v_add_co_u32 v21, vcc_lo, v21, v25
	v_add_co_ci_u32_e32 v22, vcc_lo, v22, v26, vcc_lo
	s_delay_alu instid0(VALU_DEP_4) | instskip(NEXT) | instid1(VALU_DEP_4)
	v_add_co_u32 v23, vcc_lo, 0x60, v23
	v_add_co_ci_u32_e32 v24, vcc_lo, 0, v24, vcc_lo
	s_delay_alu instid0(VALU_DEP_2) | instskip(NEXT) | instid1(VALU_DEP_2)
	v_cndmask_b32_e64 v21, v21, v23, s1
	v_cndmask_b32_e64 v22, v22, v24, s1
	s_waitcnt lgkmcnt(0)
	global_store_b32 v[21:22], v28, off
.LBB104_103:                            ;   in Loop: Header=BB104_16 Depth=1
	s_or_b32 exec_lo, exec_lo, s14
	s_mov_b32 s14, 1
.LBB104_104:                            ;   in Loop: Header=BB104_16 Depth=1
	ds_load_u8 v21, v2 offset:8193
	s_waitcnt lgkmcnt(0)
	v_and_b32_e32 v21, 1, v21
	s_delay_alu instid0(VALU_DEP_1)
	v_cmp_eq_u32_e32 vcc_lo, 1, v21
	s_cbranch_vccnz .LBB104_106
; %bb.105:                              ;   in Loop: Header=BB104_16 Depth=1
	v_add_co_u32 v21, vcc_lo, s14, v19
	v_add_co_ci_u32_e32 v22, vcc_lo, 0, v20, vcc_lo
	s_cbranch_execnz .LBB104_15
	s_branch .LBB104_107
.LBB104_106:                            ;   in Loop: Header=BB104_16 Depth=1
                                        ; implicit-def: $vgpr21_vgpr22
.LBB104_107:                            ;   in Loop: Header=BB104_16 Depth=1
	s_add_i32 s14, s14, 1
	s_add_u32 s6, s6, 1
	v_add_co_u32 v21, vcc_lo, v19, s14
	v_add_co_ci_u32_e32 v22, vcc_lo, 0, v20, vcc_lo
	s_addc_u32 s7, s7, 0
	s_delay_alu instid0(VALU_DEP_2) | instskip(NEXT) | instid1(VALU_DEP_2)
	v_add_co_u32 v23, vcc_lo, v21, -1
	v_add_co_ci_u32_e32 v19, vcc_lo, -1, v22, vcc_lo
	s_delay_alu instid0(VALU_DEP_2) | instskip(NEXT) | instid1(VALU_DEP_2)
	v_mul_lo_u32 v25, v23, s11
	v_mul_lo_u32 v24, v19, s10
	v_mad_u64_u32 v[19:20], null, v23, s10, 0
	s_delay_alu instid0(VALU_DEP_1) | instskip(SKIP_2) | instid1(VALU_DEP_3)
	v_add3_u32 v20, v20, v25, v24
	v_lshlrev_b64 v[23:24], 3, v[21:22]
	v_dual_mov_b32 v26, s7 :: v_dual_mov_b32 v25, s6
	v_lshlrev_b64 v[19:20], 2, v[19:20]
	s_delay_alu instid0(VALU_DEP_3) | instskip(NEXT) | instid1(VALU_DEP_4)
	v_add_co_u32 v27, vcc_lo, s73, v23
	v_add_co_ci_u32_e32 v28, vcc_lo, s74, v24, vcc_lo
	s_delay_alu instid0(VALU_DEP_3) | instskip(NEXT) | instid1(VALU_DEP_4)
	v_add_co_u32 v23, vcc_lo, v48, v19
	v_add_co_ci_u32_e32 v24, vcc_lo, v49, v20, vcc_lo
	v_add_co_u32 v19, vcc_lo, v50, v19
	v_add_co_ci_u32_e32 v20, vcc_lo, v51, v20, vcc_lo
	global_store_b64 v[27:28], v[25:26], off
	s_and_saveexec_b32 s6, s67
	s_cbranch_execnz .LBB104_114
; %bb.108:                              ;   in Loop: Header=BB104_16 Depth=1
	s_or_b32 exec_lo, exec_lo, s6
	s_and_saveexec_b32 s6, s68
	s_cbranch_execnz .LBB104_115
.LBB104_109:                            ;   in Loop: Header=BB104_16 Depth=1
	s_or_b32 exec_lo, exec_lo, s6
	s_and_saveexec_b32 s6, s69
	s_cbranch_execnz .LBB104_116
.LBB104_110:                            ;   in Loop: Header=BB104_16 Depth=1
	s_or_b32 exec_lo, exec_lo, s6
	s_and_saveexec_b32 s6, s70
	s_cbranch_execz .LBB104_14
	s_branch .LBB104_117
.LBB104_111:                            ;   in Loop: Header=BB104_16 Depth=1
	v_lshlrev_b64 v[25:26], 2, v[3:4]
	ds_load_b32 v27, v52
	v_lshlrev_b32_e32 v28, 2, v1
	v_add_co_u32 v25, vcc_lo, v21, v25
	v_add_co_ci_u32_e32 v26, vcc_lo, v22, v26, vcc_lo
	s_delay_alu instid0(VALU_DEP_3) | instskip(SKIP_1) | instid1(VALU_DEP_2)
	v_add_co_u32 v28, vcc_lo, v23, v28
	v_add_co_ci_u32_e32 v29, vcc_lo, 0, v24, vcc_lo
	v_cndmask_b32_e64 v25, v25, v28, s1
	s_delay_alu instid0(VALU_DEP_2)
	v_cndmask_b32_e64 v26, v26, v29, s1
	s_waitcnt lgkmcnt(0)
	global_store_b32 v[25:26], v27, off
	s_or_b32 exec_lo, exec_lo, s14
	s_and_saveexec_b32 s14, s68
	s_cbranch_execz .LBB104_100
.LBB104_112:                            ;   in Loop: Header=BB104_16 Depth=1
	v_lshlrev_b32_e32 v27, 2, v1
	v_lshlrev_b64 v[25:26], 2, v[5:6]
	ds_load_b32 v28, v52 offset:32
	v_add_co_u32 v27, vcc_lo, v23, v27
	v_add_co_ci_u32_e32 v29, vcc_lo, 0, v24, vcc_lo
	v_add_co_u32 v25, vcc_lo, v21, v25
	v_add_co_ci_u32_e32 v26, vcc_lo, v22, v26, vcc_lo
	s_delay_alu instid0(VALU_DEP_4) | instskip(NEXT) | instid1(VALU_DEP_4)
	v_add_co_u32 v27, vcc_lo, v27, 32
	v_add_co_ci_u32_e32 v29, vcc_lo, 0, v29, vcc_lo
	s_delay_alu instid0(VALU_DEP_2) | instskip(NEXT) | instid1(VALU_DEP_2)
	v_cndmask_b32_e64 v25, v25, v27, s1
	v_cndmask_b32_e64 v26, v26, v29, s1
	s_waitcnt lgkmcnt(0)
	global_store_b32 v[25:26], v28, off
	s_or_b32 exec_lo, exec_lo, s14
	s_and_saveexec_b32 s14, s69
	s_cbranch_execz .LBB104_101
.LBB104_113:                            ;   in Loop: Header=BB104_16 Depth=1
	v_lshlrev_b32_e32 v27, 2, v1
	v_lshlrev_b64 v[25:26], 2, v[7:8]
	ds_load_b32 v28, v52 offset:64
	v_add_co_u32 v27, vcc_lo, v23, v27
	v_add_co_ci_u32_e32 v29, vcc_lo, 0, v24, vcc_lo
	v_add_co_u32 v25, vcc_lo, v21, v25
	v_add_co_ci_u32_e32 v26, vcc_lo, v22, v26, vcc_lo
	s_delay_alu instid0(VALU_DEP_4) | instskip(NEXT) | instid1(VALU_DEP_4)
	v_add_co_u32 v27, vcc_lo, v27, 64
	v_add_co_ci_u32_e32 v29, vcc_lo, 0, v29, vcc_lo
	s_delay_alu instid0(VALU_DEP_2) | instskip(NEXT) | instid1(VALU_DEP_2)
	v_cndmask_b32_e64 v25, v25, v27, s1
	v_cndmask_b32_e64 v26, v26, v29, s1
	s_waitcnt lgkmcnt(0)
	global_store_b32 v[25:26], v28, off
	s_or_b32 exec_lo, exec_lo, s14
	s_and_saveexec_b32 s14, s70
	s_cbranch_execnz .LBB104_102
	s_branch .LBB104_103
.LBB104_114:                            ;   in Loop: Header=BB104_16 Depth=1
	v_lshlrev_b32_e32 v27, 2, v1
	ds_load_b32 v28, v52 offset:4096
	v_lshlrev_b64 v[25:26], 2, v[3:4]
	v_add_co_u32 v27, vcc_lo, v19, v27
	v_add_co_ci_u32_e32 v29, vcc_lo, 0, v20, vcc_lo
	s_delay_alu instid0(VALU_DEP_3) | instskip(NEXT) | instid1(VALU_DEP_4)
	v_add_co_u32 v25, vcc_lo, v23, v25
	v_add_co_ci_u32_e32 v26, vcc_lo, v24, v26, vcc_lo
	s_delay_alu instid0(VALU_DEP_2) | instskip(NEXT) | instid1(VALU_DEP_2)
	v_cndmask_b32_e64 v25, v25, v27, s1
	v_cndmask_b32_e64 v26, v26, v29, s1
	s_waitcnt lgkmcnt(0)
	global_store_b32 v[25:26], v28, off
	s_or_b32 exec_lo, exec_lo, s6
	s_and_saveexec_b32 s6, s68
	s_cbranch_execz .LBB104_109
.LBB104_115:                            ;   in Loop: Header=BB104_16 Depth=1
	v_lshlrev_b32_e32 v27, 2, v1
	v_lshlrev_b64 v[25:26], 2, v[5:6]
	ds_load_b32 v28, v53 offset:4096
	v_add_co_u32 v27, vcc_lo, v19, v27
	v_add_co_ci_u32_e32 v29, vcc_lo, 0, v20, vcc_lo
	v_add_co_u32 v25, vcc_lo, v23, v25
	v_add_co_ci_u32_e32 v26, vcc_lo, v24, v26, vcc_lo
	s_delay_alu instid0(VALU_DEP_4) | instskip(NEXT) | instid1(VALU_DEP_4)
	v_add_co_u32 v27, vcc_lo, v27, 32
	v_add_co_ci_u32_e32 v29, vcc_lo, 0, v29, vcc_lo
	s_delay_alu instid0(VALU_DEP_2) | instskip(NEXT) | instid1(VALU_DEP_2)
	v_cndmask_b32_e64 v25, v25, v27, s1
	v_cndmask_b32_e64 v26, v26, v29, s1
	s_waitcnt lgkmcnt(0)
	global_store_b32 v[25:26], v28, off
	s_or_b32 exec_lo, exec_lo, s6
	s_and_saveexec_b32 s6, s69
	s_cbranch_execz .LBB104_110
.LBB104_116:                            ;   in Loop: Header=BB104_16 Depth=1
	v_lshlrev_b32_e32 v27, 2, v1
	v_lshlrev_b64 v[25:26], 2, v[7:8]
	ds_load_b32 v28, v54 offset:4096
	v_add_co_u32 v27, vcc_lo, v19, v27
	v_add_co_ci_u32_e32 v29, vcc_lo, 0, v20, vcc_lo
	v_add_co_u32 v25, vcc_lo, v23, v25
	v_add_co_ci_u32_e32 v26, vcc_lo, v24, v26, vcc_lo
	s_delay_alu instid0(VALU_DEP_4) | instskip(NEXT) | instid1(VALU_DEP_4)
	v_add_co_u32 v27, vcc_lo, v27, 64
	v_add_co_ci_u32_e32 v29, vcc_lo, 0, v29, vcc_lo
	s_delay_alu instid0(VALU_DEP_2) | instskip(NEXT) | instid1(VALU_DEP_2)
	v_cndmask_b32_e64 v25, v25, v27, s1
	v_cndmask_b32_e64 v26, v26, v29, s1
	s_waitcnt lgkmcnt(0)
	global_store_b32 v[25:26], v28, off
	s_or_b32 exec_lo, exec_lo, s6
	s_and_saveexec_b32 s6, s70
	s_cbranch_execz .LBB104_14
.LBB104_117:                            ;   in Loop: Header=BB104_16 Depth=1
	ds_load_b32 v25, v55 offset:4096
	s_and_not1_b32 vcc_lo, exec_lo, s66
	s_cbranch_vccnz .LBB104_119
; %bb.118:                              ;   in Loop: Header=BB104_16 Depth=1
	v_lshlrev_b64 v[26:27], 2, v[9:10]
	s_delay_alu instid0(VALU_DEP_1) | instskip(NEXT) | instid1(VALU_DEP_2)
	v_add_co_u32 v23, vcc_lo, v23, v26
	v_add_co_ci_u32_e32 v24, vcc_lo, v24, v27, vcc_lo
	s_waitcnt lgkmcnt(0)
	global_store_b32 v[23:24], v25, off
	s_cbranch_execnz .LBB104_14
	s_branch .LBB104_120
.LBB104_119:                            ;   in Loop: Header=BB104_16 Depth=1
.LBB104_120:                            ;   in Loop: Header=BB104_16 Depth=1
	v_lshlrev_b32_e32 v23, 2, v1
	s_delay_alu instid0(VALU_DEP_1)
	v_add_co_u32 v19, vcc_lo, v19, v23
	v_add_co_ci_u32_e32 v20, vcc_lo, 0, v20, vcc_lo
	s_waitcnt lgkmcnt(0)
	global_store_b32 v[19:20], v25, off offset:96
	s_branch .LBB104_14
.LBB104_121:
	s_endpgm
	.section	.rodata,"a",@progbits
	.p2align	6, 0x0
	.amdhsa_kernel _ZN9rocsparseL31bsrgemm_block_per_row_multipassILj256ELj2ELj32EllfEEv20rocsparse_direction_T3_S2_PKS2_S4_NS_24const_host_device_scalarIT4_EEPKT2_S4_PKS6_SA_S4_SC_S7_SA_S4_SC_SA_PS2_PS6_PS8_21rocsparse_index_base_SG_SG_SG_bbb
		.amdhsa_group_segment_fixed_size 8196
		.amdhsa_private_segment_fixed_size 0
		.amdhsa_kernarg_size 180
		.amdhsa_user_sgpr_count 15
		.amdhsa_user_sgpr_dispatch_ptr 0
		.amdhsa_user_sgpr_queue_ptr 0
		.amdhsa_user_sgpr_kernarg_segment_ptr 1
		.amdhsa_user_sgpr_dispatch_id 0
		.amdhsa_user_sgpr_private_segment_size 0
		.amdhsa_wavefront_size32 1
		.amdhsa_uses_dynamic_stack 0
		.amdhsa_enable_private_segment 0
		.amdhsa_system_sgpr_workgroup_id_x 1
		.amdhsa_system_sgpr_workgroup_id_y 0
		.amdhsa_system_sgpr_workgroup_id_z 0
		.amdhsa_system_sgpr_workgroup_info 0
		.amdhsa_system_vgpr_workitem_id 0
		.amdhsa_next_free_vgpr 73
		.amdhsa_next_free_sgpr 81
		.amdhsa_reserve_vcc 1
		.amdhsa_float_round_mode_32 0
		.amdhsa_float_round_mode_16_64 0
		.amdhsa_float_denorm_mode_32 3
		.amdhsa_float_denorm_mode_16_64 3
		.amdhsa_dx10_clamp 1
		.amdhsa_ieee_mode 1
		.amdhsa_fp16_overflow 0
		.amdhsa_workgroup_processor_mode 1
		.amdhsa_memory_ordered 1
		.amdhsa_forward_progress 0
		.amdhsa_shared_vgpr_count 0
		.amdhsa_exception_fp_ieee_invalid_op 0
		.amdhsa_exception_fp_denorm_src 0
		.amdhsa_exception_fp_ieee_div_zero 0
		.amdhsa_exception_fp_ieee_overflow 0
		.amdhsa_exception_fp_ieee_underflow 0
		.amdhsa_exception_fp_ieee_inexact 0
		.amdhsa_exception_int_div_zero 0
	.end_amdhsa_kernel
	.section	.text._ZN9rocsparseL31bsrgemm_block_per_row_multipassILj256ELj2ELj32EllfEEv20rocsparse_direction_T3_S2_PKS2_S4_NS_24const_host_device_scalarIT4_EEPKT2_S4_PKS6_SA_S4_SC_S7_SA_S4_SC_SA_PS2_PS6_PS8_21rocsparse_index_base_SG_SG_SG_bbb,"axG",@progbits,_ZN9rocsparseL31bsrgemm_block_per_row_multipassILj256ELj2ELj32EllfEEv20rocsparse_direction_T3_S2_PKS2_S4_NS_24const_host_device_scalarIT4_EEPKT2_S4_PKS6_SA_S4_SC_S7_SA_S4_SC_SA_PS2_PS6_PS8_21rocsparse_index_base_SG_SG_SG_bbb,comdat
.Lfunc_end104:
	.size	_ZN9rocsparseL31bsrgemm_block_per_row_multipassILj256ELj2ELj32EllfEEv20rocsparse_direction_T3_S2_PKS2_S4_NS_24const_host_device_scalarIT4_EEPKT2_S4_PKS6_SA_S4_SC_S7_SA_S4_SC_SA_PS2_PS6_PS8_21rocsparse_index_base_SG_SG_SG_bbb, .Lfunc_end104-_ZN9rocsparseL31bsrgemm_block_per_row_multipassILj256ELj2ELj32EllfEEv20rocsparse_direction_T3_S2_PKS2_S4_NS_24const_host_device_scalarIT4_EEPKT2_S4_PKS6_SA_S4_SC_S7_SA_S4_SC_SA_PS2_PS6_PS8_21rocsparse_index_base_SG_SG_SG_bbb
                                        ; -- End function
	.section	.AMDGPU.csdata,"",@progbits
; Kernel info:
; codeLenInByte = 5776
; NumSgprs: 83
; NumVgprs: 73
; ScratchSize: 0
; MemoryBound: 1
; FloatMode: 240
; IeeeMode: 1
; LDSByteSize: 8196 bytes/workgroup (compile time only)
; SGPRBlocks: 10
; VGPRBlocks: 9
; NumSGPRsForWavesPerEU: 83
; NumVGPRsForWavesPerEU: 73
; Occupancy: 16
; WaveLimiterHint : 1
; COMPUTE_PGM_RSRC2:SCRATCH_EN: 0
; COMPUTE_PGM_RSRC2:USER_SGPR: 15
; COMPUTE_PGM_RSRC2:TRAP_HANDLER: 0
; COMPUTE_PGM_RSRC2:TGID_X_EN: 1
; COMPUTE_PGM_RSRC2:TGID_Y_EN: 0
; COMPUTE_PGM_RSRC2:TGID_Z_EN: 0
; COMPUTE_PGM_RSRC2:TIDIG_COMP_CNT: 0
	.section	.text._ZN9rocsparseL26bsrgemm_group_reduce_part2ILj256ELj8ELj2EdllEEvT4_PKT3_PS1_Pi,"axG",@progbits,_ZN9rocsparseL26bsrgemm_group_reduce_part2ILj256ELj8ELj2EdllEEvT4_PKT3_PS1_Pi,comdat
	.globl	_ZN9rocsparseL26bsrgemm_group_reduce_part2ILj256ELj8ELj2EdllEEvT4_PKT3_PS1_Pi ; -- Begin function _ZN9rocsparseL26bsrgemm_group_reduce_part2ILj256ELj8ELj2EdllEEvT4_PKT3_PS1_Pi
	.p2align	8
	.type	_ZN9rocsparseL26bsrgemm_group_reduce_part2ILj256ELj8ELj2EdllEEvT4_PKT3_PS1_Pi,@function
_ZN9rocsparseL26bsrgemm_group_reduce_part2ILj256ELj8ELj2EdllEEvT4_PKT3_PS1_Pi: ; @_ZN9rocsparseL26bsrgemm_group_reduce_part2ILj256ELj8ELj2EdllEEvT4_PKT3_PS1_Pi
; %bb.0:
	s_clause 0x1
	s_load_b64 s[8:9], s[0:1], 0x0
	s_load_b64 s[2:3], s[0:1], 0x10
	s_mov_b32 s5, 0
	v_lshl_or_b32 v1, s15, 8, v0
	s_mov_b32 s4, s5
	s_mov_b32 s6, s5
	;; [unrolled: 1-line block ×3, first 2 shown]
	v_dual_mov_b32 v3, s4 :: v_dual_mov_b32 v4, s5
	v_dual_mov_b32 v2, 0 :: v_dual_lshlrev_b32 v11, 6, v0
	v_dual_mov_b32 v5, s6 :: v_dual_mov_b32 v6, s7
	s_mov_b32 s12, exec_lo
	ds_store_b128 v11, v[3:6]
	ds_store_b128 v11, v[3:6] offset:16
	ds_store_b128 v11, v[3:6] offset:32
	;; [unrolled: 1-line block ×3, first 2 shown]
	s_waitcnt lgkmcnt(0)
	buffer_gl0_inv
	v_cmpx_gt_i64_e64 s[8:9], v[1:2]
	s_cbranch_execz .LBB105_31
; %bb.1:
	s_clause 0x2
	s_load_b32 s4, s[0:1], 0x20
	s_load_b64 s[6:7], s[0:1], 0x18
	s_load_b64 s[0:1], s[0:1], 0x8
	v_lshlrev_b64 v[3:4], 2, v[1:2]
	v_lshlrev_b64 v[5:6], 3, v[1:2]
	v_mov_b32_e32 v8, v2
	v_dual_mov_b32 v12, 7 :: v_dual_mov_b32 v13, 6
	v_dual_mov_b32 v14, 5 :: v_dual_mov_b32 v15, 4
	v_dual_mov_b32 v16, 3 :: v_dual_mov_b32 v17, 2
	v_dual_mov_b32 v18, 1 :: v_dual_mov_b32 v7, v1
	s_waitcnt lgkmcnt(0)
	s_lshl_b32 s4, s4, 8
	v_add_co_u32 v3, vcc_lo, s6, v3
	v_add_co_ci_u32_e32 v4, vcc_lo, s7, v4, vcc_lo
	v_add_co_u32 v5, vcc_lo, s0, v5
	v_add_co_ci_u32_e32 v6, vcc_lo, s1, v6, vcc_lo
	s_lshl_b64 s[6:7], s[4:5], 2
	s_lshl_b64 s[10:11], s[4:5], 3
	s_branch .LBB105_3
.LBB105_2:                              ;   in Loop: Header=BB105_3 Depth=1
	s_or_b32 exec_lo, exec_lo, s0
	v_add_co_u32 v7, vcc_lo, v7, s4
	v_add_co_ci_u32_e32 v8, vcc_lo, 0, v8, vcc_lo
	v_add_co_u32 v3, vcc_lo, v3, s6
	v_add_co_ci_u32_e32 v4, vcc_lo, s7, v4, vcc_lo
	s_delay_alu instid0(VALU_DEP_3) | instskip(SKIP_1) | instid1(VALU_DEP_1)
	v_cmp_le_i64_e32 vcc_lo, s[8:9], v[7:8]
	v_add_co_u32 v5, s0, v5, s10
	v_add_co_ci_u32_e64 v6, s0, s11, v6, s0
	s_or_b32 s5, vcc_lo, s5
	s_delay_alu instid0(SALU_CYCLE_1)
	s_and_not1_b32 exec_lo, exec_lo, s5
	s_cbranch_execz .LBB105_31
.LBB105_3:                              ; =>This Inner Loop Header: Depth=1
	global_load_b128 v[19:22], v[5:6], off
	s_mov_b32 s0, exec_lo
	s_waitcnt vmcnt(0)
	v_sub_co_u32 v9, vcc_lo, v21, v19
	v_sub_co_ci_u32_e32 v10, vcc_lo, v22, v20, vcc_lo
	s_delay_alu instid0(VALU_DEP_1)
	v_cmpx_lt_i64_e32 8, v[9:10]
	s_xor_b32 s0, exec_lo, s0
	s_cbranch_execz .LBB105_29
; %bb.4:                                ;   in Loop: Header=BB105_3 Depth=1
	s_mov_b32 s1, exec_lo
	v_cmpx_lt_u64_e32 16, v[9:10]
	s_xor_b32 s1, exec_lo, s1
	s_cbranch_execz .LBB105_26
; %bb.5:                                ;   in Loop: Header=BB105_3 Depth=1
	s_mov_b32 s13, exec_lo
	v_cmpx_lt_u64_e32 32, v[9:10]
	;; [unrolled: 5-line block ×6, first 2 shown]
	s_xor_b32 s18, exec_lo, s18
	s_cbranch_execz .LBB105_11
; %bb.10:                               ;   in Loop: Header=BB105_3 Depth=1
	ds_load_b64 v[9:10], v11 offset:56
	global_store_b32 v[3:4], v12, off
	s_waitcnt lgkmcnt(0)
	v_add_co_u32 v9, vcc_lo, v9, 1
	v_add_co_ci_u32_e32 v10, vcc_lo, 0, v10, vcc_lo
	ds_store_b64 v11, v[9:10] offset:56
.LBB105_11:                             ;   in Loop: Header=BB105_3 Depth=1
	s_and_not1_saveexec_b32 s18, s18
	s_cbranch_execz .LBB105_13
; %bb.12:                               ;   in Loop: Header=BB105_3 Depth=1
	ds_load_b64 v[9:10], v11 offset:48
	global_store_b32 v[3:4], v13, off
	s_waitcnt lgkmcnt(0)
	v_add_co_u32 v9, vcc_lo, v9, 1
	v_add_co_ci_u32_e32 v10, vcc_lo, 0, v10, vcc_lo
	ds_store_b64 v11, v[9:10] offset:48
.LBB105_13:                             ;   in Loop: Header=BB105_3 Depth=1
	s_or_b32 exec_lo, exec_lo, s18
.LBB105_14:                             ;   in Loop: Header=BB105_3 Depth=1
	s_and_not1_saveexec_b32 s17, s17
	s_cbranch_execz .LBB105_16
; %bb.15:                               ;   in Loop: Header=BB105_3 Depth=1
	ds_load_b64 v[9:10], v11 offset:40
	global_store_b32 v[3:4], v14, off
	s_waitcnt lgkmcnt(0)
	v_add_co_u32 v9, vcc_lo, v9, 1
	v_add_co_ci_u32_e32 v10, vcc_lo, 0, v10, vcc_lo
	ds_store_b64 v11, v[9:10] offset:40
.LBB105_16:                             ;   in Loop: Header=BB105_3 Depth=1
	s_or_b32 exec_lo, exec_lo, s17
.LBB105_17:                             ;   in Loop: Header=BB105_3 Depth=1
	s_and_not1_saveexec_b32 s16, s16
	s_cbranch_execz .LBB105_19
; %bb.18:                               ;   in Loop: Header=BB105_3 Depth=1
	ds_load_b64 v[9:10], v11 offset:32
	global_store_b32 v[3:4], v15, off
	s_waitcnt lgkmcnt(0)
	v_add_co_u32 v9, vcc_lo, v9, 1
	v_add_co_ci_u32_e32 v10, vcc_lo, 0, v10, vcc_lo
	ds_store_b64 v11, v[9:10] offset:32
.LBB105_19:                             ;   in Loop: Header=BB105_3 Depth=1
	s_or_b32 exec_lo, exec_lo, s16
.LBB105_20:                             ;   in Loop: Header=BB105_3 Depth=1
	s_and_not1_saveexec_b32 s14, s14
	s_cbranch_execz .LBB105_22
; %bb.21:                               ;   in Loop: Header=BB105_3 Depth=1
	ds_load_b64 v[9:10], v11 offset:24
	global_store_b32 v[3:4], v16, off
	s_waitcnt lgkmcnt(0)
	v_add_co_u32 v9, vcc_lo, v9, 1
	v_add_co_ci_u32_e32 v10, vcc_lo, 0, v10, vcc_lo
	ds_store_b64 v11, v[9:10] offset:24
.LBB105_22:                             ;   in Loop: Header=BB105_3 Depth=1
	s_or_b32 exec_lo, exec_lo, s14
.LBB105_23:                             ;   in Loop: Header=BB105_3 Depth=1
	s_and_not1_saveexec_b32 s13, s13
	s_cbranch_execz .LBB105_25
; %bb.24:                               ;   in Loop: Header=BB105_3 Depth=1
	ds_load_b64 v[9:10], v11 offset:16
	global_store_b32 v[3:4], v17, off
	s_waitcnt lgkmcnt(0)
	v_add_co_u32 v9, vcc_lo, v9, 1
	v_add_co_ci_u32_e32 v10, vcc_lo, 0, v10, vcc_lo
	ds_store_b64 v11, v[9:10] offset:16
.LBB105_25:                             ;   in Loop: Header=BB105_3 Depth=1
	s_or_b32 exec_lo, exec_lo, s13
.LBB105_26:                             ;   in Loop: Header=BB105_3 Depth=1
	s_and_not1_saveexec_b32 s1, s1
	s_cbranch_execz .LBB105_28
; %bb.27:                               ;   in Loop: Header=BB105_3 Depth=1
	ds_load_b64 v[9:10], v11 offset:8
	global_store_b32 v[3:4], v18, off
	s_waitcnt lgkmcnt(0)
	v_add_co_u32 v9, vcc_lo, v9, 1
	v_add_co_ci_u32_e32 v10, vcc_lo, 0, v10, vcc_lo
	ds_store_b64 v11, v[9:10] offset:8
.LBB105_28:                             ;   in Loop: Header=BB105_3 Depth=1
	s_or_b32 exec_lo, exec_lo, s1
.LBB105_29:                             ;   in Loop: Header=BB105_3 Depth=1
	s_and_not1_saveexec_b32 s0, s0
	s_cbranch_execz .LBB105_2
; %bb.30:                               ;   in Loop: Header=BB105_3 Depth=1
	ds_load_b64 v[9:10], v11
	global_store_b32 v[3:4], v2, off
	s_waitcnt lgkmcnt(0)
	v_add_co_u32 v9, vcc_lo, v9, 1
	v_add_co_ci_u32_e32 v10, vcc_lo, 0, v10, vcc_lo
	ds_store_b64 v11, v[9:10]
	s_branch .LBB105_2
.LBB105_31:
	s_or_b32 exec_lo, exec_lo, s12
	s_delay_alu instid0(SALU_CYCLE_1)
	s_mov_b32 s0, exec_lo
	s_waitcnt lgkmcnt(0)
	s_waitcnt_vscnt null, 0x0
	s_barrier
	buffer_gl0_inv
	s_barrier
	buffer_gl0_inv
	;; [unrolled: 2-line block ×3, first 2 shown]
	v_cmpx_gt_u32_e32 0x80, v0
	s_cbranch_execz .LBB105_33
; %bb.32:
	ds_load_b128 v[1:4], v11 offset:8192
	ds_load_b128 v[5:8], v11
	ds_load_b128 v[12:15], v11 offset:16
	ds_load_b128 v[16:19], v11 offset:8208
	ds_load_b128 v[20:23], v11 offset:8224
	ds_load_b128 v[24:27], v11 offset:32
	ds_load_b128 v[28:31], v11 offset:48
	ds_load_b128 v[32:35], v11 offset:8240
	s_waitcnt lgkmcnt(6)
	v_add_co_u32 v1, vcc_lo, v5, v1
	v_add_co_ci_u32_e32 v2, vcc_lo, v6, v2, vcc_lo
	v_add_co_u32 v3, vcc_lo, v7, v3
	v_add_co_ci_u32_e32 v4, vcc_lo, v8, v4, vcc_lo
	s_waitcnt lgkmcnt(4)
	v_add_co_u32 v5, vcc_lo, v12, v16
	v_add_co_ci_u32_e32 v6, vcc_lo, v13, v17, vcc_lo
	v_add_co_u32 v7, vcc_lo, v14, v18
	v_add_co_ci_u32_e32 v8, vcc_lo, v15, v19, vcc_lo
	s_waitcnt lgkmcnt(2)
	v_add_co_u32 v12, vcc_lo, v24, v20
	v_add_co_ci_u32_e32 v13, vcc_lo, v25, v21, vcc_lo
	v_add_co_u32 v14, vcc_lo, v26, v22
	v_add_co_ci_u32_e32 v15, vcc_lo, v27, v23, vcc_lo
	s_waitcnt lgkmcnt(0)
	v_add_co_u32 v16, vcc_lo, v28, v32
	v_add_co_ci_u32_e32 v17, vcc_lo, v29, v33, vcc_lo
	v_add_co_u32 v18, vcc_lo, v30, v34
	v_add_co_ci_u32_e32 v19, vcc_lo, v31, v35, vcc_lo
	ds_store_b128 v11, v[1:4]
	ds_store_b128 v11, v[5:8] offset:16
	ds_store_b128 v11, v[12:15] offset:32
	ds_store_b128 v11, v[16:19] offset:48
.LBB105_33:
	s_or_b32 exec_lo, exec_lo, s0
	s_delay_alu instid0(SALU_CYCLE_1)
	s_mov_b32 s0, exec_lo
	s_waitcnt lgkmcnt(0)
	s_barrier
	buffer_gl0_inv
	v_cmpx_gt_u32_e32 64, v0
	s_cbranch_execz .LBB105_35
; %bb.34:
	ds_load_b128 v[1:4], v11 offset:4096
	ds_load_b128 v[5:8], v11
	ds_load_b128 v[12:15], v11 offset:16
	ds_load_b128 v[16:19], v11 offset:4112
	ds_load_b128 v[20:23], v11 offset:4128
	ds_load_b128 v[24:27], v11 offset:32
	ds_load_b128 v[28:31], v11 offset:48
	ds_load_b128 v[32:35], v11 offset:4144
	s_waitcnt lgkmcnt(6)
	v_add_co_u32 v1, vcc_lo, v5, v1
	v_add_co_ci_u32_e32 v2, vcc_lo, v6, v2, vcc_lo
	v_add_co_u32 v3, vcc_lo, v7, v3
	v_add_co_ci_u32_e32 v4, vcc_lo, v8, v4, vcc_lo
	s_waitcnt lgkmcnt(4)
	v_add_co_u32 v5, vcc_lo, v12, v16
	v_add_co_ci_u32_e32 v6, vcc_lo, v13, v17, vcc_lo
	v_add_co_u32 v7, vcc_lo, v14, v18
	v_add_co_ci_u32_e32 v8, vcc_lo, v15, v19, vcc_lo
	s_waitcnt lgkmcnt(2)
	v_add_co_u32 v12, vcc_lo, v24, v20
	v_add_co_ci_u32_e32 v13, vcc_lo, v25, v21, vcc_lo
	v_add_co_u32 v14, vcc_lo, v26, v22
	v_add_co_ci_u32_e32 v15, vcc_lo, v27, v23, vcc_lo
	s_waitcnt lgkmcnt(0)
	v_add_co_u32 v16, vcc_lo, v28, v32
	v_add_co_ci_u32_e32 v17, vcc_lo, v29, v33, vcc_lo
	v_add_co_u32 v18, vcc_lo, v30, v34
	v_add_co_ci_u32_e32 v19, vcc_lo, v31, v35, vcc_lo
	ds_store_b128 v11, v[1:4]
	ds_store_b128 v11, v[5:8] offset:16
	ds_store_b128 v11, v[12:15] offset:32
	ds_store_b128 v11, v[16:19] offset:48
.LBB105_35:
	s_or_b32 exec_lo, exec_lo, s0
	s_delay_alu instid0(SALU_CYCLE_1)
	s_mov_b32 s0, exec_lo
	s_waitcnt lgkmcnt(0)
	s_barrier
	buffer_gl0_inv
	;; [unrolled: 42-line block ×3, first 2 shown]
	v_cmpx_gt_u32_e32 16, v0
	s_cbranch_execz .LBB105_39
; %bb.38:
	ds_load_b128 v[1:4], v11 offset:1024
	ds_load_b128 v[5:8], v11
	ds_load_b128 v[12:15], v11 offset:16
	ds_load_b128 v[16:19], v11 offset:1040
	;; [unrolled: 1-line block ×6, first 2 shown]
	s_waitcnt lgkmcnt(6)
	v_add_co_u32 v1, vcc_lo, v5, v1
	v_add_co_ci_u32_e32 v2, vcc_lo, v6, v2, vcc_lo
	v_add_co_u32 v3, vcc_lo, v7, v3
	v_add_co_ci_u32_e32 v4, vcc_lo, v8, v4, vcc_lo
	s_waitcnt lgkmcnt(4)
	v_add_co_u32 v5, vcc_lo, v12, v16
	v_add_co_ci_u32_e32 v6, vcc_lo, v13, v17, vcc_lo
	v_add_co_u32 v7, vcc_lo, v14, v18
	v_add_co_ci_u32_e32 v8, vcc_lo, v15, v19, vcc_lo
	;; [unrolled: 5-line block ×4, first 2 shown]
	ds_store_b128 v11, v[1:4]
	ds_store_b128 v11, v[5:8] offset:16
	ds_store_b128 v11, v[12:15] offset:32
	;; [unrolled: 1-line block ×3, first 2 shown]
.LBB105_39:
	s_or_b32 exec_lo, exec_lo, s0
	v_cmp_gt_u32_e32 vcc_lo, 8, v0
	s_waitcnt lgkmcnt(0)
	s_barrier
	buffer_gl0_inv
	s_and_saveexec_b32 s1, vcc_lo
	s_cbranch_execz .LBB105_41
; %bb.40:
	ds_load_b128 v[1:4], v11 offset:512
	ds_load_b128 v[5:8], v11
	ds_load_b128 v[12:15], v11 offset:16
	ds_load_b128 v[16:19], v11 offset:528
	;; [unrolled: 1-line block ×6, first 2 shown]
	s_waitcnt lgkmcnt(6)
	v_add_co_u32 v1, s0, v5, v1
	s_delay_alu instid0(VALU_DEP_1) | instskip(SKIP_1) | instid1(VALU_DEP_1)
	v_add_co_ci_u32_e64 v2, s0, v6, v2, s0
	v_add_co_u32 v3, s0, v7, v3
	v_add_co_ci_u32_e64 v4, s0, v8, v4, s0
	s_waitcnt lgkmcnt(4)
	v_add_co_u32 v5, s0, v12, v16
	s_delay_alu instid0(VALU_DEP_1) | instskip(SKIP_1) | instid1(VALU_DEP_1)
	v_add_co_ci_u32_e64 v6, s0, v13, v17, s0
	v_add_co_u32 v7, s0, v14, v18
	v_add_co_ci_u32_e64 v8, s0, v15, v19, s0
	;; [unrolled: 6-line block ×4, first 2 shown]
	ds_store_b128 v11, v[1:4]
	ds_store_b128 v11, v[5:8] offset:16
	ds_store_b128 v11, v[12:15] offset:32
	;; [unrolled: 1-line block ×3, first 2 shown]
.LBB105_41:
	s_or_b32 exec_lo, exec_lo, s1
	s_delay_alu instid0(SALU_CYCLE_1)
	s_mov_b32 s1, exec_lo
	s_waitcnt lgkmcnt(0)
	s_barrier
	buffer_gl0_inv
	v_cmpx_gt_u32_e32 4, v0
	s_cbranch_execz .LBB105_43
; %bb.42:
	ds_load_b128 v[1:4], v11 offset:256
	ds_load_b128 v[5:8], v11
	ds_load_b128 v[12:15], v11 offset:16
	ds_load_b128 v[16:19], v11 offset:272
	;; [unrolled: 1-line block ×6, first 2 shown]
	s_waitcnt lgkmcnt(6)
	v_add_co_u32 v1, s0, v5, v1
	s_delay_alu instid0(VALU_DEP_1) | instskip(SKIP_1) | instid1(VALU_DEP_1)
	v_add_co_ci_u32_e64 v2, s0, v6, v2, s0
	v_add_co_u32 v3, s0, v7, v3
	v_add_co_ci_u32_e64 v4, s0, v8, v4, s0
	s_waitcnt lgkmcnt(4)
	v_add_co_u32 v5, s0, v12, v16
	s_delay_alu instid0(VALU_DEP_1) | instskip(SKIP_1) | instid1(VALU_DEP_1)
	v_add_co_ci_u32_e64 v6, s0, v13, v17, s0
	v_add_co_u32 v7, s0, v14, v18
	v_add_co_ci_u32_e64 v8, s0, v15, v19, s0
	;; [unrolled: 6-line block ×4, first 2 shown]
	ds_store_b128 v11, v[1:4]
	ds_store_b128 v11, v[5:8] offset:16
	ds_store_b128 v11, v[12:15] offset:32
	;; [unrolled: 1-line block ×3, first 2 shown]
.LBB105_43:
	s_or_b32 exec_lo, exec_lo, s1
	s_delay_alu instid0(SALU_CYCLE_1)
	s_mov_b32 s1, exec_lo
	s_waitcnt lgkmcnt(0)
	s_barrier
	buffer_gl0_inv
	v_cmpx_gt_u32_e32 2, v0
	s_cbranch_execz .LBB105_45
; %bb.44:
	ds_load_b128 v[1:4], v11 offset:128
	ds_load_b128 v[5:8], v11
	ds_load_b128 v[12:15], v11 offset:16
	ds_load_b128 v[16:19], v11 offset:144
	;; [unrolled: 1-line block ×6, first 2 shown]
	s_waitcnt lgkmcnt(6)
	v_add_co_u32 v1, s0, v5, v1
	s_delay_alu instid0(VALU_DEP_1) | instskip(SKIP_1) | instid1(VALU_DEP_1)
	v_add_co_ci_u32_e64 v2, s0, v6, v2, s0
	v_add_co_u32 v3, s0, v7, v3
	v_add_co_ci_u32_e64 v4, s0, v8, v4, s0
	s_waitcnt lgkmcnt(4)
	v_add_co_u32 v5, s0, v12, v16
	s_delay_alu instid0(VALU_DEP_1) | instskip(SKIP_1) | instid1(VALU_DEP_1)
	v_add_co_ci_u32_e64 v6, s0, v13, v17, s0
	v_add_co_u32 v7, s0, v14, v18
	v_add_co_ci_u32_e64 v8, s0, v15, v19, s0
	;; [unrolled: 6-line block ×4, first 2 shown]
	ds_store_b128 v11, v[1:4]
	ds_store_b128 v11, v[5:8] offset:16
	ds_store_b128 v11, v[12:15] offset:32
	;; [unrolled: 1-line block ×3, first 2 shown]
.LBB105_45:
	s_or_b32 exec_lo, exec_lo, s1
	s_delay_alu instid0(SALU_CYCLE_1)
	s_mov_b32 s1, exec_lo
	s_waitcnt lgkmcnt(0)
	s_barrier
	buffer_gl0_inv
	v_cmpx_eq_u32_e32 0, v0
	s_cbranch_execz .LBB105_47
; %bb.46:
	v_mov_b32_e32 v33, 0
	ds_load_b128 v[1:4], v33 offset:64
	ds_load_b128 v[5:8], v33
	ds_load_b128 v[9:12], v33 offset:16
	ds_load_b128 v[13:16], v33 offset:80
	ds_load_b128 v[17:20], v33 offset:96
	ds_load_b128 v[21:24], v33 offset:32
	ds_load_b128 v[25:28], v33 offset:48
	ds_load_b128 v[29:32], v33 offset:112
	s_waitcnt lgkmcnt(6)
	v_add_co_u32 v1, s0, v5, v1
	s_delay_alu instid0(VALU_DEP_1) | instskip(SKIP_1) | instid1(VALU_DEP_1)
	v_add_co_ci_u32_e64 v2, s0, v6, v2, s0
	v_add_co_u32 v3, s0, v7, v3
	v_add_co_ci_u32_e64 v4, s0, v8, v4, s0
	s_waitcnt lgkmcnt(4)
	v_add_co_u32 v5, s0, v9, v13
	s_delay_alu instid0(VALU_DEP_1) | instskip(SKIP_1) | instid1(VALU_DEP_1)
	v_add_co_ci_u32_e64 v6, s0, v10, v14, s0
	v_add_co_u32 v7, s0, v11, v15
	v_add_co_ci_u32_e64 v8, s0, v12, v16, s0
	;; [unrolled: 6-line block ×4, first 2 shown]
	ds_store_b128 v33, v[1:4]
	ds_store_b128 v33, v[5:8] offset:16
	ds_store_b128 v33, v[9:12] offset:32
	ds_store_b128 v33, v[13:16] offset:48
.LBB105_47:
	s_or_b32 exec_lo, exec_lo, s1
	s_waitcnt lgkmcnt(0)
	s_barrier
	buffer_gl0_inv
	s_and_saveexec_b32 s0, vcc_lo
	s_cbranch_execz .LBB105_49
; %bb.48:
	v_dual_mov_b32 v4, 0 :: v_dual_lshlrev_b32 v1, 3, v0
	v_lshl_or_b32 v3, s15, 3, v0
	ds_load_b64 v[1:2], v1
	v_lshlrev_b64 v[3:4], 3, v[3:4]
	s_delay_alu instid0(VALU_DEP_1) | instskip(NEXT) | instid1(VALU_DEP_2)
	v_add_co_u32 v3, vcc_lo, s2, v3
	v_add_co_ci_u32_e32 v4, vcc_lo, s3, v4, vcc_lo
	s_waitcnt lgkmcnt(0)
	global_store_b64 v[3:4], v[1:2], off
.LBB105_49:
	s_nop 0
	s_sendmsg sendmsg(MSG_DEALLOC_VGPRS)
	s_endpgm
	.section	.rodata,"a",@progbits
	.p2align	6, 0x0
	.amdhsa_kernel _ZN9rocsparseL26bsrgemm_group_reduce_part2ILj256ELj8ELj2EdllEEvT4_PKT3_PS1_Pi
		.amdhsa_group_segment_fixed_size 16384
		.amdhsa_private_segment_fixed_size 0
		.amdhsa_kernarg_size 288
		.amdhsa_user_sgpr_count 15
		.amdhsa_user_sgpr_dispatch_ptr 0
		.amdhsa_user_sgpr_queue_ptr 0
		.amdhsa_user_sgpr_kernarg_segment_ptr 1
		.amdhsa_user_sgpr_dispatch_id 0
		.amdhsa_user_sgpr_private_segment_size 0
		.amdhsa_wavefront_size32 1
		.amdhsa_uses_dynamic_stack 0
		.amdhsa_enable_private_segment 0
		.amdhsa_system_sgpr_workgroup_id_x 1
		.amdhsa_system_sgpr_workgroup_id_y 0
		.amdhsa_system_sgpr_workgroup_id_z 0
		.amdhsa_system_sgpr_workgroup_info 0
		.amdhsa_system_vgpr_workitem_id 0
		.amdhsa_next_free_vgpr 36
		.amdhsa_next_free_sgpr 19
		.amdhsa_reserve_vcc 1
		.amdhsa_float_round_mode_32 0
		.amdhsa_float_round_mode_16_64 0
		.amdhsa_float_denorm_mode_32 3
		.amdhsa_float_denorm_mode_16_64 3
		.amdhsa_dx10_clamp 1
		.amdhsa_ieee_mode 1
		.amdhsa_fp16_overflow 0
		.amdhsa_workgroup_processor_mode 1
		.amdhsa_memory_ordered 1
		.amdhsa_forward_progress 0
		.amdhsa_shared_vgpr_count 0
		.amdhsa_exception_fp_ieee_invalid_op 0
		.amdhsa_exception_fp_denorm_src 0
		.amdhsa_exception_fp_ieee_div_zero 0
		.amdhsa_exception_fp_ieee_overflow 0
		.amdhsa_exception_fp_ieee_underflow 0
		.amdhsa_exception_fp_ieee_inexact 0
		.amdhsa_exception_int_div_zero 0
	.end_amdhsa_kernel
	.section	.text._ZN9rocsparseL26bsrgemm_group_reduce_part2ILj256ELj8ELj2EdllEEvT4_PKT3_PS1_Pi,"axG",@progbits,_ZN9rocsparseL26bsrgemm_group_reduce_part2ILj256ELj8ELj2EdllEEvT4_PKT3_PS1_Pi,comdat
.Lfunc_end105:
	.size	_ZN9rocsparseL26bsrgemm_group_reduce_part2ILj256ELj8ELj2EdllEEvT4_PKT3_PS1_Pi, .Lfunc_end105-_ZN9rocsparseL26bsrgemm_group_reduce_part2ILj256ELj8ELj2EdllEEvT4_PKT3_PS1_Pi
                                        ; -- End function
	.section	.AMDGPU.csdata,"",@progbits
; Kernel info:
; codeLenInByte = 3152
; NumSgprs: 21
; NumVgprs: 36
; ScratchSize: 0
; MemoryBound: 0
; FloatMode: 240
; IeeeMode: 1
; LDSByteSize: 16384 bytes/workgroup (compile time only)
; SGPRBlocks: 2
; VGPRBlocks: 4
; NumSGPRsForWavesPerEU: 21
; NumVGPRsForWavesPerEU: 36
; Occupancy: 16
; WaveLimiterHint : 0
; COMPUTE_PGM_RSRC2:SCRATCH_EN: 0
; COMPUTE_PGM_RSRC2:USER_SGPR: 15
; COMPUTE_PGM_RSRC2:TRAP_HANDLER: 0
; COMPUTE_PGM_RSRC2:TGID_X_EN: 1
; COMPUTE_PGM_RSRC2:TGID_Y_EN: 0
; COMPUTE_PGM_RSRC2:TGID_Z_EN: 0
; COMPUTE_PGM_RSRC2:TIDIG_COMP_CNT: 0
	.section	.text._ZN9rocsparseL26bsrgemm_group_reduce_part2ILj256ELj8ELj8EdllEEvT4_PKT3_PS1_Pi,"axG",@progbits,_ZN9rocsparseL26bsrgemm_group_reduce_part2ILj256ELj8ELj8EdllEEvT4_PKT3_PS1_Pi,comdat
	.globl	_ZN9rocsparseL26bsrgemm_group_reduce_part2ILj256ELj8ELj8EdllEEvT4_PKT3_PS1_Pi ; -- Begin function _ZN9rocsparseL26bsrgemm_group_reduce_part2ILj256ELj8ELj8EdllEEvT4_PKT3_PS1_Pi
	.p2align	8
	.type	_ZN9rocsparseL26bsrgemm_group_reduce_part2ILj256ELj8ELj8EdllEEvT4_PKT3_PS1_Pi,@function
_ZN9rocsparseL26bsrgemm_group_reduce_part2ILj256ELj8ELj8EdllEEvT4_PKT3_PS1_Pi: ; @_ZN9rocsparseL26bsrgemm_group_reduce_part2ILj256ELj8ELj8EdllEEvT4_PKT3_PS1_Pi
; %bb.0:
	s_clause 0x1
	s_load_b64 s[8:9], s[0:1], 0x0
	s_load_b64 s[2:3], s[0:1], 0x10
	s_mov_b32 s5, 0
	v_lshl_or_b32 v1, s15, 8, v0
	s_mov_b32 s4, s5
	s_mov_b32 s6, s5
	;; [unrolled: 1-line block ×3, first 2 shown]
	v_dual_mov_b32 v3, s4 :: v_dual_mov_b32 v4, s5
	v_dual_mov_b32 v2, 0 :: v_dual_lshlrev_b32 v11, 6, v0
	v_dual_mov_b32 v5, s6 :: v_dual_mov_b32 v6, s7
	s_mov_b32 s12, exec_lo
	ds_store_b128 v11, v[3:6]
	ds_store_b128 v11, v[3:6] offset:16
	ds_store_b128 v11, v[3:6] offset:32
	;; [unrolled: 1-line block ×3, first 2 shown]
	s_waitcnt lgkmcnt(0)
	buffer_gl0_inv
	v_cmpx_gt_i64_e64 s[8:9], v[1:2]
	s_cbranch_execz .LBB106_31
; %bb.1:
	s_clause 0x2
	s_load_b32 s4, s[0:1], 0x20
	s_load_b64 s[6:7], s[0:1], 0x18
	s_load_b64 s[0:1], s[0:1], 0x8
	v_lshlrev_b64 v[3:4], 2, v[1:2]
	v_lshlrev_b64 v[5:6], 3, v[1:2]
	v_mov_b32_e32 v8, v2
	v_dual_mov_b32 v12, 7 :: v_dual_mov_b32 v13, 6
	v_dual_mov_b32 v14, 5 :: v_dual_mov_b32 v15, 4
	;; [unrolled: 1-line block ×4, first 2 shown]
	s_waitcnt lgkmcnt(0)
	s_lshl_b32 s4, s4, 8
	v_add_co_u32 v3, vcc_lo, s6, v3
	v_add_co_ci_u32_e32 v4, vcc_lo, s7, v4, vcc_lo
	v_add_co_u32 v5, vcc_lo, s0, v5
	v_add_co_ci_u32_e32 v6, vcc_lo, s1, v6, vcc_lo
	s_lshl_b64 s[6:7], s[4:5], 2
	s_lshl_b64 s[10:11], s[4:5], 3
	s_branch .LBB106_3
.LBB106_2:                              ;   in Loop: Header=BB106_3 Depth=1
	s_or_b32 exec_lo, exec_lo, s0
	v_add_co_u32 v7, vcc_lo, v7, s4
	v_add_co_ci_u32_e32 v8, vcc_lo, 0, v8, vcc_lo
	v_add_co_u32 v3, vcc_lo, v3, s6
	v_add_co_ci_u32_e32 v4, vcc_lo, s7, v4, vcc_lo
	s_delay_alu instid0(VALU_DEP_3) | instskip(SKIP_1) | instid1(VALU_DEP_1)
	v_cmp_le_i64_e32 vcc_lo, s[8:9], v[7:8]
	v_add_co_u32 v5, s0, v5, s10
	v_add_co_ci_u32_e64 v6, s0, s11, v6, s0
	s_or_b32 s5, vcc_lo, s5
	s_delay_alu instid0(SALU_CYCLE_1)
	s_and_not1_b32 exec_lo, exec_lo, s5
	s_cbranch_execz .LBB106_31
.LBB106_3:                              ; =>This Inner Loop Header: Depth=1
	global_load_b128 v[19:22], v[5:6], off
	s_mov_b32 s0, exec_lo
	s_waitcnt vmcnt(0)
	v_sub_co_u32 v9, vcc_lo, v21, v19
	v_sub_co_ci_u32_e32 v10, vcc_lo, v22, v20, vcc_lo
	s_delay_alu instid0(VALU_DEP_1)
	v_cmpx_lt_i64_e32 8, v[9:10]
	s_xor_b32 s0, exec_lo, s0
	s_cbranch_execz .LBB106_29
; %bb.4:                                ;   in Loop: Header=BB106_3 Depth=1
	s_mov_b32 s1, exec_lo
	v_cmpx_lt_u64_e32 16, v[9:10]
	s_xor_b32 s1, exec_lo, s1
	s_cbranch_execz .LBB106_26
; %bb.5:                                ;   in Loop: Header=BB106_3 Depth=1
	s_mov_b32 s13, exec_lo
	v_cmpx_lt_u64_e32 32, v[9:10]
	;; [unrolled: 5-line block ×6, first 2 shown]
	s_xor_b32 s18, exec_lo, s18
	s_cbranch_execz .LBB106_11
; %bb.10:                               ;   in Loop: Header=BB106_3 Depth=1
	ds_load_b64 v[9:10], v11 offset:56
	global_store_b32 v[3:4], v12, off
	s_waitcnt lgkmcnt(0)
	v_add_co_u32 v9, vcc_lo, v9, 1
	v_add_co_ci_u32_e32 v10, vcc_lo, 0, v10, vcc_lo
	ds_store_b64 v11, v[9:10] offset:56
.LBB106_11:                             ;   in Loop: Header=BB106_3 Depth=1
	s_and_not1_saveexec_b32 s18, s18
	s_cbranch_execz .LBB106_13
; %bb.12:                               ;   in Loop: Header=BB106_3 Depth=1
	ds_load_b64 v[9:10], v11 offset:48
	global_store_b32 v[3:4], v13, off
	s_waitcnt lgkmcnt(0)
	v_add_co_u32 v9, vcc_lo, v9, 1
	v_add_co_ci_u32_e32 v10, vcc_lo, 0, v10, vcc_lo
	ds_store_b64 v11, v[9:10] offset:48
.LBB106_13:                             ;   in Loop: Header=BB106_3 Depth=1
	s_or_b32 exec_lo, exec_lo, s18
.LBB106_14:                             ;   in Loop: Header=BB106_3 Depth=1
	s_and_not1_saveexec_b32 s17, s17
	s_cbranch_execz .LBB106_16
; %bb.15:                               ;   in Loop: Header=BB106_3 Depth=1
	ds_load_b64 v[9:10], v11 offset:40
	global_store_b32 v[3:4], v14, off
	s_waitcnt lgkmcnt(0)
	v_add_co_u32 v9, vcc_lo, v9, 1
	v_add_co_ci_u32_e32 v10, vcc_lo, 0, v10, vcc_lo
	ds_store_b64 v11, v[9:10] offset:40
.LBB106_16:                             ;   in Loop: Header=BB106_3 Depth=1
	s_or_b32 exec_lo, exec_lo, s17
.LBB106_17:                             ;   in Loop: Header=BB106_3 Depth=1
	s_and_not1_saveexec_b32 s16, s16
	s_cbranch_execz .LBB106_19
; %bb.18:                               ;   in Loop: Header=BB106_3 Depth=1
	ds_load_b64 v[9:10], v11 offset:32
	global_store_b32 v[3:4], v15, off
	s_waitcnt lgkmcnt(0)
	v_add_co_u32 v9, vcc_lo, v9, 1
	v_add_co_ci_u32_e32 v10, vcc_lo, 0, v10, vcc_lo
	ds_store_b64 v11, v[9:10] offset:32
.LBB106_19:                             ;   in Loop: Header=BB106_3 Depth=1
	s_or_b32 exec_lo, exec_lo, s16
.LBB106_20:                             ;   in Loop: Header=BB106_3 Depth=1
	s_and_not1_saveexec_b32 s14, s14
	s_cbranch_execz .LBB106_22
; %bb.21:                               ;   in Loop: Header=BB106_3 Depth=1
	ds_load_b64 v[9:10], v11 offset:24
	global_store_b32 v[3:4], v16, off
	s_waitcnt lgkmcnt(0)
	v_add_co_u32 v9, vcc_lo, v9, 1
	v_add_co_ci_u32_e32 v10, vcc_lo, 0, v10, vcc_lo
	ds_store_b64 v11, v[9:10] offset:24
.LBB106_22:                             ;   in Loop: Header=BB106_3 Depth=1
	s_or_b32 exec_lo, exec_lo, s14
.LBB106_23:                             ;   in Loop: Header=BB106_3 Depth=1
	s_and_not1_saveexec_b32 s13, s13
	s_cbranch_execz .LBB106_25
; %bb.24:                               ;   in Loop: Header=BB106_3 Depth=1
	ds_load_b64 v[9:10], v11 offset:16
	global_store_b32 v[3:4], v17, off
	s_waitcnt lgkmcnt(0)
	v_add_co_u32 v9, vcc_lo, v9, 1
	v_add_co_ci_u32_e32 v10, vcc_lo, 0, v10, vcc_lo
	ds_store_b64 v11, v[9:10] offset:16
.LBB106_25:                             ;   in Loop: Header=BB106_3 Depth=1
	s_or_b32 exec_lo, exec_lo, s13
.LBB106_26:                             ;   in Loop: Header=BB106_3 Depth=1
	s_and_not1_saveexec_b32 s1, s1
	s_cbranch_execz .LBB106_28
; %bb.27:                               ;   in Loop: Header=BB106_3 Depth=1
	ds_load_b64 v[9:10], v11 offset:8
	global_store_b32 v[3:4], v18, off
	s_waitcnt lgkmcnt(0)
	v_add_co_u32 v9, vcc_lo, v9, 1
	v_add_co_ci_u32_e32 v10, vcc_lo, 0, v10, vcc_lo
	ds_store_b64 v11, v[9:10] offset:8
.LBB106_28:                             ;   in Loop: Header=BB106_3 Depth=1
	s_or_b32 exec_lo, exec_lo, s1
.LBB106_29:                             ;   in Loop: Header=BB106_3 Depth=1
	s_and_not1_saveexec_b32 s0, s0
	s_cbranch_execz .LBB106_2
; %bb.30:                               ;   in Loop: Header=BB106_3 Depth=1
	ds_load_b64 v[9:10], v11
	global_store_b32 v[3:4], v2, off
	s_waitcnt lgkmcnt(0)
	v_add_co_u32 v9, vcc_lo, v9, 1
	v_add_co_ci_u32_e32 v10, vcc_lo, 0, v10, vcc_lo
	ds_store_b64 v11, v[9:10]
	s_branch .LBB106_2
.LBB106_31:
	s_or_b32 exec_lo, exec_lo, s12
	s_delay_alu instid0(SALU_CYCLE_1)
	s_mov_b32 s0, exec_lo
	s_waitcnt lgkmcnt(0)
	s_waitcnt_vscnt null, 0x0
	s_barrier
	buffer_gl0_inv
	s_barrier
	buffer_gl0_inv
	;; [unrolled: 2-line block ×3, first 2 shown]
	v_cmpx_gt_u32_e32 0x80, v0
	s_cbranch_execz .LBB106_33
; %bb.32:
	ds_load_b128 v[1:4], v11 offset:8192
	ds_load_b128 v[5:8], v11
	ds_load_b128 v[12:15], v11 offset:16
	ds_load_b128 v[16:19], v11 offset:8208
	ds_load_b128 v[20:23], v11 offset:8224
	ds_load_b128 v[24:27], v11 offset:32
	ds_load_b128 v[28:31], v11 offset:48
	ds_load_b128 v[32:35], v11 offset:8240
	s_waitcnt lgkmcnt(6)
	v_add_co_u32 v1, vcc_lo, v5, v1
	v_add_co_ci_u32_e32 v2, vcc_lo, v6, v2, vcc_lo
	v_add_co_u32 v3, vcc_lo, v7, v3
	v_add_co_ci_u32_e32 v4, vcc_lo, v8, v4, vcc_lo
	s_waitcnt lgkmcnt(4)
	v_add_co_u32 v5, vcc_lo, v12, v16
	v_add_co_ci_u32_e32 v6, vcc_lo, v13, v17, vcc_lo
	v_add_co_u32 v7, vcc_lo, v14, v18
	v_add_co_ci_u32_e32 v8, vcc_lo, v15, v19, vcc_lo
	s_waitcnt lgkmcnt(2)
	v_add_co_u32 v12, vcc_lo, v24, v20
	v_add_co_ci_u32_e32 v13, vcc_lo, v25, v21, vcc_lo
	v_add_co_u32 v14, vcc_lo, v26, v22
	v_add_co_ci_u32_e32 v15, vcc_lo, v27, v23, vcc_lo
	s_waitcnt lgkmcnt(0)
	v_add_co_u32 v16, vcc_lo, v28, v32
	v_add_co_ci_u32_e32 v17, vcc_lo, v29, v33, vcc_lo
	v_add_co_u32 v18, vcc_lo, v30, v34
	v_add_co_ci_u32_e32 v19, vcc_lo, v31, v35, vcc_lo
	ds_store_b128 v11, v[1:4]
	ds_store_b128 v11, v[5:8] offset:16
	ds_store_b128 v11, v[12:15] offset:32
	ds_store_b128 v11, v[16:19] offset:48
.LBB106_33:
	s_or_b32 exec_lo, exec_lo, s0
	s_delay_alu instid0(SALU_CYCLE_1)
	s_mov_b32 s0, exec_lo
	s_waitcnt lgkmcnt(0)
	s_barrier
	buffer_gl0_inv
	v_cmpx_gt_u32_e32 64, v0
	s_cbranch_execz .LBB106_35
; %bb.34:
	ds_load_b128 v[1:4], v11 offset:4096
	ds_load_b128 v[5:8], v11
	ds_load_b128 v[12:15], v11 offset:16
	ds_load_b128 v[16:19], v11 offset:4112
	ds_load_b128 v[20:23], v11 offset:4128
	ds_load_b128 v[24:27], v11 offset:32
	ds_load_b128 v[28:31], v11 offset:48
	ds_load_b128 v[32:35], v11 offset:4144
	s_waitcnt lgkmcnt(6)
	v_add_co_u32 v1, vcc_lo, v5, v1
	v_add_co_ci_u32_e32 v2, vcc_lo, v6, v2, vcc_lo
	v_add_co_u32 v3, vcc_lo, v7, v3
	v_add_co_ci_u32_e32 v4, vcc_lo, v8, v4, vcc_lo
	s_waitcnt lgkmcnt(4)
	v_add_co_u32 v5, vcc_lo, v12, v16
	v_add_co_ci_u32_e32 v6, vcc_lo, v13, v17, vcc_lo
	v_add_co_u32 v7, vcc_lo, v14, v18
	v_add_co_ci_u32_e32 v8, vcc_lo, v15, v19, vcc_lo
	s_waitcnt lgkmcnt(2)
	v_add_co_u32 v12, vcc_lo, v24, v20
	v_add_co_ci_u32_e32 v13, vcc_lo, v25, v21, vcc_lo
	v_add_co_u32 v14, vcc_lo, v26, v22
	v_add_co_ci_u32_e32 v15, vcc_lo, v27, v23, vcc_lo
	s_waitcnt lgkmcnt(0)
	v_add_co_u32 v16, vcc_lo, v28, v32
	v_add_co_ci_u32_e32 v17, vcc_lo, v29, v33, vcc_lo
	v_add_co_u32 v18, vcc_lo, v30, v34
	v_add_co_ci_u32_e32 v19, vcc_lo, v31, v35, vcc_lo
	ds_store_b128 v11, v[1:4]
	ds_store_b128 v11, v[5:8] offset:16
	ds_store_b128 v11, v[12:15] offset:32
	ds_store_b128 v11, v[16:19] offset:48
.LBB106_35:
	s_or_b32 exec_lo, exec_lo, s0
	s_delay_alu instid0(SALU_CYCLE_1)
	s_mov_b32 s0, exec_lo
	s_waitcnt lgkmcnt(0)
	s_barrier
	buffer_gl0_inv
	;; [unrolled: 42-line block ×3, first 2 shown]
	v_cmpx_gt_u32_e32 16, v0
	s_cbranch_execz .LBB106_39
; %bb.38:
	ds_load_b128 v[1:4], v11 offset:1024
	ds_load_b128 v[5:8], v11
	ds_load_b128 v[12:15], v11 offset:16
	ds_load_b128 v[16:19], v11 offset:1040
	ds_load_b128 v[20:23], v11 offset:1056
	ds_load_b128 v[24:27], v11 offset:32
	ds_load_b128 v[28:31], v11 offset:48
	ds_load_b128 v[32:35], v11 offset:1072
	s_waitcnt lgkmcnt(6)
	v_add_co_u32 v1, vcc_lo, v5, v1
	v_add_co_ci_u32_e32 v2, vcc_lo, v6, v2, vcc_lo
	v_add_co_u32 v3, vcc_lo, v7, v3
	v_add_co_ci_u32_e32 v4, vcc_lo, v8, v4, vcc_lo
	s_waitcnt lgkmcnt(4)
	v_add_co_u32 v5, vcc_lo, v12, v16
	v_add_co_ci_u32_e32 v6, vcc_lo, v13, v17, vcc_lo
	v_add_co_u32 v7, vcc_lo, v14, v18
	v_add_co_ci_u32_e32 v8, vcc_lo, v15, v19, vcc_lo
	s_waitcnt lgkmcnt(2)
	v_add_co_u32 v12, vcc_lo, v24, v20
	v_add_co_ci_u32_e32 v13, vcc_lo, v25, v21, vcc_lo
	v_add_co_u32 v14, vcc_lo, v26, v22
	v_add_co_ci_u32_e32 v15, vcc_lo, v27, v23, vcc_lo
	s_waitcnt lgkmcnt(0)
	v_add_co_u32 v16, vcc_lo, v28, v32
	v_add_co_ci_u32_e32 v17, vcc_lo, v29, v33, vcc_lo
	v_add_co_u32 v18, vcc_lo, v30, v34
	v_add_co_ci_u32_e32 v19, vcc_lo, v31, v35, vcc_lo
	ds_store_b128 v11, v[1:4]
	ds_store_b128 v11, v[5:8] offset:16
	ds_store_b128 v11, v[12:15] offset:32
	;; [unrolled: 1-line block ×3, first 2 shown]
.LBB106_39:
	s_or_b32 exec_lo, exec_lo, s0
	v_cmp_gt_u32_e32 vcc_lo, 8, v0
	s_waitcnt lgkmcnt(0)
	s_barrier
	buffer_gl0_inv
	s_and_saveexec_b32 s1, vcc_lo
	s_cbranch_execz .LBB106_41
; %bb.40:
	ds_load_b128 v[1:4], v11 offset:512
	ds_load_b128 v[5:8], v11
	ds_load_b128 v[12:15], v11 offset:16
	ds_load_b128 v[16:19], v11 offset:528
	;; [unrolled: 1-line block ×6, first 2 shown]
	s_waitcnt lgkmcnt(6)
	v_add_co_u32 v1, s0, v5, v1
	s_delay_alu instid0(VALU_DEP_1) | instskip(SKIP_1) | instid1(VALU_DEP_1)
	v_add_co_ci_u32_e64 v2, s0, v6, v2, s0
	v_add_co_u32 v3, s0, v7, v3
	v_add_co_ci_u32_e64 v4, s0, v8, v4, s0
	s_waitcnt lgkmcnt(4)
	v_add_co_u32 v5, s0, v12, v16
	s_delay_alu instid0(VALU_DEP_1) | instskip(SKIP_1) | instid1(VALU_DEP_1)
	v_add_co_ci_u32_e64 v6, s0, v13, v17, s0
	v_add_co_u32 v7, s0, v14, v18
	v_add_co_ci_u32_e64 v8, s0, v15, v19, s0
	;; [unrolled: 6-line block ×4, first 2 shown]
	ds_store_b128 v11, v[1:4]
	ds_store_b128 v11, v[5:8] offset:16
	ds_store_b128 v11, v[12:15] offset:32
	;; [unrolled: 1-line block ×3, first 2 shown]
.LBB106_41:
	s_or_b32 exec_lo, exec_lo, s1
	s_delay_alu instid0(SALU_CYCLE_1)
	s_mov_b32 s1, exec_lo
	s_waitcnt lgkmcnt(0)
	s_barrier
	buffer_gl0_inv
	v_cmpx_gt_u32_e32 4, v0
	s_cbranch_execz .LBB106_43
; %bb.42:
	ds_load_b128 v[1:4], v11 offset:256
	ds_load_b128 v[5:8], v11
	ds_load_b128 v[12:15], v11 offset:16
	ds_load_b128 v[16:19], v11 offset:272
	;; [unrolled: 1-line block ×6, first 2 shown]
	s_waitcnt lgkmcnt(6)
	v_add_co_u32 v1, s0, v5, v1
	s_delay_alu instid0(VALU_DEP_1) | instskip(SKIP_1) | instid1(VALU_DEP_1)
	v_add_co_ci_u32_e64 v2, s0, v6, v2, s0
	v_add_co_u32 v3, s0, v7, v3
	v_add_co_ci_u32_e64 v4, s0, v8, v4, s0
	s_waitcnt lgkmcnt(4)
	v_add_co_u32 v5, s0, v12, v16
	s_delay_alu instid0(VALU_DEP_1) | instskip(SKIP_1) | instid1(VALU_DEP_1)
	v_add_co_ci_u32_e64 v6, s0, v13, v17, s0
	v_add_co_u32 v7, s0, v14, v18
	v_add_co_ci_u32_e64 v8, s0, v15, v19, s0
	;; [unrolled: 6-line block ×4, first 2 shown]
	ds_store_b128 v11, v[1:4]
	ds_store_b128 v11, v[5:8] offset:16
	ds_store_b128 v11, v[12:15] offset:32
	;; [unrolled: 1-line block ×3, first 2 shown]
.LBB106_43:
	s_or_b32 exec_lo, exec_lo, s1
	s_delay_alu instid0(SALU_CYCLE_1)
	s_mov_b32 s1, exec_lo
	s_waitcnt lgkmcnt(0)
	s_barrier
	buffer_gl0_inv
	v_cmpx_gt_u32_e32 2, v0
	s_cbranch_execz .LBB106_45
; %bb.44:
	ds_load_b128 v[1:4], v11 offset:128
	ds_load_b128 v[5:8], v11
	ds_load_b128 v[12:15], v11 offset:16
	ds_load_b128 v[16:19], v11 offset:144
	;; [unrolled: 1-line block ×6, first 2 shown]
	s_waitcnt lgkmcnt(6)
	v_add_co_u32 v1, s0, v5, v1
	s_delay_alu instid0(VALU_DEP_1) | instskip(SKIP_1) | instid1(VALU_DEP_1)
	v_add_co_ci_u32_e64 v2, s0, v6, v2, s0
	v_add_co_u32 v3, s0, v7, v3
	v_add_co_ci_u32_e64 v4, s0, v8, v4, s0
	s_waitcnt lgkmcnt(4)
	v_add_co_u32 v5, s0, v12, v16
	s_delay_alu instid0(VALU_DEP_1) | instskip(SKIP_1) | instid1(VALU_DEP_1)
	v_add_co_ci_u32_e64 v6, s0, v13, v17, s0
	v_add_co_u32 v7, s0, v14, v18
	v_add_co_ci_u32_e64 v8, s0, v15, v19, s0
	;; [unrolled: 6-line block ×4, first 2 shown]
	ds_store_b128 v11, v[1:4]
	ds_store_b128 v11, v[5:8] offset:16
	ds_store_b128 v11, v[12:15] offset:32
	;; [unrolled: 1-line block ×3, first 2 shown]
.LBB106_45:
	s_or_b32 exec_lo, exec_lo, s1
	s_delay_alu instid0(SALU_CYCLE_1)
	s_mov_b32 s1, exec_lo
	s_waitcnt lgkmcnt(0)
	s_barrier
	buffer_gl0_inv
	v_cmpx_eq_u32_e32 0, v0
	s_cbranch_execz .LBB106_47
; %bb.46:
	v_mov_b32_e32 v33, 0
	ds_load_b128 v[1:4], v33 offset:64
	ds_load_b128 v[5:8], v33
	ds_load_b128 v[9:12], v33 offset:16
	ds_load_b128 v[13:16], v33 offset:80
	;; [unrolled: 1-line block ×6, first 2 shown]
	s_waitcnt lgkmcnt(6)
	v_add_co_u32 v1, s0, v5, v1
	s_delay_alu instid0(VALU_DEP_1) | instskip(SKIP_1) | instid1(VALU_DEP_1)
	v_add_co_ci_u32_e64 v2, s0, v6, v2, s0
	v_add_co_u32 v3, s0, v7, v3
	v_add_co_ci_u32_e64 v4, s0, v8, v4, s0
	s_waitcnt lgkmcnt(4)
	v_add_co_u32 v5, s0, v9, v13
	s_delay_alu instid0(VALU_DEP_1) | instskip(SKIP_1) | instid1(VALU_DEP_1)
	v_add_co_ci_u32_e64 v6, s0, v10, v14, s0
	v_add_co_u32 v7, s0, v11, v15
	v_add_co_ci_u32_e64 v8, s0, v12, v16, s0
	;; [unrolled: 6-line block ×4, first 2 shown]
	ds_store_b128 v33, v[1:4]
	ds_store_b128 v33, v[5:8] offset:16
	ds_store_b128 v33, v[9:12] offset:32
	;; [unrolled: 1-line block ×3, first 2 shown]
.LBB106_47:
	s_or_b32 exec_lo, exec_lo, s1
	s_waitcnt lgkmcnt(0)
	s_barrier
	buffer_gl0_inv
	s_and_saveexec_b32 s0, vcc_lo
	s_cbranch_execz .LBB106_49
; %bb.48:
	v_dual_mov_b32 v4, 0 :: v_dual_lshlrev_b32 v1, 3, v0
	v_lshl_or_b32 v3, s15, 3, v0
	ds_load_b64 v[1:2], v1
	v_lshlrev_b64 v[3:4], 3, v[3:4]
	s_delay_alu instid0(VALU_DEP_1) | instskip(NEXT) | instid1(VALU_DEP_2)
	v_add_co_u32 v3, vcc_lo, s2, v3
	v_add_co_ci_u32_e32 v4, vcc_lo, s3, v4, vcc_lo
	s_waitcnt lgkmcnt(0)
	global_store_b64 v[3:4], v[1:2], off
.LBB106_49:
	s_nop 0
	s_sendmsg sendmsg(MSG_DEALLOC_VGPRS)
	s_endpgm
	.section	.rodata,"a",@progbits
	.p2align	6, 0x0
	.amdhsa_kernel _ZN9rocsparseL26bsrgemm_group_reduce_part2ILj256ELj8ELj8EdllEEvT4_PKT3_PS1_Pi
		.amdhsa_group_segment_fixed_size 16384
		.amdhsa_private_segment_fixed_size 0
		.amdhsa_kernarg_size 288
		.amdhsa_user_sgpr_count 15
		.amdhsa_user_sgpr_dispatch_ptr 0
		.amdhsa_user_sgpr_queue_ptr 0
		.amdhsa_user_sgpr_kernarg_segment_ptr 1
		.amdhsa_user_sgpr_dispatch_id 0
		.amdhsa_user_sgpr_private_segment_size 0
		.amdhsa_wavefront_size32 1
		.amdhsa_uses_dynamic_stack 0
		.amdhsa_enable_private_segment 0
		.amdhsa_system_sgpr_workgroup_id_x 1
		.amdhsa_system_sgpr_workgroup_id_y 0
		.amdhsa_system_sgpr_workgroup_id_z 0
		.amdhsa_system_sgpr_workgroup_info 0
		.amdhsa_system_vgpr_workitem_id 0
		.amdhsa_next_free_vgpr 36
		.amdhsa_next_free_sgpr 19
		.amdhsa_reserve_vcc 1
		.amdhsa_float_round_mode_32 0
		.amdhsa_float_round_mode_16_64 0
		.amdhsa_float_denorm_mode_32 3
		.amdhsa_float_denorm_mode_16_64 3
		.amdhsa_dx10_clamp 1
		.amdhsa_ieee_mode 1
		.amdhsa_fp16_overflow 0
		.amdhsa_workgroup_processor_mode 1
		.amdhsa_memory_ordered 1
		.amdhsa_forward_progress 0
		.amdhsa_shared_vgpr_count 0
		.amdhsa_exception_fp_ieee_invalid_op 0
		.amdhsa_exception_fp_denorm_src 0
		.amdhsa_exception_fp_ieee_div_zero 0
		.amdhsa_exception_fp_ieee_overflow 0
		.amdhsa_exception_fp_ieee_underflow 0
		.amdhsa_exception_fp_ieee_inexact 0
		.amdhsa_exception_int_div_zero 0
	.end_amdhsa_kernel
	.section	.text._ZN9rocsparseL26bsrgemm_group_reduce_part2ILj256ELj8ELj8EdllEEvT4_PKT3_PS1_Pi,"axG",@progbits,_ZN9rocsparseL26bsrgemm_group_reduce_part2ILj256ELj8ELj8EdllEEvT4_PKT3_PS1_Pi,comdat
.Lfunc_end106:
	.size	_ZN9rocsparseL26bsrgemm_group_reduce_part2ILj256ELj8ELj8EdllEEvT4_PKT3_PS1_Pi, .Lfunc_end106-_ZN9rocsparseL26bsrgemm_group_reduce_part2ILj256ELj8ELj8EdllEEvT4_PKT3_PS1_Pi
                                        ; -- End function
	.section	.AMDGPU.csdata,"",@progbits
; Kernel info:
; codeLenInByte = 3152
; NumSgprs: 21
; NumVgprs: 36
; ScratchSize: 0
; MemoryBound: 0
; FloatMode: 240
; IeeeMode: 1
; LDSByteSize: 16384 bytes/workgroup (compile time only)
; SGPRBlocks: 2
; VGPRBlocks: 4
; NumSGPRsForWavesPerEU: 21
; NumVGPRsForWavesPerEU: 36
; Occupancy: 16
; WaveLimiterHint : 0
; COMPUTE_PGM_RSRC2:SCRATCH_EN: 0
; COMPUTE_PGM_RSRC2:USER_SGPR: 15
; COMPUTE_PGM_RSRC2:TRAP_HANDLER: 0
; COMPUTE_PGM_RSRC2:TGID_X_EN: 1
; COMPUTE_PGM_RSRC2:TGID_Y_EN: 0
; COMPUTE_PGM_RSRC2:TGID_Z_EN: 0
; COMPUTE_PGM_RSRC2:TIDIG_COMP_CNT: 0
	.section	.text._ZN9rocsparseL27bsrgemm_fill_wf_per_row_2x2ILj256ELj16ELj8ELj137ElldEEv20rocsparse_direction_T4_S2_PKS2_S4_NS_24const_host_device_scalarIT5_EEPKT3_S4_PKS6_SA_S4_SC_S7_SA_S4_SC_SA_PS2_PS6_21rocsparse_index_base_SF_SF_SF_bbb,"axG",@progbits,_ZN9rocsparseL27bsrgemm_fill_wf_per_row_2x2ILj256ELj16ELj8ELj137ElldEEv20rocsparse_direction_T4_S2_PKS2_S4_NS_24const_host_device_scalarIT5_EEPKT3_S4_PKS6_SA_S4_SC_S7_SA_S4_SC_SA_PS2_PS6_21rocsparse_index_base_SF_SF_SF_bbb,comdat
	.globl	_ZN9rocsparseL27bsrgemm_fill_wf_per_row_2x2ILj256ELj16ELj8ELj137ElldEEv20rocsparse_direction_T4_S2_PKS2_S4_NS_24const_host_device_scalarIT5_EEPKT3_S4_PKS6_SA_S4_SC_S7_SA_S4_SC_SA_PS2_PS6_21rocsparse_index_base_SF_SF_SF_bbb ; -- Begin function _ZN9rocsparseL27bsrgemm_fill_wf_per_row_2x2ILj256ELj16ELj8ELj137ElldEEv20rocsparse_direction_T4_S2_PKS2_S4_NS_24const_host_device_scalarIT5_EEPKT3_S4_PKS6_SA_S4_SC_S7_SA_S4_SC_SA_PS2_PS6_21rocsparse_index_base_SF_SF_SF_bbb
	.p2align	8
	.type	_ZN9rocsparseL27bsrgemm_fill_wf_per_row_2x2ILj256ELj16ELj8ELj137ElldEEv20rocsparse_direction_T4_S2_PKS2_S4_NS_24const_host_device_scalarIT5_EEPKT3_S4_PKS6_SA_S4_SC_S7_SA_S4_SC_SA_PS2_PS6_21rocsparse_index_base_SF_SF_SF_bbb,@function
_ZN9rocsparseL27bsrgemm_fill_wf_per_row_2x2ILj256ELj16ELj8ELj137ElldEEv20rocsparse_direction_T4_S2_PKS2_S4_NS_24const_host_device_scalarIT5_EEPKT3_S4_PKS6_SA_S4_SC_S7_SA_S4_SC_SA_PS2_PS6_21rocsparse_index_base_SF_SF_SF_bbb: ; @_ZN9rocsparseL27bsrgemm_fill_wf_per_row_2x2ILj256ELj16ELj8ELj137ElldEEv20rocsparse_direction_T4_S2_PKS2_S4_NS_24const_host_device_scalarIT5_EEPKT3_S4_PKS6_SA_S4_SC_S7_SA_S4_SC_SA_PS2_PS6_21rocsparse_index_base_SF_SF_SF_bbb
; %bb.0:
	s_clause 0x2
	s_load_b32 s6, s[0:1], 0xa8
	s_load_b64 s[4:5], s[0:1], 0x28
	s_load_b64 s[2:3], s[0:1], 0x60
	s_waitcnt lgkmcnt(0)
	s_and_b32 s8, 1, s6
	s_bitcmp1_b32 s6, 16
	s_cselect_b32 s7, -1, 0
	s_cmp_eq_u32 s8, 1
	s_cselect_b32 s13, -1, 0
	s_delay_alu instid0(SALU_CYCLE_1)
	s_and_b32 s8, s13, exec_lo
	s_cselect_b32 s9, s5, 0
	s_cselect_b32 s8, s4, 0
	s_xor_b32 s10, s13, -1
	v_dual_mov_b32 v8, s8 :: v_dual_mov_b32 v9, s9
	s_or_b32 s10, s10, s7
	s_delay_alu instid0(SALU_CYCLE_1)
	s_and_b32 vcc_lo, exec_lo, s10
	s_cbranch_vccnz .LBB107_2
; %bb.1:
	v_dual_mov_b32 v1, s4 :: v_dual_mov_b32 v2, s5
	flat_load_b64 v[8:9], v[1:2]
.LBB107_2:
	s_load_b128 s[36:39], s[0:1], 0x98
	s_bitcmp1_b32 s6, 8
	s_cselect_b32 s12, -1, 0
	s_delay_alu instid0(SALU_CYCLE_1)
	s_and_b32 s4, s12, exec_lo
	s_cselect_b32 s5, s3, 0
	s_cselect_b32 s4, s2, 0
	s_xor_b32 s6, s12, -1
	v_dual_mov_b32 v4, s4 :: v_dual_mov_b32 v5, s5
	s_or_b32 s6, s6, s7
	s_delay_alu instid0(SALU_CYCLE_1)
	s_and_b32 vcc_lo, exec_lo, s6
	s_cbranch_vccnz .LBB107_4
; %bb.3:
	v_dual_mov_b32 v1, s2 :: v_dual_mov_b32 v2, s3
	flat_load_b64 v[4:5], v[1:2]
.LBB107_4:
	s_clause 0x4
	s_load_b128 s[40:43], s[0:1], 0x88
	s_load_b256 s[4:11], s[0:1], 0x68
	s_load_b128 s[44:47], s[0:1], 0x50
	s_load_b256 s[16:23], s[0:1], 0x8
	s_load_b256 s[24:31], s[0:1], 0x30
	v_lshrrev_b32_e32 v2, 4, v0
	v_and_b32_e32 v39, 15, v0
	s_delay_alu instid0(VALU_DEP_2) | instskip(NEXT) | instid1(VALU_DEP_2)
	v_lshl_or_b32 v38, v2, 6, 0x1000
	v_cmp_gt_u32_e64 s2, 8, v39
	s_delay_alu instid0(VALU_DEP_1)
	s_and_saveexec_b32 s3, s2
	s_cbranch_execz .LBB107_6
; %bb.5:
	s_delay_alu instid0(VALU_DEP_2)
	v_lshl_add_u32 v3, v39, 3, v38
	s_waitcnt lgkmcnt(0)
	v_dual_mov_b32 v0, s18 :: v_dual_mov_b32 v1, s19
	ds_store_b64 v3, v[0:1]
.LBB107_6:
	s_or_b32 exec_lo, exec_lo, s3
	v_dual_mov_b32 v0, 0 :: v_dual_lshlrev_b32 v1, 3, v39
	v_or_b32_e32 v3, -16, v39
	s_mov_b32 s3, 0
	s_delay_alu instid0(VALU_DEP_2) | instskip(NEXT) | instid1(VALU_DEP_3)
	v_lshl_or_b32 v6, v2, 8, v1
	v_mov_b32_e32 v1, v0
.LBB107_7:                              ; =>This Inner Loop Header: Depth=1
	s_delay_alu instid0(VALU_DEP_3) | instskip(NEXT) | instid1(VALU_DEP_1)
	v_add_co_u32 v3, s14, v3, 16
	s_xor_b32 s14, s14, -1
	ds_store_b64 v6, v[0:1]
	v_add_nc_u32_e32 v6, 0x80, v6
	s_and_b32 s14, exec_lo, s14
	s_delay_alu instid0(SALU_CYCLE_1) | instskip(NEXT) | instid1(SALU_CYCLE_1)
	s_or_b32 s3, s14, s3
	s_and_not1_b32 exec_lo, exec_lo, s3
	s_cbranch_execnz .LBB107_7
; %bb.8:
	s_or_b32 exec_lo, exec_lo, s3
	v_lshl_or_b32 v6, s15, 4, v2
	v_mov_b32_e32 v7, 0
	s_waitcnt vmcnt(0) lgkmcnt(0)
	s_barrier
	buffer_gl0_inv
	s_mov_b32 s3, exec_lo
	v_cmpx_gt_i64_e64 s[16:17], v[6:7]
	s_cbranch_execz .LBB107_14
; %bb.9:
	s_cmp_eq_u64 s[22:23], 0
	s_cbranch_scc1 .LBB107_11
; %bb.10:
	s_load_b64 s[14:15], s[20:21], 0x0
	v_lshlrev_b64 v[0:1], 3, v[6:7]
	s_waitcnt lgkmcnt(0)
	s_lshl_b64 s[14:15], s[14:15], 3
	s_delay_alu instid0(SALU_CYCLE_1) | instskip(SKIP_1) | instid1(VALU_DEP_1)
	s_add_u32 s3, s22, s14
	s_addc_u32 s14, s23, s15
	v_add_co_u32 v0, vcc_lo, s3, v0
	v_add_co_ci_u32_e32 v1, vcc_lo, s14, v1, vcc_lo
	global_load_b64 v[6:7], v[0:1], off
.LBB107_11:
	s_load_b32 s0, s[0:1], 0x0
	v_lshlrev_b32_e32 v40, 8, v2
	s_and_not1_b32 vcc_lo, exec_lo, s13
	s_cbranch_vccz .LBB107_15
; %bb.12:
	s_and_not1_b32 vcc_lo, exec_lo, s12
	s_waitcnt vmcnt(0) lgkmcnt(0)
	buffer_gl0_inv
	s_cbranch_vccz .LBB107_86
.LBB107_13:
	buffer_gl0_inv
	s_and_b32 exec_lo, exec_lo, s2
	s_cbranch_execnz .LBB107_154
.LBB107_14:
	s_endpgm
.LBB107_15:
	s_waitcnt vmcnt(0)
	v_lshlrev_b64 v[0:1], 3, v[6:7]
	v_sub_co_u32 v12, s1, v39, s36
	s_delay_alu instid0(VALU_DEP_1) | instskip(SKIP_1) | instid1(VALU_DEP_3)
	v_sub_co_ci_u32_e64 v13, null, 0, 0, s1
	s_mov_b32 s3, 0
	v_add_co_u32 v0, vcc_lo, s24, v0
	s_delay_alu instid0(VALU_DEP_4)
	v_add_co_ci_u32_e32 v1, vcc_lo, s25, v1, vcc_lo
	s_mov_b32 s1, exec_lo
	global_load_b128 v[0:3], v[0:1], off
	s_waitcnt vmcnt(0)
	v_sub_co_u32 v10, vcc_lo, v2, s36
	v_subrev_co_ci_u32_e32 v11, vcc_lo, 0, v3, vcc_lo
	v_add_co_u32 v12, vcc_lo, v0, v12
	v_add_co_ci_u32_e32 v13, vcc_lo, v1, v13, vcc_lo
	s_delay_alu instid0(VALU_DEP_1)
	v_cmpx_lt_i64_e64 v[12:13], v[10:11]
	s_cbranch_execz .LBB107_85
; %bb.16:
	s_waitcnt lgkmcnt(0)
	s_cmp_eq_u32 s0, 0
	s_mov_b32 s13, s37
	s_cselect_b32 s14, 1, 2
	s_cselect_b32 s15, 2, 1
	s_branch .LBB107_18
.LBB107_17:                             ;   in Loop: Header=BB107_18 Depth=1
	s_or_b32 exec_lo, exec_lo, s16
	v_add_co_u32 v12, vcc_lo, v12, 16
	v_add_co_ci_u32_e32 v13, vcc_lo, 0, v13, vcc_lo
	s_delay_alu instid0(VALU_DEP_1) | instskip(SKIP_1) | instid1(SALU_CYCLE_1)
	v_cmp_ge_i64_e32 vcc_lo, v[12:13], v[10:11]
	s_or_b32 s3, vcc_lo, s3
	s_and_not1_b32 exec_lo, exec_lo, s3
	s_cbranch_execz .LBB107_85
.LBB107_18:                             ; =>This Loop Header: Depth=1
                                        ;     Child Loop BB107_21 Depth 2
                                        ;       Child Loop BB107_23 Depth 3
                                        ;         Child Loop BB107_29 Depth 4
                                        ;         Child Loop BB107_35 Depth 4
                                        ;       Child Loop BB107_39 Depth 3
                                        ;         Child Loop BB107_45 Depth 4
                                        ;         Child Loop BB107_51 Depth 4
	;; [unrolled: 3-line block ×4, first 2 shown]
	v_lshlrev_b64 v[0:1], 3, v[12:13]
	s_mov_b32 s16, exec_lo
	s_delay_alu instid0(VALU_DEP_1) | instskip(NEXT) | instid1(VALU_DEP_2)
	v_add_co_u32 v0, vcc_lo, s26, v0
	v_add_co_ci_u32_e32 v1, vcc_lo, s27, v1, vcc_lo
	global_load_b64 v[0:1], v[0:1], off
	s_waitcnt vmcnt(0)
	v_sub_co_u32 v0, vcc_lo, v0, s36
	v_subrev_co_ci_u32_e32 v1, vcc_lo, 0, v1, vcc_lo
	s_delay_alu instid0(VALU_DEP_1) | instskip(NEXT) | instid1(VALU_DEP_1)
	v_lshlrev_b64 v[0:1], 3, v[0:1]
	v_add_co_u32 v0, vcc_lo, s30, v0
	s_delay_alu instid0(VALU_DEP_2)
	v_add_co_ci_u32_e32 v1, vcc_lo, s31, v1, vcc_lo
	global_load_b128 v[0:3], v[0:1], off
	s_waitcnt vmcnt(0)
	v_cmpx_lt_i64_e64 v[0:1], v[2:3]
	s_cbranch_execz .LBB107_17
; %bb.19:                               ;   in Loop: Header=BB107_18 Depth=1
	v_lshlrev_b64 v[14:15], 2, v[12:13]
	v_lshlrev_b64 v[18:19], 5, v[12:13]
	s_mov_b32 s17, 0
	s_delay_alu instid0(VALU_DEP_2) | instskip(NEXT) | instid1(VALU_DEP_3)
	v_or_b32_e32 v17, 0, v15
	v_or_b32_e32 v16, s15, v14
	;; [unrolled: 1-line block ×4, first 2 shown]
	v_add_co_u32 v18, vcc_lo, s28, v18
	s_delay_alu instid0(VALU_DEP_4) | instskip(SKIP_1) | instid1(VALU_DEP_4)
	v_lshlrev_b64 v[16:17], 3, v[16:17]
	v_add_co_ci_u32_e32 v19, vcc_lo, s29, v19, vcc_lo
	v_lshlrev_b64 v[14:15], 3, v[14:15]
	s_delay_alu instid0(VALU_DEP_3) | instskip(NEXT) | instid1(VALU_DEP_4)
	v_add_co_u32 v16, vcc_lo, s28, v16
	v_add_co_ci_u32_e32 v17, vcc_lo, s29, v17, vcc_lo
	s_delay_alu instid0(VALU_DEP_3) | instskip(NEXT) | instid1(VALU_DEP_4)
	v_add_co_u32 v14, vcc_lo, s28, v14
	v_add_co_ci_u32_e32 v15, vcc_lo, s29, v15, vcc_lo
	s_clause 0x3
	global_load_b64 v[20:21], v[18:19], off offset:24
	global_load_b64 v[16:17], v[16:17], off
	global_load_b64 v[22:23], v[14:15], off
	;; [unrolled: 1-line block ×3, first 2 shown]
	v_sub_co_u32 v2, vcc_lo, v2, s13
	v_subrev_co_ci_u32_e32 v3, vcc_lo, 0, v3, vcc_lo
	v_sub_co_u32 v0, vcc_lo, v0, s13
	v_subrev_co_ci_u32_e32 v1, vcc_lo, 0, v1, vcc_lo
	s_waitcnt vmcnt(3)
	v_mul_f64 v[14:15], v[8:9], v[20:21]
	s_waitcnt vmcnt(2)
	v_mul_f64 v[16:17], v[8:9], v[16:17]
	;; [unrolled: 2-line block ×4, first 2 shown]
	s_branch .LBB107_21
.LBB107_20:                             ;   in Loop: Header=BB107_21 Depth=2
	s_or_b32 exec_lo, exec_lo, s20
	v_add_co_u32 v0, vcc_lo, v0, 1
	v_add_co_ci_u32_e32 v1, vcc_lo, 0, v1, vcc_lo
	s_delay_alu instid0(VALU_DEP_1) | instskip(SKIP_1) | instid1(SALU_CYCLE_1)
	v_cmp_ge_i64_e32 vcc_lo, v[0:1], v[2:3]
	s_or_b32 s17, vcc_lo, s17
	s_and_not1_b32 exec_lo, exec_lo, s17
	s_cbranch_execz .LBB107_17
.LBB107_21:                             ;   Parent Loop BB107_18 Depth=1
                                        ; =>  This Loop Header: Depth=2
                                        ;       Child Loop BB107_23 Depth 3
                                        ;         Child Loop BB107_29 Depth 4
                                        ;         Child Loop BB107_35 Depth 4
                                        ;       Child Loop BB107_39 Depth 3
                                        ;         Child Loop BB107_45 Depth 4
                                        ;         Child Loop BB107_51 Depth 4
                                        ;       Child Loop BB107_55 Depth 3
                                        ;         Child Loop BB107_61 Depth 4
                                        ;         Child Loop BB107_67 Depth 4
                                        ;       Child Loop BB107_71 Depth 3
                                        ;         Child Loop BB107_77 Depth 4
                                        ;         Child Loop BB107_83 Depth 4
	v_lshlrev_b64 v[22:23], 2, v[0:1]
	s_mov_b32 s20, 0
	s_delay_alu instid0(VALU_DEP_1) | instskip(NEXT) | instid1(VALU_DEP_2)
	v_or_b32_e32 v25, 0, v23
	v_or_b32_e32 v24, s15, v22
	;; [unrolled: 1-line block ×4, first 2 shown]
	s_delay_alu instid0(VALU_DEP_3) | instskip(NEXT) | instid1(VALU_DEP_2)
	v_lshlrev_b64 v[24:25], 3, v[24:25]
	v_lshlrev_b64 v[22:23], 3, v[22:23]
	s_delay_alu instid0(VALU_DEP_2) | instskip(NEXT) | instid1(VALU_DEP_3)
	v_add_co_u32 v24, vcc_lo, s46, v24
	v_add_co_ci_u32_e32 v25, vcc_lo, s47, v25, vcc_lo
	global_load_b64 v[29:30], v[24:25], off
	v_lshlrev_b64 v[24:25], 5, v[0:1]
	s_delay_alu instid0(VALU_DEP_1) | instskip(NEXT) | instid1(VALU_DEP_2)
	v_add_co_u32 v27, vcc_lo, s46, v24
	v_add_co_ci_u32_e32 v28, vcc_lo, s47, v25, vcc_lo
	v_lshlrev_b64 v[24:25], 3, v[0:1]
	global_load_b64 v[31:32], v[27:28], off
	v_add_co_u32 v24, vcc_lo, s44, v24
	v_add_co_ci_u32_e32 v25, vcc_lo, s45, v25, vcc_lo
	v_add_co_u32 v22, vcc_lo, s46, v22
	v_add_co_ci_u32_e32 v23, vcc_lo, s47, v23, vcc_lo
	global_load_b64 v[35:36], v[24:25], off
	s_clause 0x1
	global_load_b64 v[25:26], v[22:23], off
	global_load_b64 v[27:28], v[27:28], off offset:24
	s_waitcnt vmcnt(4)
	v_mul_f64 v[22:23], v[20:21], v[29:30]
	s_waitcnt vmcnt(3)
	s_delay_alu instid0(VALU_DEP_1) | instskip(SKIP_3) | instid1(VALU_DEP_2)
	v_fma_f64 v[33:34], v[18:19], v[31:32], v[22:23]
	s_waitcnt vmcnt(2)
	v_sub_co_u32 v22, vcc_lo, v35, s13
	v_subrev_co_ci_u32_e32 v23, vcc_lo, 0, v36, vcc_lo
	v_and_b32_e32 v24, 7, v22
	s_waitcnt vmcnt(1)
	s_delay_alu instid0(VALU_DEP_1)
	v_dual_mov_b32 v36, v25 :: v_dual_mov_b32 v35, v24
	s_branch .LBB107_23
.LBB107_22:                             ;   in Loop: Header=BB107_23 Depth=3
	s_or_b32 exec_lo, exec_lo, s21
	s_xor_b32 s21, s22, -1
	s_delay_alu instid0(SALU_CYCLE_1) | instskip(NEXT) | instid1(SALU_CYCLE_1)
	s_and_b32 s21, exec_lo, s21
	s_or_b32 s20, s21, s20
	s_delay_alu instid0(SALU_CYCLE_1)
	s_and_not1_b32 exec_lo, exec_lo, s20
	s_cbranch_execz .LBB107_37
.LBB107_23:                             ;   Parent Loop BB107_18 Depth=1
                                        ;     Parent Loop BB107_21 Depth=2
                                        ; =>    This Loop Header: Depth=3
                                        ;         Child Loop BB107_29 Depth 4
                                        ;         Child Loop BB107_35 Depth 4
	s_delay_alu instid0(VALU_DEP_1)
	v_lshl_add_u32 v41, v35, 3, v38
	s_mov_b32 s21, exec_lo
                                        ; implicit-def: $sgpr22
	ds_load_b64 v[36:37], v41
	s_waitcnt lgkmcnt(0)
	v_cmpx_ne_u64_e64 v[36:37], v[22:23]
	s_xor_b32 s21, exec_lo, s21
	s_cbranch_execz .LBB107_33
; %bb.24:                               ;   in Loop: Header=BB107_23 Depth=3
	s_mov_b32 s23, exec_lo
                                        ; implicit-def: $sgpr22
	v_cmpx_ne_u64_e64 s[18:19], v[36:37]
	s_xor_b32 s23, exec_lo, s23
; %bb.25:                               ;   in Loop: Header=BB107_23 Depth=3
	v_add_nc_u32_e32 v35, 1, v35
	s_mov_b32 s22, -1
                                        ; implicit-def: $vgpr41
	s_delay_alu instid0(VALU_DEP_1)
	v_and_b32_e32 v35, 7, v35
; %bb.26:                               ;   in Loop: Header=BB107_23 Depth=3
	s_and_not1_saveexec_b32 s23, s23
	s_cbranch_execz .LBB107_32
; %bb.27:                               ;   in Loop: Header=BB107_23 Depth=3
	v_dual_mov_b32 v37, s19 :: v_dual_mov_b32 v36, s18
	s_mov_b32 s25, -1
	s_mov_b32 s24, exec_lo
	ds_cmpstore_rtn_b64 v[36:37], v41, v[22:23], v[36:37]
	s_waitcnt lgkmcnt(0)
	v_cmpx_eq_u64_e64 s[18:19], v[36:37]
	s_cbranch_execz .LBB107_31
; %bb.28:                               ;   in Loop: Header=BB107_23 Depth=3
	v_lshlrev_b32_e32 v36, 5, v35
	s_mov_b32 s25, 0
	s_delay_alu instid0(VALU_DEP_1)
	v_add_nc_u32_e32 v41, v40, v36
	ds_load_b64 v[36:37], v41
.LBB107_29:                             ;   Parent Loop BB107_18 Depth=1
                                        ;     Parent Loop BB107_21 Depth=2
                                        ;       Parent Loop BB107_23 Depth=3
                                        ; =>      This Inner Loop Header: Depth=4
	s_waitcnt lgkmcnt(0)
	v_add_f64 v[42:43], v[36:37], v[33:34]
	ds_cmpstore_rtn_b64 v[42:43], v41, v[42:43], v[36:37]
	s_waitcnt lgkmcnt(0)
	v_cmp_eq_u64_e32 vcc_lo, v[42:43], v[36:37]
	v_dual_mov_b32 v36, v42 :: v_dual_mov_b32 v37, v43
	s_or_b32 s25, vcc_lo, s25
	s_delay_alu instid0(SALU_CYCLE_1)
	s_and_not1_b32 exec_lo, exec_lo, s25
	s_cbranch_execnz .LBB107_29
; %bb.30:                               ;   in Loop: Header=BB107_23 Depth=3
	s_or_b32 exec_lo, exec_lo, s25
	s_delay_alu instid0(SALU_CYCLE_1)
	s_xor_b32 s25, exec_lo, -1
.LBB107_31:                             ;   in Loop: Header=BB107_23 Depth=3
	s_or_b32 exec_lo, exec_lo, s24
	s_delay_alu instid0(SALU_CYCLE_1) | instskip(SKIP_1) | instid1(SALU_CYCLE_1)
	s_and_not1_b32 s22, s22, exec_lo
	s_and_b32 s24, s25, exec_lo
	s_or_b32 s22, s22, s24
.LBB107_32:                             ;   in Loop: Header=BB107_23 Depth=3
	s_or_b32 exec_lo, exec_lo, s23
	s_delay_alu instid0(SALU_CYCLE_1)
	s_and_b32 s22, s22, exec_lo
.LBB107_33:                             ;   in Loop: Header=BB107_23 Depth=3
	s_and_not1_saveexec_b32 s21, s21
	s_cbranch_execz .LBB107_22
; %bb.34:                               ;   in Loop: Header=BB107_23 Depth=3
	v_lshlrev_b32_e32 v36, 5, v35
	s_mov_b32 s23, 0
	s_delay_alu instid0(VALU_DEP_1)
	v_add_nc_u32_e32 v41, v40, v36
	ds_load_b64 v[36:37], v41
.LBB107_35:                             ;   Parent Loop BB107_18 Depth=1
                                        ;     Parent Loop BB107_21 Depth=2
                                        ;       Parent Loop BB107_23 Depth=3
                                        ; =>      This Inner Loop Header: Depth=4
	s_waitcnt lgkmcnt(0)
	v_add_f64 v[42:43], v[36:37], v[33:34]
	ds_cmpstore_rtn_b64 v[42:43], v41, v[42:43], v[36:37]
	s_waitcnt lgkmcnt(0)
	v_cmp_eq_u64_e32 vcc_lo, v[42:43], v[36:37]
	v_dual_mov_b32 v36, v42 :: v_dual_mov_b32 v37, v43
	s_or_b32 s23, vcc_lo, s23
	s_delay_alu instid0(SALU_CYCLE_1)
	s_and_not1_b32 exec_lo, exec_lo, s23
	s_cbranch_execnz .LBB107_35
; %bb.36:                               ;   in Loop: Header=BB107_23 Depth=3
	s_or_b32 exec_lo, exec_lo, s23
	s_delay_alu instid0(SALU_CYCLE_1)
	s_and_not1_b32 s22, s22, exec_lo
	s_branch .LBB107_22
.LBB107_37:                             ;   in Loop: Header=BB107_21 Depth=2
	s_or_b32 exec_lo, exec_lo, s20
	s_waitcnt vmcnt(0)
	v_mul_f64 v[33:34], v[20:21], v[27:28]
	v_dual_mov_b32 v36, v25 :: v_dual_mov_b32 v35, v24
	s_mov_b32 s20, 0
	s_delay_alu instid0(VALU_DEP_2)
	v_fma_f64 v[33:34], v[18:19], v[25:26], v[33:34]
	s_branch .LBB107_39
.LBB107_38:                             ;   in Loop: Header=BB107_39 Depth=3
	s_or_b32 exec_lo, exec_lo, s21
	s_xor_b32 s21, s22, -1
	s_delay_alu instid0(SALU_CYCLE_1) | instskip(NEXT) | instid1(SALU_CYCLE_1)
	s_and_b32 s21, exec_lo, s21
	s_or_b32 s20, s21, s20
	s_delay_alu instid0(SALU_CYCLE_1)
	s_and_not1_b32 exec_lo, exec_lo, s20
	s_cbranch_execz .LBB107_53
.LBB107_39:                             ;   Parent Loop BB107_18 Depth=1
                                        ;     Parent Loop BB107_21 Depth=2
                                        ; =>    This Loop Header: Depth=3
                                        ;         Child Loop BB107_45 Depth 4
                                        ;         Child Loop BB107_51 Depth 4
	s_delay_alu instid0(VALU_DEP_2)
	v_lshl_add_u32 v41, v35, 3, v38
	s_mov_b32 s21, exec_lo
                                        ; implicit-def: $sgpr22
	ds_load_b64 v[36:37], v41
	s_waitcnt lgkmcnt(0)
	v_cmpx_ne_u64_e64 v[36:37], v[22:23]
	s_xor_b32 s21, exec_lo, s21
	s_cbranch_execz .LBB107_49
; %bb.40:                               ;   in Loop: Header=BB107_39 Depth=3
	s_mov_b32 s23, exec_lo
                                        ; implicit-def: $sgpr22
	v_cmpx_ne_u64_e64 s[18:19], v[36:37]
	s_xor_b32 s23, exec_lo, s23
; %bb.41:                               ;   in Loop: Header=BB107_39 Depth=3
	v_add_nc_u32_e32 v35, 1, v35
	s_mov_b32 s22, -1
                                        ; implicit-def: $vgpr41
	s_delay_alu instid0(VALU_DEP_1)
	v_and_b32_e32 v35, 7, v35
; %bb.42:                               ;   in Loop: Header=BB107_39 Depth=3
	s_and_not1_saveexec_b32 s23, s23
	s_cbranch_execz .LBB107_48
; %bb.43:                               ;   in Loop: Header=BB107_39 Depth=3
	v_dual_mov_b32 v37, s19 :: v_dual_mov_b32 v36, s18
	s_mov_b32 s25, -1
	s_mov_b32 s24, exec_lo
	ds_cmpstore_rtn_b64 v[36:37], v41, v[22:23], v[36:37]
	s_waitcnt lgkmcnt(0)
	v_cmpx_eq_u64_e64 s[18:19], v[36:37]
	s_cbranch_execz .LBB107_47
; %bb.44:                               ;   in Loop: Header=BB107_39 Depth=3
	v_lshlrev_b32_e32 v36, 5, v35
	s_mov_b32 s25, 0
	s_delay_alu instid0(VALU_DEP_1)
	v_add_nc_u32_e32 v41, v40, v36
	ds_load_b64 v[36:37], v41 offset:8
.LBB107_45:                             ;   Parent Loop BB107_18 Depth=1
                                        ;     Parent Loop BB107_21 Depth=2
                                        ;       Parent Loop BB107_39 Depth=3
                                        ; =>      This Inner Loop Header: Depth=4
	s_waitcnt lgkmcnt(0)
	v_add_f64 v[42:43], v[36:37], v[33:34]
	ds_cmpstore_rtn_b64 v[42:43], v41, v[42:43], v[36:37] offset:8
	s_waitcnt lgkmcnt(0)
	v_cmp_eq_u64_e32 vcc_lo, v[42:43], v[36:37]
	v_dual_mov_b32 v36, v42 :: v_dual_mov_b32 v37, v43
	s_or_b32 s25, vcc_lo, s25
	s_delay_alu instid0(SALU_CYCLE_1)
	s_and_not1_b32 exec_lo, exec_lo, s25
	s_cbranch_execnz .LBB107_45
; %bb.46:                               ;   in Loop: Header=BB107_39 Depth=3
	s_or_b32 exec_lo, exec_lo, s25
	s_delay_alu instid0(SALU_CYCLE_1)
	s_xor_b32 s25, exec_lo, -1
.LBB107_47:                             ;   in Loop: Header=BB107_39 Depth=3
	s_or_b32 exec_lo, exec_lo, s24
	s_delay_alu instid0(SALU_CYCLE_1) | instskip(SKIP_1) | instid1(SALU_CYCLE_1)
	s_and_not1_b32 s22, s22, exec_lo
	s_and_b32 s24, s25, exec_lo
	s_or_b32 s22, s22, s24
.LBB107_48:                             ;   in Loop: Header=BB107_39 Depth=3
	s_or_b32 exec_lo, exec_lo, s23
	s_delay_alu instid0(SALU_CYCLE_1)
	s_and_b32 s22, s22, exec_lo
.LBB107_49:                             ;   in Loop: Header=BB107_39 Depth=3
	s_and_not1_saveexec_b32 s21, s21
	s_cbranch_execz .LBB107_38
; %bb.50:                               ;   in Loop: Header=BB107_39 Depth=3
	v_lshlrev_b32_e32 v36, 5, v35
	s_mov_b32 s23, 0
	s_delay_alu instid0(VALU_DEP_1)
	v_add_nc_u32_e32 v41, v40, v36
	ds_load_b64 v[36:37], v41 offset:8
.LBB107_51:                             ;   Parent Loop BB107_18 Depth=1
                                        ;     Parent Loop BB107_21 Depth=2
                                        ;       Parent Loop BB107_39 Depth=3
                                        ; =>      This Inner Loop Header: Depth=4
	s_waitcnt lgkmcnt(0)
	v_add_f64 v[42:43], v[36:37], v[33:34]
	ds_cmpstore_rtn_b64 v[42:43], v41, v[42:43], v[36:37] offset:8
	s_waitcnt lgkmcnt(0)
	v_cmp_eq_u64_e32 vcc_lo, v[42:43], v[36:37]
	v_dual_mov_b32 v36, v42 :: v_dual_mov_b32 v37, v43
	s_or_b32 s23, vcc_lo, s23
	s_delay_alu instid0(SALU_CYCLE_1)
	s_and_not1_b32 exec_lo, exec_lo, s23
	s_cbranch_execnz .LBB107_51
; %bb.52:                               ;   in Loop: Header=BB107_39 Depth=3
	s_or_b32 exec_lo, exec_lo, s23
	s_delay_alu instid0(SALU_CYCLE_1)
	s_and_not1_b32 s22, s22, exec_lo
	s_branch .LBB107_38
.LBB107_53:                             ;   in Loop: Header=BB107_21 Depth=2
	s_or_b32 exec_lo, exec_lo, s20
	v_mul_f64 v[29:30], v[14:15], v[29:30]
	s_mov_b32 s20, 0
	s_delay_alu instid0(VALU_DEP_1)
	v_fma_f64 v[29:30], v[16:17], v[31:32], v[29:30]
	v_dual_mov_b32 v32, v25 :: v_dual_mov_b32 v31, v24
	s_branch .LBB107_55
.LBB107_54:                             ;   in Loop: Header=BB107_55 Depth=3
	s_or_b32 exec_lo, exec_lo, s21
	s_xor_b32 s21, s22, -1
	s_delay_alu instid0(SALU_CYCLE_1) | instskip(NEXT) | instid1(SALU_CYCLE_1)
	s_and_b32 s21, exec_lo, s21
	s_or_b32 s20, s21, s20
	s_delay_alu instid0(SALU_CYCLE_1)
	s_and_not1_b32 exec_lo, exec_lo, s20
	s_cbranch_execz .LBB107_69
.LBB107_55:                             ;   Parent Loop BB107_18 Depth=1
                                        ;     Parent Loop BB107_21 Depth=2
                                        ; =>    This Loop Header: Depth=3
                                        ;         Child Loop BB107_61 Depth 4
                                        ;         Child Loop BB107_67 Depth 4
	s_delay_alu instid0(VALU_DEP_1)
	v_lshl_add_u32 v34, v31, 3, v38
	s_mov_b32 s21, exec_lo
                                        ; implicit-def: $sgpr22
	ds_load_b64 v[32:33], v34
	s_waitcnt lgkmcnt(0)
	v_cmpx_ne_u64_e64 v[32:33], v[22:23]
	s_xor_b32 s21, exec_lo, s21
	s_cbranch_execz .LBB107_65
; %bb.56:                               ;   in Loop: Header=BB107_55 Depth=3
	s_mov_b32 s23, exec_lo
                                        ; implicit-def: $sgpr22
	v_cmpx_ne_u64_e64 s[18:19], v[32:33]
	s_xor_b32 s23, exec_lo, s23
; %bb.57:                               ;   in Loop: Header=BB107_55 Depth=3
	v_add_nc_u32_e32 v31, 1, v31
	s_mov_b32 s22, -1
                                        ; implicit-def: $vgpr34
	s_delay_alu instid0(VALU_DEP_1)
	v_and_b32_e32 v31, 7, v31
; %bb.58:                               ;   in Loop: Header=BB107_55 Depth=3
	s_and_not1_saveexec_b32 s23, s23
	s_cbranch_execz .LBB107_64
; %bb.59:                               ;   in Loop: Header=BB107_55 Depth=3
	v_dual_mov_b32 v33, s19 :: v_dual_mov_b32 v32, s18
	s_mov_b32 s25, -1
	s_mov_b32 s24, exec_lo
	ds_cmpstore_rtn_b64 v[32:33], v34, v[22:23], v[32:33]
	s_waitcnt lgkmcnt(0)
	v_cmpx_eq_u64_e64 s[18:19], v[32:33]
	s_cbranch_execz .LBB107_63
; %bb.60:                               ;   in Loop: Header=BB107_55 Depth=3
	v_lshlrev_b32_e32 v32, 5, v31
	s_mov_b32 s25, 0
	s_delay_alu instid0(VALU_DEP_1)
	v_add_nc_u32_e32 v34, v40, v32
	ds_load_b64 v[32:33], v34 offset:16
.LBB107_61:                             ;   Parent Loop BB107_18 Depth=1
                                        ;     Parent Loop BB107_21 Depth=2
                                        ;       Parent Loop BB107_55 Depth=3
                                        ; =>      This Inner Loop Header: Depth=4
	s_waitcnt lgkmcnt(0)
	v_add_f64 v[35:36], v[32:33], v[29:30]
	ds_cmpstore_rtn_b64 v[35:36], v34, v[35:36], v[32:33] offset:16
	s_waitcnt lgkmcnt(0)
	v_cmp_eq_u64_e32 vcc_lo, v[35:36], v[32:33]
	v_dual_mov_b32 v32, v35 :: v_dual_mov_b32 v33, v36
	s_or_b32 s25, vcc_lo, s25
	s_delay_alu instid0(SALU_CYCLE_1)
	s_and_not1_b32 exec_lo, exec_lo, s25
	s_cbranch_execnz .LBB107_61
; %bb.62:                               ;   in Loop: Header=BB107_55 Depth=3
	s_or_b32 exec_lo, exec_lo, s25
	s_delay_alu instid0(SALU_CYCLE_1)
	s_xor_b32 s25, exec_lo, -1
.LBB107_63:                             ;   in Loop: Header=BB107_55 Depth=3
	s_or_b32 exec_lo, exec_lo, s24
	s_delay_alu instid0(SALU_CYCLE_1) | instskip(SKIP_1) | instid1(SALU_CYCLE_1)
	s_and_not1_b32 s22, s22, exec_lo
	s_and_b32 s24, s25, exec_lo
	s_or_b32 s22, s22, s24
.LBB107_64:                             ;   in Loop: Header=BB107_55 Depth=3
	s_or_b32 exec_lo, exec_lo, s23
	s_delay_alu instid0(SALU_CYCLE_1)
	s_and_b32 s22, s22, exec_lo
.LBB107_65:                             ;   in Loop: Header=BB107_55 Depth=3
	s_and_not1_saveexec_b32 s21, s21
	s_cbranch_execz .LBB107_54
; %bb.66:                               ;   in Loop: Header=BB107_55 Depth=3
	v_lshlrev_b32_e32 v32, 5, v31
	s_mov_b32 s23, 0
	s_delay_alu instid0(VALU_DEP_1)
	v_add_nc_u32_e32 v34, v40, v32
	ds_load_b64 v[32:33], v34 offset:16
.LBB107_67:                             ;   Parent Loop BB107_18 Depth=1
                                        ;     Parent Loop BB107_21 Depth=2
                                        ;       Parent Loop BB107_55 Depth=3
                                        ; =>      This Inner Loop Header: Depth=4
	s_waitcnt lgkmcnt(0)
	v_add_f64 v[35:36], v[32:33], v[29:30]
	ds_cmpstore_rtn_b64 v[35:36], v34, v[35:36], v[32:33] offset:16
	s_waitcnt lgkmcnt(0)
	v_cmp_eq_u64_e32 vcc_lo, v[35:36], v[32:33]
	v_dual_mov_b32 v32, v35 :: v_dual_mov_b32 v33, v36
	s_or_b32 s23, vcc_lo, s23
	s_delay_alu instid0(SALU_CYCLE_1)
	s_and_not1_b32 exec_lo, exec_lo, s23
	s_cbranch_execnz .LBB107_67
; %bb.68:                               ;   in Loop: Header=BB107_55 Depth=3
	s_or_b32 exec_lo, exec_lo, s23
	s_delay_alu instid0(SALU_CYCLE_1)
	s_and_not1_b32 s22, s22, exec_lo
	s_branch .LBB107_54
.LBB107_69:                             ;   in Loop: Header=BB107_21 Depth=2
	s_or_b32 exec_lo, exec_lo, s20
	v_mul_f64 v[27:28], v[14:15], v[27:28]
	s_mov_b32 s20, 0
	s_delay_alu instid0(VALU_DEP_1)
	v_fma_f64 v[25:26], v[16:17], v[25:26], v[27:28]
	s_branch .LBB107_71
.LBB107_70:                             ;   in Loop: Header=BB107_71 Depth=3
	s_or_b32 exec_lo, exec_lo, s21
	s_xor_b32 s21, s22, -1
	s_delay_alu instid0(SALU_CYCLE_1) | instskip(NEXT) | instid1(SALU_CYCLE_1)
	s_and_b32 s21, exec_lo, s21
	s_or_b32 s20, s21, s20
	s_delay_alu instid0(SALU_CYCLE_1)
	s_and_not1_b32 exec_lo, exec_lo, s20
	s_cbranch_execz .LBB107_20
.LBB107_71:                             ;   Parent Loop BB107_18 Depth=1
                                        ;     Parent Loop BB107_21 Depth=2
                                        ; =>    This Loop Header: Depth=3
                                        ;         Child Loop BB107_77 Depth 4
                                        ;         Child Loop BB107_83 Depth 4
	v_lshl_add_u32 v29, v24, 3, v38
	s_mov_b32 s21, exec_lo
                                        ; implicit-def: $sgpr22
	ds_load_b64 v[27:28], v29
	s_waitcnt lgkmcnt(0)
	v_cmpx_ne_u64_e64 v[27:28], v[22:23]
	s_xor_b32 s21, exec_lo, s21
	s_cbranch_execz .LBB107_81
; %bb.72:                               ;   in Loop: Header=BB107_71 Depth=3
	s_mov_b32 s23, exec_lo
                                        ; implicit-def: $sgpr22
	v_cmpx_ne_u64_e64 s[18:19], v[27:28]
	s_xor_b32 s23, exec_lo, s23
; %bb.73:                               ;   in Loop: Header=BB107_71 Depth=3
	v_add_nc_u32_e32 v24, 1, v24
	s_mov_b32 s22, -1
                                        ; implicit-def: $vgpr29
	s_delay_alu instid0(VALU_DEP_1)
	v_and_b32_e32 v24, 7, v24
; %bb.74:                               ;   in Loop: Header=BB107_71 Depth=3
	s_and_not1_saveexec_b32 s23, s23
	s_cbranch_execz .LBB107_80
; %bb.75:                               ;   in Loop: Header=BB107_71 Depth=3
	v_dual_mov_b32 v28, s19 :: v_dual_mov_b32 v27, s18
	s_mov_b32 s25, -1
	s_mov_b32 s24, exec_lo
	ds_cmpstore_rtn_b64 v[27:28], v29, v[22:23], v[27:28]
	s_waitcnt lgkmcnt(0)
	v_cmpx_eq_u64_e64 s[18:19], v[27:28]
	s_cbranch_execz .LBB107_79
; %bb.76:                               ;   in Loop: Header=BB107_71 Depth=3
	v_lshlrev_b32_e32 v27, 5, v24
	s_mov_b32 s25, 0
	s_delay_alu instid0(VALU_DEP_1)
	v_add_nc_u32_e32 v29, v40, v27
	ds_load_b64 v[27:28], v29 offset:24
.LBB107_77:                             ;   Parent Loop BB107_18 Depth=1
                                        ;     Parent Loop BB107_21 Depth=2
                                        ;       Parent Loop BB107_71 Depth=3
                                        ; =>      This Inner Loop Header: Depth=4
	s_waitcnt lgkmcnt(0)
	v_add_f64 v[30:31], v[27:28], v[25:26]
	ds_cmpstore_rtn_b64 v[30:31], v29, v[30:31], v[27:28] offset:24
	s_waitcnt lgkmcnt(0)
	v_cmp_eq_u64_e32 vcc_lo, v[30:31], v[27:28]
	v_dual_mov_b32 v27, v30 :: v_dual_mov_b32 v28, v31
	s_or_b32 s25, vcc_lo, s25
	s_delay_alu instid0(SALU_CYCLE_1)
	s_and_not1_b32 exec_lo, exec_lo, s25
	s_cbranch_execnz .LBB107_77
; %bb.78:                               ;   in Loop: Header=BB107_71 Depth=3
	s_or_b32 exec_lo, exec_lo, s25
	s_delay_alu instid0(SALU_CYCLE_1)
	s_xor_b32 s25, exec_lo, -1
.LBB107_79:                             ;   in Loop: Header=BB107_71 Depth=3
	s_or_b32 exec_lo, exec_lo, s24
	s_delay_alu instid0(SALU_CYCLE_1) | instskip(SKIP_1) | instid1(SALU_CYCLE_1)
	s_and_not1_b32 s22, s22, exec_lo
	s_and_b32 s24, s25, exec_lo
	s_or_b32 s22, s22, s24
.LBB107_80:                             ;   in Loop: Header=BB107_71 Depth=3
	s_or_b32 exec_lo, exec_lo, s23
	s_delay_alu instid0(SALU_CYCLE_1)
	s_and_b32 s22, s22, exec_lo
.LBB107_81:                             ;   in Loop: Header=BB107_71 Depth=3
	s_and_not1_saveexec_b32 s21, s21
	s_cbranch_execz .LBB107_70
; %bb.82:                               ;   in Loop: Header=BB107_71 Depth=3
	v_lshlrev_b32_e32 v27, 5, v24
	s_mov_b32 s23, 0
	s_delay_alu instid0(VALU_DEP_1)
	v_add_nc_u32_e32 v29, v40, v27
	ds_load_b64 v[27:28], v29 offset:24
.LBB107_83:                             ;   Parent Loop BB107_18 Depth=1
                                        ;     Parent Loop BB107_21 Depth=2
                                        ;       Parent Loop BB107_71 Depth=3
                                        ; =>      This Inner Loop Header: Depth=4
	s_waitcnt lgkmcnt(0)
	v_add_f64 v[30:31], v[27:28], v[25:26]
	ds_cmpstore_rtn_b64 v[30:31], v29, v[30:31], v[27:28] offset:24
	s_waitcnt lgkmcnt(0)
	v_cmp_eq_u64_e32 vcc_lo, v[30:31], v[27:28]
	v_dual_mov_b32 v27, v30 :: v_dual_mov_b32 v28, v31
	s_or_b32 s23, vcc_lo, s23
	s_delay_alu instid0(SALU_CYCLE_1)
	s_and_not1_b32 exec_lo, exec_lo, s23
	s_cbranch_execnz .LBB107_83
; %bb.84:                               ;   in Loop: Header=BB107_71 Depth=3
	s_or_b32 exec_lo, exec_lo, s23
	s_delay_alu instid0(SALU_CYCLE_1)
	s_and_not1_b32 s22, s22, exec_lo
	s_branch .LBB107_70
.LBB107_85:
	s_or_b32 exec_lo, exec_lo, s1
	s_delay_alu instid0(SALU_CYCLE_1)
	s_and_not1_b32 vcc_lo, exec_lo, s12
	s_waitcnt lgkmcnt(0)
	buffer_gl0_inv
	s_cbranch_vccnz .LBB107_13
.LBB107_86:
	v_lshlrev_b64 v[0:1], 3, v[6:7]
	v_sub_co_u32 v2, s1, v39, s39
	s_delay_alu instid0(VALU_DEP_1) | instskip(SKIP_1) | instid1(VALU_DEP_3)
	v_sub_co_ci_u32_e64 v3, null, 0, 0, s1
	s_mov_b32 s1, 0
	v_add_co_u32 v0, vcc_lo, s4, v0
	s_delay_alu instid0(VALU_DEP_4)
	v_add_co_ci_u32_e32 v1, vcc_lo, s5, v1, vcc_lo
	s_mov_b32 s3, exec_lo
	global_load_b128 v[8:11], v[0:1], off
	s_waitcnt vmcnt(0)
	v_sub_co_u32 v0, vcc_lo, v10, s39
	v_subrev_co_ci_u32_e32 v1, vcc_lo, 0, v11, vcc_lo
	v_add_co_u32 v2, vcc_lo, v8, v2
	v_add_co_ci_u32_e32 v3, vcc_lo, v9, v3, vcc_lo
	s_delay_alu instid0(VALU_DEP_1)
	v_cmpx_lt_i64_e64 v[2:3], v[0:1]
	s_cbranch_execz .LBB107_153
; %bb.87:
	s_cmp_eq_u32 s0, 0
	s_mov_b32 s4, s39
	s_cselect_b32 s5, 1, 2
	s_cselect_b32 s12, 2, 1
	s_branch .LBB107_89
.LBB107_88:                             ;   in Loop: Header=BB107_89 Depth=1
	s_or_b32 exec_lo, exec_lo, s13
	v_add_co_u32 v2, vcc_lo, v2, 16
	v_add_co_ci_u32_e32 v3, vcc_lo, 0, v3, vcc_lo
	s_delay_alu instid0(VALU_DEP_1) | instskip(SKIP_1) | instid1(SALU_CYCLE_1)
	v_cmp_ge_i64_e32 vcc_lo, v[2:3], v[0:1]
	s_or_b32 s1, vcc_lo, s1
	s_and_not1_b32 exec_lo, exec_lo, s1
	s_cbranch_execz .LBB107_153
.LBB107_89:                             ; =>This Loop Header: Depth=1
                                        ;     Child Loop BB107_91 Depth 2
                                        ;       Child Loop BB107_97 Depth 3
                                        ;       Child Loop BB107_103 Depth 3
                                        ;     Child Loop BB107_107 Depth 2
                                        ;       Child Loop BB107_113 Depth 3
                                        ;       Child Loop BB107_119 Depth 3
	;; [unrolled: 3-line block ×4, first 2 shown]
	v_lshlrev_b64 v[8:9], 5, v[2:3]
	v_lshlrev_b64 v[10:11], 2, v[2:3]
	v_lshlrev_b64 v[12:13], 3, v[2:3]
	s_mov_b32 s13, 0
	s_delay_alu instid0(VALU_DEP_3) | instskip(NEXT) | instid1(VALU_DEP_4)
	v_add_co_u32 v8, vcc_lo, s8, v8
	v_add_co_ci_u32_e32 v9, vcc_lo, s9, v9, vcc_lo
	s_delay_alu instid0(VALU_DEP_4)
	v_or_b32_e32 v16, 0, v11
	v_or_b32_e32 v15, s12, v10
	;; [unrolled: 1-line block ×3, first 2 shown]
	global_load_b64 v[17:18], v[8:9], off
	v_add_co_u32 v11, vcc_lo, s6, v12
	v_add_co_ci_u32_e32 v12, vcc_lo, s7, v13, vcc_lo
	v_or_b32_e32 v13, s5, v10
	v_lshlrev_b64 v[15:16], 3, v[15:16]
	global_load_b64 v[19:20], v[11:12], off
	v_lshlrev_b64 v[10:11], 3, v[13:14]
	v_add_co_u32 v12, vcc_lo, s8, v15
	v_add_co_ci_u32_e32 v13, vcc_lo, s9, v16, vcc_lo
	s_delay_alu instid0(VALU_DEP_3) | instskip(NEXT) | instid1(VALU_DEP_4)
	v_add_co_u32 v10, vcc_lo, s8, v10
	v_add_co_ci_u32_e32 v11, vcc_lo, s9, v11, vcc_lo
	s_clause 0x2
	global_load_b64 v[13:14], v[12:13], off
	global_load_b64 v[15:16], v[10:11], off
	global_load_b64 v[11:12], v[8:9], off offset:24
	s_waitcnt vmcnt(4)
	v_mul_f64 v[17:18], v[4:5], v[17:18]
	s_waitcnt vmcnt(3)
	v_sub_co_u32 v8, vcc_lo, v19, s4
	v_subrev_co_ci_u32_e32 v9, vcc_lo, 0, v20, vcc_lo
	s_delay_alu instid0(VALU_DEP_2) | instskip(SKIP_1) | instid1(VALU_DEP_1)
	v_and_b32_e32 v10, 7, v8
	s_waitcnt vmcnt(0)
	v_dual_mov_b32 v20, v11 :: v_dual_mov_b32 v19, v10
	s_branch .LBB107_91
.LBB107_90:                             ;   in Loop: Header=BB107_91 Depth=2
	s_or_b32 exec_lo, exec_lo, s14
	s_xor_b32 s14, s15, -1
	s_delay_alu instid0(SALU_CYCLE_1) | instskip(NEXT) | instid1(SALU_CYCLE_1)
	s_and_b32 s14, exec_lo, s14
	s_or_b32 s13, s14, s13
	s_delay_alu instid0(SALU_CYCLE_1)
	s_and_not1_b32 exec_lo, exec_lo, s13
	s_cbranch_execz .LBB107_105
.LBB107_91:                             ;   Parent Loop BB107_89 Depth=1
                                        ; =>  This Loop Header: Depth=2
                                        ;       Child Loop BB107_97 Depth 3
                                        ;       Child Loop BB107_103 Depth 3
	s_delay_alu instid0(VALU_DEP_1)
	v_lshl_add_u32 v22, v19, 3, v38
	s_mov_b32 s14, exec_lo
                                        ; implicit-def: $sgpr15
	ds_load_b64 v[20:21], v22
	s_waitcnt lgkmcnt(0)
	v_cmpx_ne_u64_e64 v[20:21], v[8:9]
	s_xor_b32 s14, exec_lo, s14
	s_cbranch_execz .LBB107_101
; %bb.92:                               ;   in Loop: Header=BB107_91 Depth=2
	s_mov_b32 s16, exec_lo
                                        ; implicit-def: $sgpr15
	v_cmpx_ne_u64_e64 s[18:19], v[20:21]
	s_xor_b32 s16, exec_lo, s16
; %bb.93:                               ;   in Loop: Header=BB107_91 Depth=2
	v_add_nc_u32_e32 v19, 1, v19
	s_mov_b32 s15, -1
                                        ; implicit-def: $vgpr22
	s_delay_alu instid0(VALU_DEP_1)
	v_and_b32_e32 v19, 7, v19
; %bb.94:                               ;   in Loop: Header=BB107_91 Depth=2
	s_and_not1_saveexec_b32 s16, s16
	s_cbranch_execz .LBB107_100
; %bb.95:                               ;   in Loop: Header=BB107_91 Depth=2
	v_dual_mov_b32 v21, s19 :: v_dual_mov_b32 v20, s18
	s_mov_b32 s20, -1
	s_mov_b32 s17, exec_lo
	ds_cmpstore_rtn_b64 v[20:21], v22, v[8:9], v[20:21]
	s_waitcnt lgkmcnt(0)
	v_cmpx_eq_u64_e64 s[18:19], v[20:21]
	s_cbranch_execz .LBB107_99
; %bb.96:                               ;   in Loop: Header=BB107_91 Depth=2
	v_lshlrev_b32_e32 v20, 5, v19
	s_mov_b32 s20, 0
	s_delay_alu instid0(VALU_DEP_1)
	v_add_nc_u32_e32 v22, v40, v20
	ds_load_b64 v[20:21], v22
.LBB107_97:                             ;   Parent Loop BB107_89 Depth=1
                                        ;     Parent Loop BB107_91 Depth=2
                                        ; =>    This Inner Loop Header: Depth=3
	s_waitcnt lgkmcnt(0)
	v_add_f64 v[23:24], v[20:21], v[17:18]
	ds_cmpstore_rtn_b64 v[23:24], v22, v[23:24], v[20:21]
	s_waitcnt lgkmcnt(0)
	v_cmp_eq_u64_e32 vcc_lo, v[23:24], v[20:21]
	v_dual_mov_b32 v20, v23 :: v_dual_mov_b32 v21, v24
	s_or_b32 s20, vcc_lo, s20
	s_delay_alu instid0(SALU_CYCLE_1)
	s_and_not1_b32 exec_lo, exec_lo, s20
	s_cbranch_execnz .LBB107_97
; %bb.98:                               ;   in Loop: Header=BB107_91 Depth=2
	s_or_b32 exec_lo, exec_lo, s20
	s_delay_alu instid0(SALU_CYCLE_1)
	s_xor_b32 s20, exec_lo, -1
.LBB107_99:                             ;   in Loop: Header=BB107_91 Depth=2
	s_or_b32 exec_lo, exec_lo, s17
	s_delay_alu instid0(SALU_CYCLE_1) | instskip(SKIP_1) | instid1(SALU_CYCLE_1)
	s_and_not1_b32 s15, s15, exec_lo
	s_and_b32 s17, s20, exec_lo
	s_or_b32 s15, s15, s17
.LBB107_100:                            ;   in Loop: Header=BB107_91 Depth=2
	s_or_b32 exec_lo, exec_lo, s16
	s_delay_alu instid0(SALU_CYCLE_1)
	s_and_b32 s15, s15, exec_lo
.LBB107_101:                            ;   in Loop: Header=BB107_91 Depth=2
	s_and_not1_saveexec_b32 s14, s14
	s_cbranch_execz .LBB107_90
; %bb.102:                              ;   in Loop: Header=BB107_91 Depth=2
	v_lshlrev_b32_e32 v20, 5, v19
	s_mov_b32 s16, 0
	s_delay_alu instid0(VALU_DEP_1)
	v_add_nc_u32_e32 v22, v40, v20
	ds_load_b64 v[20:21], v22
.LBB107_103:                            ;   Parent Loop BB107_89 Depth=1
                                        ;     Parent Loop BB107_91 Depth=2
                                        ; =>    This Inner Loop Header: Depth=3
	s_waitcnt lgkmcnt(0)
	v_add_f64 v[23:24], v[20:21], v[17:18]
	ds_cmpstore_rtn_b64 v[23:24], v22, v[23:24], v[20:21]
	s_waitcnt lgkmcnt(0)
	v_cmp_eq_u64_e32 vcc_lo, v[23:24], v[20:21]
	v_dual_mov_b32 v20, v23 :: v_dual_mov_b32 v21, v24
	s_or_b32 s16, vcc_lo, s16
	s_delay_alu instid0(SALU_CYCLE_1)
	s_and_not1_b32 exec_lo, exec_lo, s16
	s_cbranch_execnz .LBB107_103
; %bb.104:                              ;   in Loop: Header=BB107_91 Depth=2
	s_or_b32 exec_lo, exec_lo, s16
	s_delay_alu instid0(SALU_CYCLE_1)
	s_and_not1_b32 s15, s15, exec_lo
	s_branch .LBB107_90
.LBB107_105:                            ;   in Loop: Header=BB107_89 Depth=1
	s_or_b32 exec_lo, exec_lo, s13
	v_mul_f64 v[15:16], v[4:5], v[15:16]
	v_dual_mov_b32 v18, v11 :: v_dual_mov_b32 v17, v10
	s_mov_b32 s13, 0
	s_branch .LBB107_107
.LBB107_106:                            ;   in Loop: Header=BB107_107 Depth=2
	s_or_b32 exec_lo, exec_lo, s14
	s_xor_b32 s14, s15, -1
	s_delay_alu instid0(SALU_CYCLE_1) | instskip(NEXT) | instid1(SALU_CYCLE_1)
	s_and_b32 s14, exec_lo, s14
	s_or_b32 s13, s14, s13
	s_delay_alu instid0(SALU_CYCLE_1)
	s_and_not1_b32 exec_lo, exec_lo, s13
	s_cbranch_execz .LBB107_121
.LBB107_107:                            ;   Parent Loop BB107_89 Depth=1
                                        ; =>  This Loop Header: Depth=2
                                        ;       Child Loop BB107_113 Depth 3
                                        ;       Child Loop BB107_119 Depth 3
	s_delay_alu instid0(VALU_DEP_1)
	v_lshl_add_u32 v20, v17, 3, v38
	s_mov_b32 s14, exec_lo
                                        ; implicit-def: $sgpr15
	ds_load_b64 v[18:19], v20
	s_waitcnt lgkmcnt(0)
	v_cmpx_ne_u64_e64 v[18:19], v[8:9]
	s_xor_b32 s14, exec_lo, s14
	s_cbranch_execz .LBB107_117
; %bb.108:                              ;   in Loop: Header=BB107_107 Depth=2
	s_mov_b32 s16, exec_lo
                                        ; implicit-def: $sgpr15
	v_cmpx_ne_u64_e64 s[18:19], v[18:19]
	s_xor_b32 s16, exec_lo, s16
; %bb.109:                              ;   in Loop: Header=BB107_107 Depth=2
	v_add_nc_u32_e32 v17, 1, v17
	s_mov_b32 s15, -1
                                        ; implicit-def: $vgpr20
	s_delay_alu instid0(VALU_DEP_1)
	v_and_b32_e32 v17, 7, v17
; %bb.110:                              ;   in Loop: Header=BB107_107 Depth=2
	s_and_not1_saveexec_b32 s16, s16
	s_cbranch_execz .LBB107_116
; %bb.111:                              ;   in Loop: Header=BB107_107 Depth=2
	v_dual_mov_b32 v18, s18 :: v_dual_mov_b32 v19, s19
	s_mov_b32 s20, -1
	s_mov_b32 s17, exec_lo
	ds_cmpstore_rtn_b64 v[18:19], v20, v[8:9], v[18:19]
	s_waitcnt lgkmcnt(0)
	v_cmpx_eq_u64_e64 s[18:19], v[18:19]
	s_cbranch_execz .LBB107_115
; %bb.112:                              ;   in Loop: Header=BB107_107 Depth=2
	v_lshlrev_b32_e32 v18, 5, v17
	s_mov_b32 s20, 0
	s_delay_alu instid0(VALU_DEP_1)
	v_add_nc_u32_e32 v20, v40, v18
	ds_load_b64 v[18:19], v20 offset:8
.LBB107_113:                            ;   Parent Loop BB107_89 Depth=1
                                        ;     Parent Loop BB107_107 Depth=2
                                        ; =>    This Inner Loop Header: Depth=3
	s_waitcnt lgkmcnt(0)
	v_add_f64 v[21:22], v[18:19], v[15:16]
	ds_cmpstore_rtn_b64 v[21:22], v20, v[21:22], v[18:19] offset:8
	s_waitcnt lgkmcnt(0)
	v_cmp_eq_u64_e32 vcc_lo, v[21:22], v[18:19]
	v_dual_mov_b32 v18, v21 :: v_dual_mov_b32 v19, v22
	s_or_b32 s20, vcc_lo, s20
	s_delay_alu instid0(SALU_CYCLE_1)
	s_and_not1_b32 exec_lo, exec_lo, s20
	s_cbranch_execnz .LBB107_113
; %bb.114:                              ;   in Loop: Header=BB107_107 Depth=2
	s_or_b32 exec_lo, exec_lo, s20
	s_delay_alu instid0(SALU_CYCLE_1)
	s_xor_b32 s20, exec_lo, -1
.LBB107_115:                            ;   in Loop: Header=BB107_107 Depth=2
	s_or_b32 exec_lo, exec_lo, s17
	s_delay_alu instid0(SALU_CYCLE_1) | instskip(SKIP_1) | instid1(SALU_CYCLE_1)
	s_and_not1_b32 s15, s15, exec_lo
	s_and_b32 s17, s20, exec_lo
	s_or_b32 s15, s15, s17
.LBB107_116:                            ;   in Loop: Header=BB107_107 Depth=2
	s_or_b32 exec_lo, exec_lo, s16
	s_delay_alu instid0(SALU_CYCLE_1)
	s_and_b32 s15, s15, exec_lo
.LBB107_117:                            ;   in Loop: Header=BB107_107 Depth=2
	s_and_not1_saveexec_b32 s14, s14
	s_cbranch_execz .LBB107_106
; %bb.118:                              ;   in Loop: Header=BB107_107 Depth=2
	v_lshlrev_b32_e32 v18, 5, v17
	s_mov_b32 s16, 0
	s_delay_alu instid0(VALU_DEP_1)
	v_add_nc_u32_e32 v20, v40, v18
	ds_load_b64 v[18:19], v20 offset:8
.LBB107_119:                            ;   Parent Loop BB107_89 Depth=1
                                        ;     Parent Loop BB107_107 Depth=2
                                        ; =>    This Inner Loop Header: Depth=3
	s_waitcnt lgkmcnt(0)
	v_add_f64 v[21:22], v[18:19], v[15:16]
	ds_cmpstore_rtn_b64 v[21:22], v20, v[21:22], v[18:19] offset:8
	s_waitcnt lgkmcnt(0)
	v_cmp_eq_u64_e32 vcc_lo, v[21:22], v[18:19]
	v_dual_mov_b32 v18, v21 :: v_dual_mov_b32 v19, v22
	s_or_b32 s16, vcc_lo, s16
	s_delay_alu instid0(SALU_CYCLE_1)
	s_and_not1_b32 exec_lo, exec_lo, s16
	s_cbranch_execnz .LBB107_119
; %bb.120:                              ;   in Loop: Header=BB107_107 Depth=2
	s_or_b32 exec_lo, exec_lo, s16
	s_delay_alu instid0(SALU_CYCLE_1)
	s_and_not1_b32 s15, s15, exec_lo
	s_branch .LBB107_106
.LBB107_121:                            ;   in Loop: Header=BB107_89 Depth=1
	s_or_b32 exec_lo, exec_lo, s13
	v_mul_f64 v[13:14], v[4:5], v[13:14]
	v_dual_mov_b32 v16, v11 :: v_dual_mov_b32 v15, v10
	s_mov_b32 s13, 0
	s_branch .LBB107_123
.LBB107_122:                            ;   in Loop: Header=BB107_123 Depth=2
	s_or_b32 exec_lo, exec_lo, s14
	s_xor_b32 s14, s15, -1
	s_delay_alu instid0(SALU_CYCLE_1) | instskip(NEXT) | instid1(SALU_CYCLE_1)
	s_and_b32 s14, exec_lo, s14
	s_or_b32 s13, s14, s13
	s_delay_alu instid0(SALU_CYCLE_1)
	s_and_not1_b32 exec_lo, exec_lo, s13
	s_cbranch_execz .LBB107_137
.LBB107_123:                            ;   Parent Loop BB107_89 Depth=1
                                        ; =>  This Loop Header: Depth=2
                                        ;       Child Loop BB107_129 Depth 3
                                        ;       Child Loop BB107_135 Depth 3
	s_delay_alu instid0(VALU_DEP_1)
	v_lshl_add_u32 v18, v15, 3, v38
	s_mov_b32 s14, exec_lo
                                        ; implicit-def: $sgpr15
	ds_load_b64 v[16:17], v18
	s_waitcnt lgkmcnt(0)
	v_cmpx_ne_u64_e64 v[16:17], v[8:9]
	s_xor_b32 s14, exec_lo, s14
	s_cbranch_execz .LBB107_133
; %bb.124:                              ;   in Loop: Header=BB107_123 Depth=2
	s_mov_b32 s16, exec_lo
                                        ; implicit-def: $sgpr15
	v_cmpx_ne_u64_e64 s[18:19], v[16:17]
	s_xor_b32 s16, exec_lo, s16
; %bb.125:                              ;   in Loop: Header=BB107_123 Depth=2
	v_add_nc_u32_e32 v15, 1, v15
	s_mov_b32 s15, -1
                                        ; implicit-def: $vgpr18
	s_delay_alu instid0(VALU_DEP_1)
	v_and_b32_e32 v15, 7, v15
; %bb.126:                              ;   in Loop: Header=BB107_123 Depth=2
	s_and_not1_saveexec_b32 s16, s16
	s_cbranch_execz .LBB107_132
; %bb.127:                              ;   in Loop: Header=BB107_123 Depth=2
	v_dual_mov_b32 v16, s18 :: v_dual_mov_b32 v17, s19
	s_mov_b32 s20, -1
	s_mov_b32 s17, exec_lo
	ds_cmpstore_rtn_b64 v[16:17], v18, v[8:9], v[16:17]
	s_waitcnt lgkmcnt(0)
	v_cmpx_eq_u64_e64 s[18:19], v[16:17]
	s_cbranch_execz .LBB107_131
; %bb.128:                              ;   in Loop: Header=BB107_123 Depth=2
	v_lshlrev_b32_e32 v16, 5, v15
	s_mov_b32 s20, 0
	s_delay_alu instid0(VALU_DEP_1)
	v_add_nc_u32_e32 v18, v40, v16
	ds_load_b64 v[16:17], v18 offset:16
.LBB107_129:                            ;   Parent Loop BB107_89 Depth=1
                                        ;     Parent Loop BB107_123 Depth=2
                                        ; =>    This Inner Loop Header: Depth=3
	s_waitcnt lgkmcnt(0)
	v_add_f64 v[19:20], v[16:17], v[13:14]
	ds_cmpstore_rtn_b64 v[19:20], v18, v[19:20], v[16:17] offset:16
	s_waitcnt lgkmcnt(0)
	v_cmp_eq_u64_e32 vcc_lo, v[19:20], v[16:17]
	v_dual_mov_b32 v16, v19 :: v_dual_mov_b32 v17, v20
	s_or_b32 s20, vcc_lo, s20
	s_delay_alu instid0(SALU_CYCLE_1)
	s_and_not1_b32 exec_lo, exec_lo, s20
	s_cbranch_execnz .LBB107_129
; %bb.130:                              ;   in Loop: Header=BB107_123 Depth=2
	s_or_b32 exec_lo, exec_lo, s20
	s_delay_alu instid0(SALU_CYCLE_1)
	s_xor_b32 s20, exec_lo, -1
.LBB107_131:                            ;   in Loop: Header=BB107_123 Depth=2
	s_or_b32 exec_lo, exec_lo, s17
	s_delay_alu instid0(SALU_CYCLE_1) | instskip(SKIP_1) | instid1(SALU_CYCLE_1)
	s_and_not1_b32 s15, s15, exec_lo
	s_and_b32 s17, s20, exec_lo
	s_or_b32 s15, s15, s17
.LBB107_132:                            ;   in Loop: Header=BB107_123 Depth=2
	s_or_b32 exec_lo, exec_lo, s16
	s_delay_alu instid0(SALU_CYCLE_1)
	s_and_b32 s15, s15, exec_lo
.LBB107_133:                            ;   in Loop: Header=BB107_123 Depth=2
	s_and_not1_saveexec_b32 s14, s14
	s_cbranch_execz .LBB107_122
; %bb.134:                              ;   in Loop: Header=BB107_123 Depth=2
	v_lshlrev_b32_e32 v16, 5, v15
	s_mov_b32 s16, 0
	s_delay_alu instid0(VALU_DEP_1)
	v_add_nc_u32_e32 v18, v40, v16
	ds_load_b64 v[16:17], v18 offset:16
.LBB107_135:                            ;   Parent Loop BB107_89 Depth=1
                                        ;     Parent Loop BB107_123 Depth=2
                                        ; =>    This Inner Loop Header: Depth=3
	s_waitcnt lgkmcnt(0)
	v_add_f64 v[19:20], v[16:17], v[13:14]
	ds_cmpstore_rtn_b64 v[19:20], v18, v[19:20], v[16:17] offset:16
	s_waitcnt lgkmcnt(0)
	v_cmp_eq_u64_e32 vcc_lo, v[19:20], v[16:17]
	v_dual_mov_b32 v16, v19 :: v_dual_mov_b32 v17, v20
	s_or_b32 s16, vcc_lo, s16
	s_delay_alu instid0(SALU_CYCLE_1)
	s_and_not1_b32 exec_lo, exec_lo, s16
	s_cbranch_execnz .LBB107_135
; %bb.136:                              ;   in Loop: Header=BB107_123 Depth=2
	s_or_b32 exec_lo, exec_lo, s16
	s_delay_alu instid0(SALU_CYCLE_1)
	s_and_not1_b32 s15, s15, exec_lo
	s_branch .LBB107_122
.LBB107_137:                            ;   in Loop: Header=BB107_89 Depth=1
	s_or_b32 exec_lo, exec_lo, s13
	v_mul_f64 v[11:12], v[4:5], v[11:12]
	s_mov_b32 s13, 0
	s_branch .LBB107_139
.LBB107_138:                            ;   in Loop: Header=BB107_139 Depth=2
	s_or_b32 exec_lo, exec_lo, s14
	s_xor_b32 s14, s15, -1
	s_delay_alu instid0(SALU_CYCLE_1) | instskip(NEXT) | instid1(SALU_CYCLE_1)
	s_and_b32 s14, exec_lo, s14
	s_or_b32 s13, s14, s13
	s_delay_alu instid0(SALU_CYCLE_1)
	s_and_not1_b32 exec_lo, exec_lo, s13
	s_cbranch_execz .LBB107_88
.LBB107_139:                            ;   Parent Loop BB107_89 Depth=1
                                        ; =>  This Loop Header: Depth=2
                                        ;       Child Loop BB107_145 Depth 3
                                        ;       Child Loop BB107_151 Depth 3
	v_lshl_add_u32 v15, v10, 3, v38
	s_mov_b32 s14, exec_lo
                                        ; implicit-def: $sgpr15
	ds_load_b64 v[13:14], v15
	s_waitcnt lgkmcnt(0)
	v_cmpx_ne_u64_e64 v[13:14], v[8:9]
	s_xor_b32 s14, exec_lo, s14
	s_cbranch_execz .LBB107_149
; %bb.140:                              ;   in Loop: Header=BB107_139 Depth=2
	s_mov_b32 s16, exec_lo
                                        ; implicit-def: $sgpr15
	v_cmpx_ne_u64_e64 s[18:19], v[13:14]
	s_xor_b32 s16, exec_lo, s16
; %bb.141:                              ;   in Loop: Header=BB107_139 Depth=2
	v_add_nc_u32_e32 v10, 1, v10
	s_mov_b32 s15, -1
                                        ; implicit-def: $vgpr15
	s_delay_alu instid0(VALU_DEP_1)
	v_and_b32_e32 v10, 7, v10
; %bb.142:                              ;   in Loop: Header=BB107_139 Depth=2
	s_and_not1_saveexec_b32 s16, s16
	s_cbranch_execz .LBB107_148
; %bb.143:                              ;   in Loop: Header=BB107_139 Depth=2
	v_dual_mov_b32 v13, s18 :: v_dual_mov_b32 v14, s19
	s_mov_b32 s20, -1
	s_mov_b32 s17, exec_lo
	ds_cmpstore_rtn_b64 v[13:14], v15, v[8:9], v[13:14]
	s_waitcnt lgkmcnt(0)
	v_cmpx_eq_u64_e64 s[18:19], v[13:14]
	s_cbranch_execz .LBB107_147
; %bb.144:                              ;   in Loop: Header=BB107_139 Depth=2
	v_lshlrev_b32_e32 v13, 5, v10
	s_mov_b32 s20, 0
	s_delay_alu instid0(VALU_DEP_1)
	v_add_nc_u32_e32 v15, v40, v13
	ds_load_b64 v[13:14], v15 offset:24
.LBB107_145:                            ;   Parent Loop BB107_89 Depth=1
                                        ;     Parent Loop BB107_139 Depth=2
                                        ; =>    This Inner Loop Header: Depth=3
	s_waitcnt lgkmcnt(0)
	v_add_f64 v[16:17], v[13:14], v[11:12]
	ds_cmpstore_rtn_b64 v[16:17], v15, v[16:17], v[13:14] offset:24
	s_waitcnt lgkmcnt(0)
	v_cmp_eq_u64_e32 vcc_lo, v[16:17], v[13:14]
	v_dual_mov_b32 v13, v16 :: v_dual_mov_b32 v14, v17
	s_or_b32 s20, vcc_lo, s20
	s_delay_alu instid0(SALU_CYCLE_1)
	s_and_not1_b32 exec_lo, exec_lo, s20
	s_cbranch_execnz .LBB107_145
; %bb.146:                              ;   in Loop: Header=BB107_139 Depth=2
	s_or_b32 exec_lo, exec_lo, s20
	s_delay_alu instid0(SALU_CYCLE_1)
	s_xor_b32 s20, exec_lo, -1
.LBB107_147:                            ;   in Loop: Header=BB107_139 Depth=2
	s_or_b32 exec_lo, exec_lo, s17
	s_delay_alu instid0(SALU_CYCLE_1) | instskip(SKIP_1) | instid1(SALU_CYCLE_1)
	s_and_not1_b32 s15, s15, exec_lo
	s_and_b32 s17, s20, exec_lo
	s_or_b32 s15, s15, s17
.LBB107_148:                            ;   in Loop: Header=BB107_139 Depth=2
	s_or_b32 exec_lo, exec_lo, s16
	s_delay_alu instid0(SALU_CYCLE_1)
	s_and_b32 s15, s15, exec_lo
.LBB107_149:                            ;   in Loop: Header=BB107_139 Depth=2
	s_and_not1_saveexec_b32 s14, s14
	s_cbranch_execz .LBB107_138
; %bb.150:                              ;   in Loop: Header=BB107_139 Depth=2
	v_lshlrev_b32_e32 v13, 5, v10
	s_mov_b32 s16, 0
	s_delay_alu instid0(VALU_DEP_1)
	v_add_nc_u32_e32 v15, v40, v13
	ds_load_b64 v[13:14], v15 offset:24
.LBB107_151:                            ;   Parent Loop BB107_89 Depth=1
                                        ;     Parent Loop BB107_139 Depth=2
                                        ; =>    This Inner Loop Header: Depth=3
	s_waitcnt lgkmcnt(0)
	v_add_f64 v[16:17], v[13:14], v[11:12]
	ds_cmpstore_rtn_b64 v[16:17], v15, v[16:17], v[13:14] offset:24
	s_waitcnt lgkmcnt(0)
	v_cmp_eq_u64_e32 vcc_lo, v[16:17], v[13:14]
	v_dual_mov_b32 v13, v16 :: v_dual_mov_b32 v14, v17
	s_or_b32 s16, vcc_lo, s16
	s_delay_alu instid0(SALU_CYCLE_1)
	s_and_not1_b32 exec_lo, exec_lo, s16
	s_cbranch_execnz .LBB107_151
; %bb.152:                              ;   in Loop: Header=BB107_139 Depth=2
	s_or_b32 exec_lo, exec_lo, s16
	s_delay_alu instid0(SALU_CYCLE_1)
	s_and_not1_b32 s15, s15, exec_lo
	s_branch .LBB107_138
.LBB107_153:
	s_or_b32 exec_lo, exec_lo, s3
	buffer_gl0_inv
	s_and_b32 exec_lo, exec_lo, s2
	s_cbranch_execz .LBB107_14
.LBB107_154:
	v_lshl_add_u32 v0, v39, 3, v38
	ds_load_b64 v[0:1], v0
	s_waitcnt lgkmcnt(0)
	v_cmp_gt_i64_e32 vcc_lo, s[18:19], v[0:1]
	s_and_b32 exec_lo, exec_lo, vcc_lo
	s_cbranch_execz .LBB107_14
; %bb.155:
	v_lshlrev_b64 v[2:3], 3, v[6:7]
	v_lshl_add_u32 v18, v39, 5, v40
	s_cmp_eq_u32 s0, 0
	ds_load_b128 v[6:9], v38 offset:16
	s_cselect_b32 s0, 1, 2
	v_add_co_u32 v2, vcc_lo, s10, v2
	v_add_co_ci_u32_e32 v3, vcc_lo, s11, v3, vcc_lo
	global_load_b64 v[22:23], v[2:3], off
	ds_load_b128 v[2:5], v38
	ds_load_b128 v[10:13], v38 offset:32
	ds_load_b128 v[14:17], v38 offset:48
	ds_load_2addr_b64 v[18:21], v18 offset1:3
	v_lshlrev_b32_e32 v24, 2, v39
	s_waitcnt lgkmcnt(3)
	v_cmp_gt_i64_e32 vcc_lo, v[0:1], v[2:3]
	v_cndmask_b32_e64 v2, 0, 1, vcc_lo
	s_waitcnt vmcnt(0)
	v_sub_co_u32 v3, vcc_lo, v22, s38
	v_subrev_co_ci_u32_e32 v22, vcc_lo, 0, v23, vcc_lo
	v_cmp_gt_i64_e32 vcc_lo, v[0:1], v[4:5]
	v_cndmask_b32_e64 v4, 0, 1, vcc_lo
	s_delay_alu instid0(VALU_DEP_4) | instskip(NEXT) | instid1(VALU_DEP_4)
	v_add_co_u32 v2, vcc_lo, v3, v2
	v_add_co_ci_u32_e32 v3, vcc_lo, 0, v22, vcc_lo
	v_cmp_gt_i64_e32 vcc_lo, v[0:1], v[6:7]
	v_cndmask_b32_e64 v5, 0, 1, vcc_lo
	s_delay_alu instid0(VALU_DEP_4) | instskip(NEXT) | instid1(VALU_DEP_4)
	v_add_co_u32 v2, vcc_lo, v2, v4
	v_add_co_ci_u32_e32 v3, vcc_lo, 0, v3, vcc_lo
	;; [unrolled: 5-line block ×3, first 2 shown]
	s_waitcnt lgkmcnt(2)
	v_cmp_gt_i64_e32 vcc_lo, v[0:1], v[10:11]
	v_cndmask_b32_e64 v5, 0, 1, vcc_lo
	v_add_co_u32 v2, vcc_lo, v2, v4
	v_add_co_ci_u32_e32 v3, vcc_lo, 0, v3, vcc_lo
	v_cmp_gt_i64_e32 vcc_lo, v[0:1], v[12:13]
	v_cndmask_b32_e64 v4, 0, 1, vcc_lo
	s_delay_alu instid0(VALU_DEP_4) | instskip(NEXT) | instid1(VALU_DEP_4)
	v_add_co_u32 v2, vcc_lo, v2, v5
	v_add_co_ci_u32_e32 v3, vcc_lo, 0, v3, vcc_lo
	s_waitcnt lgkmcnt(1)
	v_cmp_gt_i64_e32 vcc_lo, v[0:1], v[14:15]
	v_cndmask_b32_e64 v5, 0, 1, vcc_lo
	v_add_co_u32 v2, vcc_lo, v2, v4
	v_add_co_ci_u32_e32 v3, vcc_lo, 0, v3, vcc_lo
	v_cmp_gt_i64_e32 vcc_lo, v[0:1], v[16:17]
	v_cndmask_b32_e64 v4, 0, 1, vcc_lo
	s_delay_alu instid0(VALU_DEP_4) | instskip(NEXT) | instid1(VALU_DEP_4)
	v_add_co_u32 v2, vcc_lo, v2, v5
	v_add_co_ci_u32_e32 v3, vcc_lo, 0, v3, vcc_lo
	s_delay_alu instid0(VALU_DEP_2) | instskip(NEXT) | instid1(VALU_DEP_2)
	v_add_co_u32 v6, vcc_lo, v2, v4
	v_add_co_ci_u32_e32 v7, vcc_lo, 0, v3, vcc_lo
	s_waitcnt lgkmcnt(0)
	v_mov_b32_e32 v3, v19
	v_or_b32_e32 v25, s0, v24
	s_cselect_b32 s0, 2, 1
	v_mov_b32_e32 v2, v18
	v_or_b32_e32 v24, s0, v24
	v_add_co_u32 v0, vcc_lo, v0, s38
	v_lshl_add_u32 v25, v25, 3, v40
	v_add_co_ci_u32_e32 v1, vcc_lo, 0, v1, vcc_lo
	s_delay_alu instid0(VALU_DEP_4) | instskip(SKIP_4) | instid1(VALU_DEP_2)
	v_lshl_add_u32 v8, v24, 3, v40
	ds_load_b64 v[4:5], v25
	ds_load_b64 v[18:19], v8
	v_lshlrev_b64 v[8:9], 3, v[6:7]
	v_lshlrev_b64 v[6:7], 5, v[6:7]
	v_add_co_u32 v8, vcc_lo, s40, v8
	s_delay_alu instid0(VALU_DEP_3) | instskip(NEXT) | instid1(VALU_DEP_3)
	v_add_co_ci_u32_e32 v9, vcc_lo, s41, v9, vcc_lo
	v_add_co_u32 v6, vcc_lo, s42, v6
	s_delay_alu instid0(VALU_DEP_4)
	v_add_co_ci_u32_e32 v7, vcc_lo, s43, v7, vcc_lo
	global_store_b64 v[8:9], v[0:1], off
	s_waitcnt lgkmcnt(1)
	global_store_b128 v[6:7], v[2:5], off
	s_waitcnt lgkmcnt(0)
	global_store_b128 v[6:7], v[18:21], off offset:16
	s_nop 0
	s_sendmsg sendmsg(MSG_DEALLOC_VGPRS)
	s_endpgm
	.section	.rodata,"a",@progbits
	.p2align	6, 0x0
	.amdhsa_kernel _ZN9rocsparseL27bsrgemm_fill_wf_per_row_2x2ILj256ELj16ELj8ELj137ElldEEv20rocsparse_direction_T4_S2_PKS2_S4_NS_24const_host_device_scalarIT5_EEPKT3_S4_PKS6_SA_S4_SC_S7_SA_S4_SC_SA_PS2_PS6_21rocsparse_index_base_SF_SF_SF_bbb
		.amdhsa_group_segment_fixed_size 5120
		.amdhsa_private_segment_fixed_size 0
		.amdhsa_kernarg_size 172
		.amdhsa_user_sgpr_count 15
		.amdhsa_user_sgpr_dispatch_ptr 0
		.amdhsa_user_sgpr_queue_ptr 0
		.amdhsa_user_sgpr_kernarg_segment_ptr 1
		.amdhsa_user_sgpr_dispatch_id 0
		.amdhsa_user_sgpr_private_segment_size 0
		.amdhsa_wavefront_size32 1
		.amdhsa_uses_dynamic_stack 0
		.amdhsa_enable_private_segment 0
		.amdhsa_system_sgpr_workgroup_id_x 1
		.amdhsa_system_sgpr_workgroup_id_y 0
		.amdhsa_system_sgpr_workgroup_id_z 0
		.amdhsa_system_sgpr_workgroup_info 0
		.amdhsa_system_vgpr_workitem_id 0
		.amdhsa_next_free_vgpr 44
		.amdhsa_next_free_sgpr 48
		.amdhsa_reserve_vcc 1
		.amdhsa_float_round_mode_32 0
		.amdhsa_float_round_mode_16_64 0
		.amdhsa_float_denorm_mode_32 3
		.amdhsa_float_denorm_mode_16_64 3
		.amdhsa_dx10_clamp 1
		.amdhsa_ieee_mode 1
		.amdhsa_fp16_overflow 0
		.amdhsa_workgroup_processor_mode 1
		.amdhsa_memory_ordered 1
		.amdhsa_forward_progress 0
		.amdhsa_shared_vgpr_count 0
		.amdhsa_exception_fp_ieee_invalid_op 0
		.amdhsa_exception_fp_denorm_src 0
		.amdhsa_exception_fp_ieee_div_zero 0
		.amdhsa_exception_fp_ieee_overflow 0
		.amdhsa_exception_fp_ieee_underflow 0
		.amdhsa_exception_fp_ieee_inexact 0
		.amdhsa_exception_int_div_zero 0
	.end_amdhsa_kernel
	.section	.text._ZN9rocsparseL27bsrgemm_fill_wf_per_row_2x2ILj256ELj16ELj8ELj137ElldEEv20rocsparse_direction_T4_S2_PKS2_S4_NS_24const_host_device_scalarIT5_EEPKT3_S4_PKS6_SA_S4_SC_S7_SA_S4_SC_SA_PS2_PS6_21rocsparse_index_base_SF_SF_SF_bbb,"axG",@progbits,_ZN9rocsparseL27bsrgemm_fill_wf_per_row_2x2ILj256ELj16ELj8ELj137ElldEEv20rocsparse_direction_T4_S2_PKS2_S4_NS_24const_host_device_scalarIT5_EEPKT3_S4_PKS6_SA_S4_SC_S7_SA_S4_SC_SA_PS2_PS6_21rocsparse_index_base_SF_SF_SF_bbb,comdat
.Lfunc_end107:
	.size	_ZN9rocsparseL27bsrgemm_fill_wf_per_row_2x2ILj256ELj16ELj8ELj137ElldEEv20rocsparse_direction_T4_S2_PKS2_S4_NS_24const_host_device_scalarIT5_EEPKT3_S4_PKS6_SA_S4_SC_S7_SA_S4_SC_SA_PS2_PS6_21rocsparse_index_base_SF_SF_SF_bbb, .Lfunc_end107-_ZN9rocsparseL27bsrgemm_fill_wf_per_row_2x2ILj256ELj16ELj8ELj137ElldEEv20rocsparse_direction_T4_S2_PKS2_S4_NS_24const_host_device_scalarIT5_EEPKT3_S4_PKS6_SA_S4_SC_S7_SA_S4_SC_SA_PS2_PS6_21rocsparse_index_base_SF_SF_SF_bbb
                                        ; -- End function
	.section	.AMDGPU.csdata,"",@progbits
; Kernel info:
; codeLenInByte = 5472
; NumSgprs: 50
; NumVgprs: 44
; ScratchSize: 0
; MemoryBound: 0
; FloatMode: 240
; IeeeMode: 1
; LDSByteSize: 5120 bytes/workgroup (compile time only)
; SGPRBlocks: 6
; VGPRBlocks: 5
; NumSGPRsForWavesPerEU: 50
; NumVGPRsForWavesPerEU: 44
; Occupancy: 16
; WaveLimiterHint : 1
; COMPUTE_PGM_RSRC2:SCRATCH_EN: 0
; COMPUTE_PGM_RSRC2:USER_SGPR: 15
; COMPUTE_PGM_RSRC2:TRAP_HANDLER: 0
; COMPUTE_PGM_RSRC2:TGID_X_EN: 1
; COMPUTE_PGM_RSRC2:TGID_Y_EN: 0
; COMPUTE_PGM_RSRC2:TGID_Z_EN: 0
; COMPUTE_PGM_RSRC2:TIDIG_COMP_CNT: 0
	.section	.text._ZN9rocsparseL27bsrgemm_fill_wf_per_row_2x2ILj256ELj16ELj16ELj137ElldEEv20rocsparse_direction_T4_S2_PKS2_S4_NS_24const_host_device_scalarIT5_EEPKT3_S4_PKS6_SA_S4_SC_S7_SA_S4_SC_SA_PS2_PS6_21rocsparse_index_base_SF_SF_SF_bbb,"axG",@progbits,_ZN9rocsparseL27bsrgemm_fill_wf_per_row_2x2ILj256ELj16ELj16ELj137ElldEEv20rocsparse_direction_T4_S2_PKS2_S4_NS_24const_host_device_scalarIT5_EEPKT3_S4_PKS6_SA_S4_SC_S7_SA_S4_SC_SA_PS2_PS6_21rocsparse_index_base_SF_SF_SF_bbb,comdat
	.globl	_ZN9rocsparseL27bsrgemm_fill_wf_per_row_2x2ILj256ELj16ELj16ELj137ElldEEv20rocsparse_direction_T4_S2_PKS2_S4_NS_24const_host_device_scalarIT5_EEPKT3_S4_PKS6_SA_S4_SC_S7_SA_S4_SC_SA_PS2_PS6_21rocsparse_index_base_SF_SF_SF_bbb ; -- Begin function _ZN9rocsparseL27bsrgemm_fill_wf_per_row_2x2ILj256ELj16ELj16ELj137ElldEEv20rocsparse_direction_T4_S2_PKS2_S4_NS_24const_host_device_scalarIT5_EEPKT3_S4_PKS6_SA_S4_SC_S7_SA_S4_SC_SA_PS2_PS6_21rocsparse_index_base_SF_SF_SF_bbb
	.p2align	8
	.type	_ZN9rocsparseL27bsrgemm_fill_wf_per_row_2x2ILj256ELj16ELj16ELj137ElldEEv20rocsparse_direction_T4_S2_PKS2_S4_NS_24const_host_device_scalarIT5_EEPKT3_S4_PKS6_SA_S4_SC_S7_SA_S4_SC_SA_PS2_PS6_21rocsparse_index_base_SF_SF_SF_bbb,@function
_ZN9rocsparseL27bsrgemm_fill_wf_per_row_2x2ILj256ELj16ELj16ELj137ElldEEv20rocsparse_direction_T4_S2_PKS2_S4_NS_24const_host_device_scalarIT5_EEPKT3_S4_PKS6_SA_S4_SC_S7_SA_S4_SC_SA_PS2_PS6_21rocsparse_index_base_SF_SF_SF_bbb: ; @_ZN9rocsparseL27bsrgemm_fill_wf_per_row_2x2ILj256ELj16ELj16ELj137ElldEEv20rocsparse_direction_T4_S2_PKS2_S4_NS_24const_host_device_scalarIT5_EEPKT3_S4_PKS6_SA_S4_SC_S7_SA_S4_SC_SA_PS2_PS6_21rocsparse_index_base_SF_SF_SF_bbb
; %bb.0:
	s_clause 0x3
	s_load_b32 s12, s[0:1], 0xa8
	s_load_b64 s[4:5], s[0:1], 0x28
	s_load_b128 s[24:27], s[0:1], 0x98
	s_load_b64 s[2:3], s[0:1], 0x60
	s_waitcnt lgkmcnt(0)
	s_and_b32 s6, 1, s12
	s_bitcmp1_b32 s12, 16
	s_cselect_b32 s14, -1, 0
	s_cmp_eq_u32 s6, 1
	s_cselect_b32 s13, -1, 0
	s_delay_alu instid0(SALU_CYCLE_1)
	s_and_b32 s6, s13, exec_lo
	s_cselect_b32 s7, s5, 0
	s_cselect_b32 s6, s4, 0
	s_xor_b32 s8, s13, -1
	v_dual_mov_b32 v9, s7 :: v_dual_mov_b32 v8, s6
	s_or_b32 s8, s8, s14
	s_delay_alu instid0(SALU_CYCLE_1)
	s_and_b32 vcc_lo, exec_lo, s8
	s_cbranch_vccnz .LBB108_2
; %bb.1:
	v_dual_mov_b32 v1, s4 :: v_dual_mov_b32 v2, s5
	flat_load_b64 v[8:9], v[1:2]
.LBB108_2:
	s_clause 0x4
	s_load_b128 s[28:31], s[0:1], 0x88
	s_load_b256 s[4:11], s[0:1], 0x68
	s_load_b128 s[40:43], s[0:1], 0x50
	s_load_b128 s[44:47], s[0:1], 0x18
	s_load_b256 s[16:23], s[0:1], 0x30
	s_bitcmp1_b32 s12, 8
	s_cselect_b32 s12, -1, 0
	s_delay_alu instid0(SALU_CYCLE_1)
	s_and_b32 s33, s12, exec_lo
	s_cselect_b32 s35, s3, 0
	s_cselect_b32 s34, s2, 0
	s_xor_b32 s33, s12, -1
	v_dual_mov_b32 v4, s34 :: v_dual_mov_b32 v5, s35
	s_or_b32 s14, s33, s14
	s_delay_alu instid0(SALU_CYCLE_1)
	s_and_b32 vcc_lo, exec_lo, s14
	s_cbranch_vccnz .LBB108_4
; %bb.3:
	v_dual_mov_b32 v1, s2 :: v_dual_mov_b32 v2, s3
	flat_load_b64 v[4:5], v[1:2]
.LBB108_4:
	s_load_b128 s[36:39], s[0:1], 0x8
	v_and_b32_e32 v1, 0xf0, v0
	v_and_b32_e32 v39, 15, v0
	v_lshrrev_b32_e32 v2, 4, v0
	v_mov_b32_e32 v0, 0
	s_mov_b32 s2, 0
	v_lshl_or_b32 v38, v1, 3, 0x2000
	s_waitcnt lgkmcnt(0)
	v_dual_mov_b32 v10, s38 :: v_dual_lshlrev_b32 v1, 3, v39
	v_or_b32_e32 v3, -16, v39
	v_mov_b32_e32 v11, s39
	s_delay_alu instid0(VALU_DEP_3)
	v_or_b32_e32 v41, v38, v1
	v_lshl_or_b32 v6, v2, 9, v1
	v_mov_b32_e32 v1, v0
	ds_store_b64 v41, v[10:11]
.LBB108_5:                              ; =>This Inner Loop Header: Depth=1
	v_add_nc_u32_e32 v3, 16, v3
	ds_store_b64 v6, v[0:1]
	v_add_nc_u32_e32 v6, 0x80, v6
	v_cmp_lt_u32_e32 vcc_lo, 47, v3
	s_or_b32 s2, vcc_lo, s2
	s_delay_alu instid0(SALU_CYCLE_1)
	s_and_not1_b32 exec_lo, exec_lo, s2
	s_cbranch_execnz .LBB108_5
; %bb.6:
	s_or_b32 exec_lo, exec_lo, s2
	v_lshl_or_b32 v0, s15, 4, v2
	v_mov_b32_e32 v1, 0
	s_waitcnt vmcnt(0) lgkmcnt(0)
	s_barrier
	buffer_gl0_inv
	s_mov_b32 s2, exec_lo
	v_cmpx_gt_i64_e64 s[36:37], v[0:1]
	s_cbranch_execz .LBB108_152
; %bb.7:
	s_cmp_eq_u64 s[46:47], 0
	s_cbranch_scc1 .LBB108_9
; %bb.8:
	s_load_b64 s[2:3], s[44:45], 0x0
	v_lshlrev_b64 v[0:1], 3, v[0:1]
	s_waitcnt lgkmcnt(0)
	s_lshl_b64 s[2:3], s[2:3], 3
	s_delay_alu instid0(SALU_CYCLE_1) | instskip(SKIP_1) | instid1(VALU_DEP_1)
	s_add_u32 s2, s46, s2
	s_addc_u32 s3, s47, s3
	v_add_co_u32 v0, vcc_lo, s2, v0
	v_add_co_ci_u32_e32 v1, vcc_lo, s3, v1, vcc_lo
	global_load_b64 v[0:1], v[0:1], off
.LBB108_9:
	s_load_b32 s0, s[0:1], 0x0
	s_waitcnt vmcnt(0)
	v_lshlrev_b64 v[6:7], 3, v[0:1]
	v_lshlrev_b32_e32 v40, 9, v2
	s_and_not1_b32 vcc_lo, exec_lo, s13
	s_cbranch_vccnz .LBB108_81
; %bb.10:
	s_delay_alu instid0(VALU_DEP_2) | instskip(NEXT) | instid1(VALU_DEP_3)
	v_add_co_u32 v0, vcc_lo, s16, v6
	v_add_co_ci_u32_e32 v1, vcc_lo, s17, v7, vcc_lo
	v_sub_co_u32 v12, s1, v39, s24
	s_delay_alu instid0(VALU_DEP_1)
	v_sub_co_ci_u32_e64 v13, null, 0, 0, s1
	global_load_b128 v[0:3], v[0:1], off
	s_mov_b32 s2, 0
	s_mov_b32 s1, exec_lo
	s_waitcnt vmcnt(0)
	v_sub_co_u32 v10, vcc_lo, v2, s24
	v_subrev_co_ci_u32_e32 v11, vcc_lo, 0, v3, vcc_lo
	v_add_co_u32 v12, vcc_lo, v0, v12
	v_add_co_ci_u32_e32 v13, vcc_lo, v1, v13, vcc_lo
	s_delay_alu instid0(VALU_DEP_1)
	v_cmpx_lt_i64_e64 v[12:13], v[10:11]
	s_cbranch_execz .LBB108_80
; %bb.11:
	s_waitcnt lgkmcnt(0)
	s_cmp_eq_u32 s0, 0
	s_mov_b32 s3, s25
	s_cselect_b32 s13, 1, 2
	s_cselect_b32 s14, 2, 1
	s_branch .LBB108_13
.LBB108_12:                             ;   in Loop: Header=BB108_13 Depth=1
	s_or_b32 exec_lo, exec_lo, s15
	v_add_co_u32 v12, vcc_lo, v12, 16
	v_add_co_ci_u32_e32 v13, vcc_lo, 0, v13, vcc_lo
	s_delay_alu instid0(VALU_DEP_1) | instskip(SKIP_1) | instid1(SALU_CYCLE_1)
	v_cmp_ge_i64_e32 vcc_lo, v[12:13], v[10:11]
	s_or_b32 s2, vcc_lo, s2
	s_and_not1_b32 exec_lo, exec_lo, s2
	s_cbranch_execz .LBB108_80
.LBB108_13:                             ; =>This Loop Header: Depth=1
                                        ;     Child Loop BB108_16 Depth 2
                                        ;       Child Loop BB108_18 Depth 3
                                        ;         Child Loop BB108_24 Depth 4
                                        ;         Child Loop BB108_30 Depth 4
                                        ;       Child Loop BB108_34 Depth 3
                                        ;         Child Loop BB108_40 Depth 4
                                        ;         Child Loop BB108_46 Depth 4
	;; [unrolled: 3-line block ×4, first 2 shown]
	v_lshlrev_b64 v[0:1], 3, v[12:13]
	s_mov_b32 s15, exec_lo
	s_delay_alu instid0(VALU_DEP_1) | instskip(NEXT) | instid1(VALU_DEP_2)
	v_add_co_u32 v0, vcc_lo, s18, v0
	v_add_co_ci_u32_e32 v1, vcc_lo, s19, v1, vcc_lo
	global_load_b64 v[0:1], v[0:1], off
	s_waitcnt vmcnt(0)
	v_sub_co_u32 v0, vcc_lo, v0, s24
	v_subrev_co_ci_u32_e32 v1, vcc_lo, 0, v1, vcc_lo
	s_delay_alu instid0(VALU_DEP_1) | instskip(NEXT) | instid1(VALU_DEP_1)
	v_lshlrev_b64 v[0:1], 3, v[0:1]
	v_add_co_u32 v0, vcc_lo, s22, v0
	s_delay_alu instid0(VALU_DEP_2)
	v_add_co_ci_u32_e32 v1, vcc_lo, s23, v1, vcc_lo
	global_load_b128 v[0:3], v[0:1], off
	s_waitcnt vmcnt(0)
	v_cmpx_lt_i64_e64 v[0:1], v[2:3]
	s_cbranch_execz .LBB108_12
; %bb.14:                               ;   in Loop: Header=BB108_13 Depth=1
	v_lshlrev_b64 v[14:15], 2, v[12:13]
	v_lshlrev_b64 v[18:19], 5, v[12:13]
	s_mov_b32 s16, 0
	s_delay_alu instid0(VALU_DEP_2) | instskip(NEXT) | instid1(VALU_DEP_3)
	v_or_b32_e32 v17, 0, v15
	v_or_b32_e32 v16, s14, v14
	;; [unrolled: 1-line block ×4, first 2 shown]
	v_add_co_u32 v18, vcc_lo, s20, v18
	s_delay_alu instid0(VALU_DEP_4) | instskip(SKIP_1) | instid1(VALU_DEP_4)
	v_lshlrev_b64 v[16:17], 3, v[16:17]
	v_add_co_ci_u32_e32 v19, vcc_lo, s21, v19, vcc_lo
	v_lshlrev_b64 v[14:15], 3, v[14:15]
	s_delay_alu instid0(VALU_DEP_3) | instskip(NEXT) | instid1(VALU_DEP_4)
	v_add_co_u32 v16, vcc_lo, s20, v16
	v_add_co_ci_u32_e32 v17, vcc_lo, s21, v17, vcc_lo
	s_delay_alu instid0(VALU_DEP_3) | instskip(NEXT) | instid1(VALU_DEP_4)
	v_add_co_u32 v14, vcc_lo, s20, v14
	v_add_co_ci_u32_e32 v15, vcc_lo, s21, v15, vcc_lo
	s_clause 0x3
	global_load_b64 v[20:21], v[18:19], off offset:24
	global_load_b64 v[16:17], v[16:17], off
	global_load_b64 v[22:23], v[14:15], off
	;; [unrolled: 1-line block ×3, first 2 shown]
	v_sub_co_u32 v2, vcc_lo, v2, s3
	v_subrev_co_ci_u32_e32 v3, vcc_lo, 0, v3, vcc_lo
	v_sub_co_u32 v0, vcc_lo, v0, s3
	v_subrev_co_ci_u32_e32 v1, vcc_lo, 0, v1, vcc_lo
	s_waitcnt vmcnt(3)
	v_mul_f64 v[14:15], v[8:9], v[20:21]
	s_waitcnt vmcnt(2)
	v_mul_f64 v[16:17], v[8:9], v[16:17]
	;; [unrolled: 2-line block ×4, first 2 shown]
	s_branch .LBB108_16
.LBB108_15:                             ;   in Loop: Header=BB108_16 Depth=2
	s_or_b32 exec_lo, exec_lo, s17
	v_add_co_u32 v0, vcc_lo, v0, 1
	v_add_co_ci_u32_e32 v1, vcc_lo, 0, v1, vcc_lo
	s_delay_alu instid0(VALU_DEP_1) | instskip(SKIP_1) | instid1(SALU_CYCLE_1)
	v_cmp_ge_i64_e32 vcc_lo, v[0:1], v[2:3]
	s_or_b32 s16, vcc_lo, s16
	s_and_not1_b32 exec_lo, exec_lo, s16
	s_cbranch_execz .LBB108_12
.LBB108_16:                             ;   Parent Loop BB108_13 Depth=1
                                        ; =>  This Loop Header: Depth=2
                                        ;       Child Loop BB108_18 Depth 3
                                        ;         Child Loop BB108_24 Depth 4
                                        ;         Child Loop BB108_30 Depth 4
                                        ;       Child Loop BB108_34 Depth 3
                                        ;         Child Loop BB108_40 Depth 4
                                        ;         Child Loop BB108_46 Depth 4
	;; [unrolled: 3-line block ×4, first 2 shown]
	v_lshlrev_b64 v[22:23], 2, v[0:1]
	s_mov_b32 s17, 0
	s_delay_alu instid0(VALU_DEP_1) | instskip(NEXT) | instid1(VALU_DEP_2)
	v_or_b32_e32 v25, 0, v23
	v_or_b32_e32 v24, s14, v22
	;; [unrolled: 1-line block ×4, first 2 shown]
	s_delay_alu instid0(VALU_DEP_3) | instskip(NEXT) | instid1(VALU_DEP_2)
	v_lshlrev_b64 v[24:25], 3, v[24:25]
	v_lshlrev_b64 v[22:23], 3, v[22:23]
	s_delay_alu instid0(VALU_DEP_2) | instskip(NEXT) | instid1(VALU_DEP_3)
	v_add_co_u32 v24, vcc_lo, s42, v24
	v_add_co_ci_u32_e32 v25, vcc_lo, s43, v25, vcc_lo
	global_load_b64 v[29:30], v[24:25], off
	v_lshlrev_b64 v[24:25], 5, v[0:1]
	s_delay_alu instid0(VALU_DEP_1) | instskip(NEXT) | instid1(VALU_DEP_2)
	v_add_co_u32 v27, vcc_lo, s42, v24
	v_add_co_ci_u32_e32 v28, vcc_lo, s43, v25, vcc_lo
	v_lshlrev_b64 v[24:25], 3, v[0:1]
	global_load_b64 v[31:32], v[27:28], off
	v_add_co_u32 v24, vcc_lo, s40, v24
	v_add_co_ci_u32_e32 v25, vcc_lo, s41, v25, vcc_lo
	v_add_co_u32 v22, vcc_lo, s42, v22
	v_add_co_ci_u32_e32 v23, vcc_lo, s43, v23, vcc_lo
	global_load_b64 v[35:36], v[24:25], off
	s_clause 0x1
	global_load_b64 v[25:26], v[22:23], off
	global_load_b64 v[27:28], v[27:28], off offset:24
	s_waitcnt vmcnt(4)
	v_mul_f64 v[22:23], v[20:21], v[29:30]
	s_waitcnt vmcnt(3)
	s_delay_alu instid0(VALU_DEP_1) | instskip(SKIP_3) | instid1(VALU_DEP_2)
	v_fma_f64 v[33:34], v[18:19], v[31:32], v[22:23]
	s_waitcnt vmcnt(2)
	v_sub_co_u32 v22, vcc_lo, v35, s3
	v_subrev_co_ci_u32_e32 v23, vcc_lo, 0, v36, vcc_lo
	v_lshl_add_u32 v24, v22, 3, v22
	s_delay_alu instid0(VALU_DEP_1) | instskip(SKIP_1) | instid1(VALU_DEP_1)
	v_and_b32_e32 v24, 15, v24
	s_waitcnt vmcnt(1)
	v_dual_mov_b32 v36, v25 :: v_dual_mov_b32 v35, v24
	s_branch .LBB108_18
.LBB108_17:                             ;   in Loop: Header=BB108_18 Depth=3
	s_or_b32 exec_lo, exec_lo, s25
	s_xor_b32 s25, s33, -1
	s_delay_alu instid0(SALU_CYCLE_1) | instskip(NEXT) | instid1(SALU_CYCLE_1)
	s_and_b32 s25, exec_lo, s25
	s_or_b32 s17, s25, s17
	s_delay_alu instid0(SALU_CYCLE_1)
	s_and_not1_b32 exec_lo, exec_lo, s17
	s_cbranch_execz .LBB108_32
.LBB108_18:                             ;   Parent Loop BB108_13 Depth=1
                                        ;     Parent Loop BB108_16 Depth=2
                                        ; =>    This Loop Header: Depth=3
                                        ;         Child Loop BB108_24 Depth 4
                                        ;         Child Loop BB108_30 Depth 4
	s_delay_alu instid0(VALU_DEP_1)
	v_lshl_add_u32 v42, v35, 3, v38
	s_mov_b32 s25, exec_lo
                                        ; implicit-def: $sgpr33
	ds_load_b64 v[36:37], v42
	s_waitcnt lgkmcnt(0)
	v_cmpx_ne_u64_e64 v[36:37], v[22:23]
	s_xor_b32 s25, exec_lo, s25
	s_cbranch_execz .LBB108_28
; %bb.19:                               ;   in Loop: Header=BB108_18 Depth=3
	s_mov_b32 s34, exec_lo
                                        ; implicit-def: $sgpr33
	v_cmpx_ne_u64_e64 s[38:39], v[36:37]
	s_xor_b32 s34, exec_lo, s34
; %bb.20:                               ;   in Loop: Header=BB108_18 Depth=3
	v_add_nc_u32_e32 v35, 1, v35
	s_mov_b32 s33, -1
                                        ; implicit-def: $vgpr42
	s_delay_alu instid0(VALU_DEP_1)
	v_and_b32_e32 v35, 15, v35
; %bb.21:                               ;   in Loop: Header=BB108_18 Depth=3
	s_and_not1_saveexec_b32 s34, s34
	s_cbranch_execz .LBB108_27
; %bb.22:                               ;   in Loop: Header=BB108_18 Depth=3
	v_dual_mov_b32 v36, s38 :: v_dual_mov_b32 v37, s39
	s_mov_b32 s36, -1
	s_mov_b32 s35, exec_lo
	ds_cmpstore_rtn_b64 v[36:37], v42, v[22:23], v[36:37]
	s_waitcnt lgkmcnt(0)
	v_cmpx_eq_u64_e64 s[38:39], v[36:37]
	s_cbranch_execz .LBB108_26
; %bb.23:                               ;   in Loop: Header=BB108_18 Depth=3
	v_lshlrev_b32_e32 v36, 5, v35
	s_mov_b32 s36, 0
	s_delay_alu instid0(VALU_DEP_1)
	v_add_nc_u32_e32 v42, v40, v36
	ds_load_b64 v[36:37], v42
.LBB108_24:                             ;   Parent Loop BB108_13 Depth=1
                                        ;     Parent Loop BB108_16 Depth=2
                                        ;       Parent Loop BB108_18 Depth=3
                                        ; =>      This Inner Loop Header: Depth=4
	s_waitcnt lgkmcnt(0)
	v_add_f64 v[43:44], v[36:37], v[33:34]
	ds_cmpstore_rtn_b64 v[43:44], v42, v[43:44], v[36:37]
	s_waitcnt lgkmcnt(0)
	v_cmp_eq_u64_e32 vcc_lo, v[43:44], v[36:37]
	v_dual_mov_b32 v36, v43 :: v_dual_mov_b32 v37, v44
	s_or_b32 s36, vcc_lo, s36
	s_delay_alu instid0(SALU_CYCLE_1)
	s_and_not1_b32 exec_lo, exec_lo, s36
	s_cbranch_execnz .LBB108_24
; %bb.25:                               ;   in Loop: Header=BB108_18 Depth=3
	s_or_b32 exec_lo, exec_lo, s36
	s_delay_alu instid0(SALU_CYCLE_1)
	s_xor_b32 s36, exec_lo, -1
.LBB108_26:                             ;   in Loop: Header=BB108_18 Depth=3
	s_or_b32 exec_lo, exec_lo, s35
	s_delay_alu instid0(SALU_CYCLE_1) | instskip(SKIP_1) | instid1(SALU_CYCLE_1)
	s_and_not1_b32 s33, s33, exec_lo
	s_and_b32 s35, s36, exec_lo
	s_or_b32 s33, s33, s35
.LBB108_27:                             ;   in Loop: Header=BB108_18 Depth=3
	s_or_b32 exec_lo, exec_lo, s34
	s_delay_alu instid0(SALU_CYCLE_1)
	s_and_b32 s33, s33, exec_lo
.LBB108_28:                             ;   in Loop: Header=BB108_18 Depth=3
	s_and_not1_saveexec_b32 s25, s25
	s_cbranch_execz .LBB108_17
; %bb.29:                               ;   in Loop: Header=BB108_18 Depth=3
	v_lshlrev_b32_e32 v36, 5, v35
	s_mov_b32 s34, 0
	s_delay_alu instid0(VALU_DEP_1)
	v_add_nc_u32_e32 v42, v40, v36
	ds_load_b64 v[36:37], v42
.LBB108_30:                             ;   Parent Loop BB108_13 Depth=1
                                        ;     Parent Loop BB108_16 Depth=2
                                        ;       Parent Loop BB108_18 Depth=3
                                        ; =>      This Inner Loop Header: Depth=4
	s_waitcnt lgkmcnt(0)
	v_add_f64 v[43:44], v[36:37], v[33:34]
	ds_cmpstore_rtn_b64 v[43:44], v42, v[43:44], v[36:37]
	s_waitcnt lgkmcnt(0)
	v_cmp_eq_u64_e32 vcc_lo, v[43:44], v[36:37]
	v_dual_mov_b32 v36, v43 :: v_dual_mov_b32 v37, v44
	s_or_b32 s34, vcc_lo, s34
	s_delay_alu instid0(SALU_CYCLE_1)
	s_and_not1_b32 exec_lo, exec_lo, s34
	s_cbranch_execnz .LBB108_30
; %bb.31:                               ;   in Loop: Header=BB108_18 Depth=3
	s_or_b32 exec_lo, exec_lo, s34
	s_delay_alu instid0(SALU_CYCLE_1)
	s_and_not1_b32 s33, s33, exec_lo
	s_branch .LBB108_17
.LBB108_32:                             ;   in Loop: Header=BB108_16 Depth=2
	s_or_b32 exec_lo, exec_lo, s17
	s_waitcnt vmcnt(0)
	v_mul_f64 v[33:34], v[20:21], v[27:28]
	v_dual_mov_b32 v36, v25 :: v_dual_mov_b32 v35, v24
	s_mov_b32 s17, 0
	s_delay_alu instid0(VALU_DEP_2)
	v_fma_f64 v[33:34], v[18:19], v[25:26], v[33:34]
	s_branch .LBB108_34
.LBB108_33:                             ;   in Loop: Header=BB108_34 Depth=3
	s_or_b32 exec_lo, exec_lo, s25
	s_xor_b32 s25, s33, -1
	s_delay_alu instid0(SALU_CYCLE_1) | instskip(NEXT) | instid1(SALU_CYCLE_1)
	s_and_b32 s25, exec_lo, s25
	s_or_b32 s17, s25, s17
	s_delay_alu instid0(SALU_CYCLE_1)
	s_and_not1_b32 exec_lo, exec_lo, s17
	s_cbranch_execz .LBB108_48
.LBB108_34:                             ;   Parent Loop BB108_13 Depth=1
                                        ;     Parent Loop BB108_16 Depth=2
                                        ; =>    This Loop Header: Depth=3
                                        ;         Child Loop BB108_40 Depth 4
                                        ;         Child Loop BB108_46 Depth 4
	s_delay_alu instid0(VALU_DEP_2)
	v_lshl_add_u32 v42, v35, 3, v38
	s_mov_b32 s25, exec_lo
                                        ; implicit-def: $sgpr33
	ds_load_b64 v[36:37], v42
	s_waitcnt lgkmcnt(0)
	v_cmpx_ne_u64_e64 v[36:37], v[22:23]
	s_xor_b32 s25, exec_lo, s25
	s_cbranch_execz .LBB108_44
; %bb.35:                               ;   in Loop: Header=BB108_34 Depth=3
	s_mov_b32 s34, exec_lo
                                        ; implicit-def: $sgpr33
	v_cmpx_ne_u64_e64 s[38:39], v[36:37]
	s_xor_b32 s34, exec_lo, s34
; %bb.36:                               ;   in Loop: Header=BB108_34 Depth=3
	v_add_nc_u32_e32 v35, 1, v35
	s_mov_b32 s33, -1
                                        ; implicit-def: $vgpr42
	s_delay_alu instid0(VALU_DEP_1)
	v_and_b32_e32 v35, 15, v35
; %bb.37:                               ;   in Loop: Header=BB108_34 Depth=3
	s_and_not1_saveexec_b32 s34, s34
	s_cbranch_execz .LBB108_43
; %bb.38:                               ;   in Loop: Header=BB108_34 Depth=3
	v_dual_mov_b32 v36, s38 :: v_dual_mov_b32 v37, s39
	s_mov_b32 s36, -1
	s_mov_b32 s35, exec_lo
	ds_cmpstore_rtn_b64 v[36:37], v42, v[22:23], v[36:37]
	s_waitcnt lgkmcnt(0)
	v_cmpx_eq_u64_e64 s[38:39], v[36:37]
	s_cbranch_execz .LBB108_42
; %bb.39:                               ;   in Loop: Header=BB108_34 Depth=3
	v_lshlrev_b32_e32 v36, 5, v35
	s_mov_b32 s36, 0
	s_delay_alu instid0(VALU_DEP_1)
	v_add_nc_u32_e32 v42, v40, v36
	ds_load_b64 v[36:37], v42 offset:8
.LBB108_40:                             ;   Parent Loop BB108_13 Depth=1
                                        ;     Parent Loop BB108_16 Depth=2
                                        ;       Parent Loop BB108_34 Depth=3
                                        ; =>      This Inner Loop Header: Depth=4
	s_waitcnt lgkmcnt(0)
	v_add_f64 v[43:44], v[36:37], v[33:34]
	ds_cmpstore_rtn_b64 v[43:44], v42, v[43:44], v[36:37] offset:8
	s_waitcnt lgkmcnt(0)
	v_cmp_eq_u64_e32 vcc_lo, v[43:44], v[36:37]
	v_dual_mov_b32 v36, v43 :: v_dual_mov_b32 v37, v44
	s_or_b32 s36, vcc_lo, s36
	s_delay_alu instid0(SALU_CYCLE_1)
	s_and_not1_b32 exec_lo, exec_lo, s36
	s_cbranch_execnz .LBB108_40
; %bb.41:                               ;   in Loop: Header=BB108_34 Depth=3
	s_or_b32 exec_lo, exec_lo, s36
	s_delay_alu instid0(SALU_CYCLE_1)
	s_xor_b32 s36, exec_lo, -1
.LBB108_42:                             ;   in Loop: Header=BB108_34 Depth=3
	s_or_b32 exec_lo, exec_lo, s35
	s_delay_alu instid0(SALU_CYCLE_1) | instskip(SKIP_1) | instid1(SALU_CYCLE_1)
	s_and_not1_b32 s33, s33, exec_lo
	s_and_b32 s35, s36, exec_lo
	s_or_b32 s33, s33, s35
.LBB108_43:                             ;   in Loop: Header=BB108_34 Depth=3
	s_or_b32 exec_lo, exec_lo, s34
	s_delay_alu instid0(SALU_CYCLE_1)
	s_and_b32 s33, s33, exec_lo
.LBB108_44:                             ;   in Loop: Header=BB108_34 Depth=3
	s_and_not1_saveexec_b32 s25, s25
	s_cbranch_execz .LBB108_33
; %bb.45:                               ;   in Loop: Header=BB108_34 Depth=3
	v_lshlrev_b32_e32 v36, 5, v35
	s_mov_b32 s34, 0
	s_delay_alu instid0(VALU_DEP_1)
	v_add_nc_u32_e32 v42, v40, v36
	ds_load_b64 v[36:37], v42 offset:8
.LBB108_46:                             ;   Parent Loop BB108_13 Depth=1
                                        ;     Parent Loop BB108_16 Depth=2
                                        ;       Parent Loop BB108_34 Depth=3
                                        ; =>      This Inner Loop Header: Depth=4
	s_waitcnt lgkmcnt(0)
	v_add_f64 v[43:44], v[36:37], v[33:34]
	ds_cmpstore_rtn_b64 v[43:44], v42, v[43:44], v[36:37] offset:8
	s_waitcnt lgkmcnt(0)
	v_cmp_eq_u64_e32 vcc_lo, v[43:44], v[36:37]
	v_dual_mov_b32 v36, v43 :: v_dual_mov_b32 v37, v44
	s_or_b32 s34, vcc_lo, s34
	s_delay_alu instid0(SALU_CYCLE_1)
	s_and_not1_b32 exec_lo, exec_lo, s34
	s_cbranch_execnz .LBB108_46
; %bb.47:                               ;   in Loop: Header=BB108_34 Depth=3
	s_or_b32 exec_lo, exec_lo, s34
	s_delay_alu instid0(SALU_CYCLE_1)
	s_and_not1_b32 s33, s33, exec_lo
	s_branch .LBB108_33
.LBB108_48:                             ;   in Loop: Header=BB108_16 Depth=2
	s_or_b32 exec_lo, exec_lo, s17
	v_mul_f64 v[29:30], v[14:15], v[29:30]
	s_mov_b32 s17, 0
	s_delay_alu instid0(VALU_DEP_1)
	v_fma_f64 v[29:30], v[16:17], v[31:32], v[29:30]
	v_dual_mov_b32 v32, v25 :: v_dual_mov_b32 v31, v24
	s_branch .LBB108_50
.LBB108_49:                             ;   in Loop: Header=BB108_50 Depth=3
	s_or_b32 exec_lo, exec_lo, s25
	s_xor_b32 s25, s33, -1
	s_delay_alu instid0(SALU_CYCLE_1) | instskip(NEXT) | instid1(SALU_CYCLE_1)
	s_and_b32 s25, exec_lo, s25
	s_or_b32 s17, s25, s17
	s_delay_alu instid0(SALU_CYCLE_1)
	s_and_not1_b32 exec_lo, exec_lo, s17
	s_cbranch_execz .LBB108_64
.LBB108_50:                             ;   Parent Loop BB108_13 Depth=1
                                        ;     Parent Loop BB108_16 Depth=2
                                        ; =>    This Loop Header: Depth=3
                                        ;         Child Loop BB108_56 Depth 4
                                        ;         Child Loop BB108_62 Depth 4
	s_delay_alu instid0(VALU_DEP_1)
	v_lshl_add_u32 v34, v31, 3, v38
	s_mov_b32 s25, exec_lo
                                        ; implicit-def: $sgpr33
	ds_load_b64 v[32:33], v34
	s_waitcnt lgkmcnt(0)
	v_cmpx_ne_u64_e64 v[32:33], v[22:23]
	s_xor_b32 s25, exec_lo, s25
	s_cbranch_execz .LBB108_60
; %bb.51:                               ;   in Loop: Header=BB108_50 Depth=3
	s_mov_b32 s34, exec_lo
                                        ; implicit-def: $sgpr33
	v_cmpx_ne_u64_e64 s[38:39], v[32:33]
	s_xor_b32 s34, exec_lo, s34
; %bb.52:                               ;   in Loop: Header=BB108_50 Depth=3
	v_add_nc_u32_e32 v31, 1, v31
	s_mov_b32 s33, -1
                                        ; implicit-def: $vgpr34
	s_delay_alu instid0(VALU_DEP_1)
	v_and_b32_e32 v31, 15, v31
; %bb.53:                               ;   in Loop: Header=BB108_50 Depth=3
	s_and_not1_saveexec_b32 s34, s34
	s_cbranch_execz .LBB108_59
; %bb.54:                               ;   in Loop: Header=BB108_50 Depth=3
	v_dual_mov_b32 v32, s38 :: v_dual_mov_b32 v33, s39
	s_mov_b32 s36, -1
	s_mov_b32 s35, exec_lo
	ds_cmpstore_rtn_b64 v[32:33], v34, v[22:23], v[32:33]
	s_waitcnt lgkmcnt(0)
	v_cmpx_eq_u64_e64 s[38:39], v[32:33]
	s_cbranch_execz .LBB108_58
; %bb.55:                               ;   in Loop: Header=BB108_50 Depth=3
	v_lshlrev_b32_e32 v32, 5, v31
	s_mov_b32 s36, 0
	s_delay_alu instid0(VALU_DEP_1)
	v_add_nc_u32_e32 v34, v40, v32
	ds_load_b64 v[32:33], v34 offset:16
.LBB108_56:                             ;   Parent Loop BB108_13 Depth=1
                                        ;     Parent Loop BB108_16 Depth=2
                                        ;       Parent Loop BB108_50 Depth=3
                                        ; =>      This Inner Loop Header: Depth=4
	s_waitcnt lgkmcnt(0)
	v_add_f64 v[35:36], v[32:33], v[29:30]
	ds_cmpstore_rtn_b64 v[35:36], v34, v[35:36], v[32:33] offset:16
	s_waitcnt lgkmcnt(0)
	v_cmp_eq_u64_e32 vcc_lo, v[35:36], v[32:33]
	v_dual_mov_b32 v32, v35 :: v_dual_mov_b32 v33, v36
	s_or_b32 s36, vcc_lo, s36
	s_delay_alu instid0(SALU_CYCLE_1)
	s_and_not1_b32 exec_lo, exec_lo, s36
	s_cbranch_execnz .LBB108_56
; %bb.57:                               ;   in Loop: Header=BB108_50 Depth=3
	s_or_b32 exec_lo, exec_lo, s36
	s_delay_alu instid0(SALU_CYCLE_1)
	s_xor_b32 s36, exec_lo, -1
.LBB108_58:                             ;   in Loop: Header=BB108_50 Depth=3
	s_or_b32 exec_lo, exec_lo, s35
	s_delay_alu instid0(SALU_CYCLE_1) | instskip(SKIP_1) | instid1(SALU_CYCLE_1)
	s_and_not1_b32 s33, s33, exec_lo
	s_and_b32 s35, s36, exec_lo
	s_or_b32 s33, s33, s35
.LBB108_59:                             ;   in Loop: Header=BB108_50 Depth=3
	s_or_b32 exec_lo, exec_lo, s34
	s_delay_alu instid0(SALU_CYCLE_1)
	s_and_b32 s33, s33, exec_lo
.LBB108_60:                             ;   in Loop: Header=BB108_50 Depth=3
	s_and_not1_saveexec_b32 s25, s25
	s_cbranch_execz .LBB108_49
; %bb.61:                               ;   in Loop: Header=BB108_50 Depth=3
	v_lshlrev_b32_e32 v32, 5, v31
	s_mov_b32 s34, 0
	s_delay_alu instid0(VALU_DEP_1)
	v_add_nc_u32_e32 v34, v40, v32
	ds_load_b64 v[32:33], v34 offset:16
.LBB108_62:                             ;   Parent Loop BB108_13 Depth=1
                                        ;     Parent Loop BB108_16 Depth=2
                                        ;       Parent Loop BB108_50 Depth=3
                                        ; =>      This Inner Loop Header: Depth=4
	s_waitcnt lgkmcnt(0)
	v_add_f64 v[35:36], v[32:33], v[29:30]
	ds_cmpstore_rtn_b64 v[35:36], v34, v[35:36], v[32:33] offset:16
	s_waitcnt lgkmcnt(0)
	v_cmp_eq_u64_e32 vcc_lo, v[35:36], v[32:33]
	v_dual_mov_b32 v32, v35 :: v_dual_mov_b32 v33, v36
	s_or_b32 s34, vcc_lo, s34
	s_delay_alu instid0(SALU_CYCLE_1)
	s_and_not1_b32 exec_lo, exec_lo, s34
	s_cbranch_execnz .LBB108_62
; %bb.63:                               ;   in Loop: Header=BB108_50 Depth=3
	s_or_b32 exec_lo, exec_lo, s34
	s_delay_alu instid0(SALU_CYCLE_1)
	s_and_not1_b32 s33, s33, exec_lo
	s_branch .LBB108_49
.LBB108_64:                             ;   in Loop: Header=BB108_16 Depth=2
	s_or_b32 exec_lo, exec_lo, s17
	v_mul_f64 v[27:28], v[14:15], v[27:28]
	s_mov_b32 s17, 0
	s_delay_alu instid0(VALU_DEP_1)
	v_fma_f64 v[25:26], v[16:17], v[25:26], v[27:28]
	s_branch .LBB108_66
.LBB108_65:                             ;   in Loop: Header=BB108_66 Depth=3
	s_or_b32 exec_lo, exec_lo, s25
	s_xor_b32 s25, s33, -1
	s_delay_alu instid0(SALU_CYCLE_1) | instskip(NEXT) | instid1(SALU_CYCLE_1)
	s_and_b32 s25, exec_lo, s25
	s_or_b32 s17, s25, s17
	s_delay_alu instid0(SALU_CYCLE_1)
	s_and_not1_b32 exec_lo, exec_lo, s17
	s_cbranch_execz .LBB108_15
.LBB108_66:                             ;   Parent Loop BB108_13 Depth=1
                                        ;     Parent Loop BB108_16 Depth=2
                                        ; =>    This Loop Header: Depth=3
                                        ;         Child Loop BB108_72 Depth 4
                                        ;         Child Loop BB108_78 Depth 4
	v_lshl_add_u32 v29, v24, 3, v38
	s_mov_b32 s25, exec_lo
                                        ; implicit-def: $sgpr33
	ds_load_b64 v[27:28], v29
	s_waitcnt lgkmcnt(0)
	v_cmpx_ne_u64_e64 v[27:28], v[22:23]
	s_xor_b32 s25, exec_lo, s25
	s_cbranch_execz .LBB108_76
; %bb.67:                               ;   in Loop: Header=BB108_66 Depth=3
	s_mov_b32 s34, exec_lo
                                        ; implicit-def: $sgpr33
	v_cmpx_ne_u64_e64 s[38:39], v[27:28]
	s_xor_b32 s34, exec_lo, s34
; %bb.68:                               ;   in Loop: Header=BB108_66 Depth=3
	v_add_nc_u32_e32 v24, 1, v24
	s_mov_b32 s33, -1
                                        ; implicit-def: $vgpr29
	s_delay_alu instid0(VALU_DEP_1)
	v_and_b32_e32 v24, 15, v24
; %bb.69:                               ;   in Loop: Header=BB108_66 Depth=3
	s_and_not1_saveexec_b32 s34, s34
	s_cbranch_execz .LBB108_75
; %bb.70:                               ;   in Loop: Header=BB108_66 Depth=3
	v_dual_mov_b32 v27, s38 :: v_dual_mov_b32 v28, s39
	s_mov_b32 s36, -1
	s_mov_b32 s35, exec_lo
	ds_cmpstore_rtn_b64 v[27:28], v29, v[22:23], v[27:28]
	s_waitcnt lgkmcnt(0)
	v_cmpx_eq_u64_e64 s[38:39], v[27:28]
	s_cbranch_execz .LBB108_74
; %bb.71:                               ;   in Loop: Header=BB108_66 Depth=3
	v_lshlrev_b32_e32 v27, 5, v24
	s_mov_b32 s36, 0
	s_delay_alu instid0(VALU_DEP_1)
	v_add_nc_u32_e32 v29, v40, v27
	ds_load_b64 v[27:28], v29 offset:24
.LBB108_72:                             ;   Parent Loop BB108_13 Depth=1
                                        ;     Parent Loop BB108_16 Depth=2
                                        ;       Parent Loop BB108_66 Depth=3
                                        ; =>      This Inner Loop Header: Depth=4
	s_waitcnt lgkmcnt(0)
	v_add_f64 v[30:31], v[27:28], v[25:26]
	ds_cmpstore_rtn_b64 v[30:31], v29, v[30:31], v[27:28] offset:24
	s_waitcnt lgkmcnt(0)
	v_cmp_eq_u64_e32 vcc_lo, v[30:31], v[27:28]
	v_dual_mov_b32 v27, v30 :: v_dual_mov_b32 v28, v31
	s_or_b32 s36, vcc_lo, s36
	s_delay_alu instid0(SALU_CYCLE_1)
	s_and_not1_b32 exec_lo, exec_lo, s36
	s_cbranch_execnz .LBB108_72
; %bb.73:                               ;   in Loop: Header=BB108_66 Depth=3
	s_or_b32 exec_lo, exec_lo, s36
	s_delay_alu instid0(SALU_CYCLE_1)
	s_xor_b32 s36, exec_lo, -1
.LBB108_74:                             ;   in Loop: Header=BB108_66 Depth=3
	s_or_b32 exec_lo, exec_lo, s35
	s_delay_alu instid0(SALU_CYCLE_1) | instskip(SKIP_1) | instid1(SALU_CYCLE_1)
	s_and_not1_b32 s33, s33, exec_lo
	s_and_b32 s35, s36, exec_lo
	s_or_b32 s33, s33, s35
.LBB108_75:                             ;   in Loop: Header=BB108_66 Depth=3
	s_or_b32 exec_lo, exec_lo, s34
	s_delay_alu instid0(SALU_CYCLE_1)
	s_and_b32 s33, s33, exec_lo
.LBB108_76:                             ;   in Loop: Header=BB108_66 Depth=3
	s_and_not1_saveexec_b32 s25, s25
	s_cbranch_execz .LBB108_65
; %bb.77:                               ;   in Loop: Header=BB108_66 Depth=3
	v_lshlrev_b32_e32 v27, 5, v24
	s_mov_b32 s34, 0
	s_delay_alu instid0(VALU_DEP_1)
	v_add_nc_u32_e32 v29, v40, v27
	ds_load_b64 v[27:28], v29 offset:24
.LBB108_78:                             ;   Parent Loop BB108_13 Depth=1
                                        ;     Parent Loop BB108_16 Depth=2
                                        ;       Parent Loop BB108_66 Depth=3
                                        ; =>      This Inner Loop Header: Depth=4
	s_waitcnt lgkmcnt(0)
	v_add_f64 v[30:31], v[27:28], v[25:26]
	ds_cmpstore_rtn_b64 v[30:31], v29, v[30:31], v[27:28] offset:24
	s_waitcnt lgkmcnt(0)
	v_cmp_eq_u64_e32 vcc_lo, v[30:31], v[27:28]
	v_dual_mov_b32 v27, v30 :: v_dual_mov_b32 v28, v31
	s_or_b32 s34, vcc_lo, s34
	s_delay_alu instid0(SALU_CYCLE_1)
	s_and_not1_b32 exec_lo, exec_lo, s34
	s_cbranch_execnz .LBB108_78
; %bb.79:                               ;   in Loop: Header=BB108_66 Depth=3
	s_or_b32 exec_lo, exec_lo, s34
	s_delay_alu instid0(SALU_CYCLE_1)
	s_and_not1_b32 s33, s33, exec_lo
	s_branch .LBB108_65
.LBB108_80:
	s_or_b32 exec_lo, exec_lo, s1
.LBB108_81:
	s_delay_alu instid0(SALU_CYCLE_1)
	s_and_not1_b32 vcc_lo, exec_lo, s12
	s_waitcnt lgkmcnt(0)
	buffer_gl0_inv
	s_cbranch_vccnz .LBB108_150
; %bb.82:
	v_add_co_u32 v0, vcc_lo, s4, v6
	v_add_co_ci_u32_e32 v1, vcc_lo, s5, v7, vcc_lo
	v_sub_co_u32 v2, s1, v39, s27
	s_delay_alu instid0(VALU_DEP_1)
	v_sub_co_ci_u32_e64 v3, null, 0, 0, s1
	global_load_b128 v[8:11], v[0:1], off
	s_mov_b32 s1, 0
	s_mov_b32 s2, exec_lo
	s_waitcnt vmcnt(0)
	v_sub_co_u32 v0, vcc_lo, v10, s27
	v_subrev_co_ci_u32_e32 v1, vcc_lo, 0, v11, vcc_lo
	v_add_co_u32 v2, vcc_lo, v8, v2
	v_add_co_ci_u32_e32 v3, vcc_lo, v9, v3, vcc_lo
	s_delay_alu instid0(VALU_DEP_1)
	v_cmpx_lt_i64_e64 v[2:3], v[0:1]
	s_cbranch_execz .LBB108_149
; %bb.83:
	s_cmp_eq_u32 s0, 0
	s_mov_b32 s3, s27
	s_cselect_b32 s4, 1, 2
	s_cselect_b32 s5, 2, 1
	s_branch .LBB108_85
.LBB108_84:                             ;   in Loop: Header=BB108_85 Depth=1
	s_or_b32 exec_lo, exec_lo, s12
	v_add_co_u32 v2, vcc_lo, v2, 16
	v_add_co_ci_u32_e32 v3, vcc_lo, 0, v3, vcc_lo
	s_delay_alu instid0(VALU_DEP_1) | instskip(SKIP_1) | instid1(SALU_CYCLE_1)
	v_cmp_ge_i64_e32 vcc_lo, v[2:3], v[0:1]
	s_or_b32 s1, vcc_lo, s1
	s_and_not1_b32 exec_lo, exec_lo, s1
	s_cbranch_execz .LBB108_149
.LBB108_85:                             ; =>This Loop Header: Depth=1
                                        ;     Child Loop BB108_87 Depth 2
                                        ;       Child Loop BB108_93 Depth 3
                                        ;       Child Loop BB108_99 Depth 3
                                        ;     Child Loop BB108_103 Depth 2
                                        ;       Child Loop BB108_109 Depth 3
                                        ;       Child Loop BB108_115 Depth 3
                                        ;     Child Loop BB108_119 Depth 2
                                        ;       Child Loop BB108_125 Depth 3
                                        ;       Child Loop BB108_131 Depth 3
                                        ;     Child Loop BB108_135 Depth 2
                                        ;       Child Loop BB108_141 Depth 3
                                        ;       Child Loop BB108_147 Depth 3
	v_lshlrev_b64 v[8:9], 5, v[2:3]
	v_lshlrev_b64 v[10:11], 3, v[2:3]
	;; [unrolled: 1-line block ×3, first 2 shown]
	s_mov_b32 s12, 0
	s_delay_alu instid0(VALU_DEP_3) | instskip(NEXT) | instid1(VALU_DEP_4)
	v_add_co_u32 v8, vcc_lo, s8, v8
	v_add_co_ci_u32_e32 v9, vcc_lo, s9, v9, vcc_lo
	s_delay_alu instid0(VALU_DEP_4)
	v_add_co_u32 v10, vcc_lo, s6, v10
	v_add_co_ci_u32_e32 v11, vcc_lo, s7, v11, vcc_lo
	global_load_b64 v[17:18], v[8:9], off
	v_or_b32_e32 v15, 0, v13
	v_or_b32_e32 v14, s5, v12
	;; [unrolled: 1-line block ×4, first 2 shown]
	global_load_b64 v[19:20], v[10:11], off
	v_lshlrev_b64 v[10:11], 3, v[14:15]
	v_lshlrev_b64 v[12:13], 3, v[12:13]
	s_delay_alu instid0(VALU_DEP_2) | instskip(NEXT) | instid1(VALU_DEP_3)
	v_add_co_u32 v10, vcc_lo, s8, v10
	v_add_co_ci_u32_e32 v11, vcc_lo, s9, v11, vcc_lo
	s_delay_alu instid0(VALU_DEP_3) | instskip(NEXT) | instid1(VALU_DEP_4)
	v_add_co_u32 v15, vcc_lo, s8, v12
	v_add_co_ci_u32_e32 v16, vcc_lo, s9, v13, vcc_lo
	s_clause 0x2
	global_load_b64 v[13:14], v[10:11], off
	global_load_b64 v[15:16], v[15:16], off
	global_load_b64 v[11:12], v[8:9], off offset:24
	s_waitcnt vmcnt(4)
	v_mul_f64 v[17:18], v[4:5], v[17:18]
	s_waitcnt vmcnt(3)
	v_sub_co_u32 v8, vcc_lo, v19, s3
	v_subrev_co_ci_u32_e32 v9, vcc_lo, 0, v20, vcc_lo
	s_delay_alu instid0(VALU_DEP_2) | instskip(NEXT) | instid1(VALU_DEP_1)
	v_lshl_add_u32 v10, v8, 3, v8
	v_and_b32_e32 v10, 15, v10
	s_waitcnt vmcnt(0)
	s_delay_alu instid0(VALU_DEP_1)
	v_dual_mov_b32 v20, v11 :: v_dual_mov_b32 v19, v10
	s_branch .LBB108_87
.LBB108_86:                             ;   in Loop: Header=BB108_87 Depth=2
	s_or_b32 exec_lo, exec_lo, s13
	s_xor_b32 s13, s14, -1
	s_delay_alu instid0(SALU_CYCLE_1) | instskip(NEXT) | instid1(SALU_CYCLE_1)
	s_and_b32 s13, exec_lo, s13
	s_or_b32 s12, s13, s12
	s_delay_alu instid0(SALU_CYCLE_1)
	s_and_not1_b32 exec_lo, exec_lo, s12
	s_cbranch_execz .LBB108_101
.LBB108_87:                             ;   Parent Loop BB108_85 Depth=1
                                        ; =>  This Loop Header: Depth=2
                                        ;       Child Loop BB108_93 Depth 3
                                        ;       Child Loop BB108_99 Depth 3
	s_delay_alu instid0(VALU_DEP_1)
	v_lshl_add_u32 v22, v19, 3, v38
	s_mov_b32 s13, exec_lo
                                        ; implicit-def: $sgpr14
	ds_load_b64 v[20:21], v22
	s_waitcnt lgkmcnt(0)
	v_cmpx_ne_u64_e64 v[20:21], v[8:9]
	s_xor_b32 s13, exec_lo, s13
	s_cbranch_execz .LBB108_97
; %bb.88:                               ;   in Loop: Header=BB108_87 Depth=2
	s_mov_b32 s15, exec_lo
                                        ; implicit-def: $sgpr14
	v_cmpx_ne_u64_e64 s[38:39], v[20:21]
	s_xor_b32 s15, exec_lo, s15
; %bb.89:                               ;   in Loop: Header=BB108_87 Depth=2
	v_add_nc_u32_e32 v19, 1, v19
	s_mov_b32 s14, -1
                                        ; implicit-def: $vgpr22
	s_delay_alu instid0(VALU_DEP_1)
	v_and_b32_e32 v19, 15, v19
; %bb.90:                               ;   in Loop: Header=BB108_87 Depth=2
	s_and_not1_saveexec_b32 s15, s15
	s_cbranch_execz .LBB108_96
; %bb.91:                               ;   in Loop: Header=BB108_87 Depth=2
	v_dual_mov_b32 v20, s38 :: v_dual_mov_b32 v21, s39
	s_mov_b32 s17, -1
	s_mov_b32 s16, exec_lo
	ds_cmpstore_rtn_b64 v[20:21], v22, v[8:9], v[20:21]
	s_waitcnt lgkmcnt(0)
	v_cmpx_eq_u64_e64 s[38:39], v[20:21]
	s_cbranch_execz .LBB108_95
; %bb.92:                               ;   in Loop: Header=BB108_87 Depth=2
	v_lshlrev_b32_e32 v20, 5, v19
	s_mov_b32 s17, 0
	s_delay_alu instid0(VALU_DEP_1)
	v_add_nc_u32_e32 v22, v40, v20
	ds_load_b64 v[20:21], v22
.LBB108_93:                             ;   Parent Loop BB108_85 Depth=1
                                        ;     Parent Loop BB108_87 Depth=2
                                        ; =>    This Inner Loop Header: Depth=3
	s_waitcnt lgkmcnt(0)
	v_add_f64 v[23:24], v[20:21], v[17:18]
	ds_cmpstore_rtn_b64 v[23:24], v22, v[23:24], v[20:21]
	s_waitcnt lgkmcnt(0)
	v_cmp_eq_u64_e32 vcc_lo, v[23:24], v[20:21]
	v_dual_mov_b32 v20, v23 :: v_dual_mov_b32 v21, v24
	s_or_b32 s17, vcc_lo, s17
	s_delay_alu instid0(SALU_CYCLE_1)
	s_and_not1_b32 exec_lo, exec_lo, s17
	s_cbranch_execnz .LBB108_93
; %bb.94:                               ;   in Loop: Header=BB108_87 Depth=2
	s_or_b32 exec_lo, exec_lo, s17
	s_delay_alu instid0(SALU_CYCLE_1)
	s_xor_b32 s17, exec_lo, -1
.LBB108_95:                             ;   in Loop: Header=BB108_87 Depth=2
	s_or_b32 exec_lo, exec_lo, s16
	s_delay_alu instid0(SALU_CYCLE_1) | instskip(SKIP_1) | instid1(SALU_CYCLE_1)
	s_and_not1_b32 s14, s14, exec_lo
	s_and_b32 s16, s17, exec_lo
	s_or_b32 s14, s14, s16
.LBB108_96:                             ;   in Loop: Header=BB108_87 Depth=2
	s_or_b32 exec_lo, exec_lo, s15
	s_delay_alu instid0(SALU_CYCLE_1)
	s_and_b32 s14, s14, exec_lo
.LBB108_97:                             ;   in Loop: Header=BB108_87 Depth=2
	s_and_not1_saveexec_b32 s13, s13
	s_cbranch_execz .LBB108_86
; %bb.98:                               ;   in Loop: Header=BB108_87 Depth=2
	v_lshlrev_b32_e32 v20, 5, v19
	s_mov_b32 s15, 0
	s_delay_alu instid0(VALU_DEP_1)
	v_add_nc_u32_e32 v22, v40, v20
	ds_load_b64 v[20:21], v22
.LBB108_99:                             ;   Parent Loop BB108_85 Depth=1
                                        ;     Parent Loop BB108_87 Depth=2
                                        ; =>    This Inner Loop Header: Depth=3
	s_waitcnt lgkmcnt(0)
	v_add_f64 v[23:24], v[20:21], v[17:18]
	ds_cmpstore_rtn_b64 v[23:24], v22, v[23:24], v[20:21]
	s_waitcnt lgkmcnt(0)
	v_cmp_eq_u64_e32 vcc_lo, v[23:24], v[20:21]
	v_dual_mov_b32 v20, v23 :: v_dual_mov_b32 v21, v24
	s_or_b32 s15, vcc_lo, s15
	s_delay_alu instid0(SALU_CYCLE_1)
	s_and_not1_b32 exec_lo, exec_lo, s15
	s_cbranch_execnz .LBB108_99
; %bb.100:                              ;   in Loop: Header=BB108_87 Depth=2
	s_or_b32 exec_lo, exec_lo, s15
	s_delay_alu instid0(SALU_CYCLE_1)
	s_and_not1_b32 s14, s14, exec_lo
	s_branch .LBB108_86
.LBB108_101:                            ;   in Loop: Header=BB108_85 Depth=1
	s_or_b32 exec_lo, exec_lo, s12
	v_mul_f64 v[15:16], v[4:5], v[15:16]
	v_dual_mov_b32 v18, v11 :: v_dual_mov_b32 v17, v10
	s_mov_b32 s12, 0
	s_branch .LBB108_103
.LBB108_102:                            ;   in Loop: Header=BB108_103 Depth=2
	s_or_b32 exec_lo, exec_lo, s13
	s_xor_b32 s13, s14, -1
	s_delay_alu instid0(SALU_CYCLE_1) | instskip(NEXT) | instid1(SALU_CYCLE_1)
	s_and_b32 s13, exec_lo, s13
	s_or_b32 s12, s13, s12
	s_delay_alu instid0(SALU_CYCLE_1)
	s_and_not1_b32 exec_lo, exec_lo, s12
	s_cbranch_execz .LBB108_117
.LBB108_103:                            ;   Parent Loop BB108_85 Depth=1
                                        ; =>  This Loop Header: Depth=2
                                        ;       Child Loop BB108_109 Depth 3
                                        ;       Child Loop BB108_115 Depth 3
	s_delay_alu instid0(VALU_DEP_1)
	v_lshl_add_u32 v20, v17, 3, v38
	s_mov_b32 s13, exec_lo
                                        ; implicit-def: $sgpr14
	ds_load_b64 v[18:19], v20
	s_waitcnt lgkmcnt(0)
	v_cmpx_ne_u64_e64 v[18:19], v[8:9]
	s_xor_b32 s13, exec_lo, s13
	s_cbranch_execz .LBB108_113
; %bb.104:                              ;   in Loop: Header=BB108_103 Depth=2
	s_mov_b32 s15, exec_lo
                                        ; implicit-def: $sgpr14
	v_cmpx_ne_u64_e64 s[38:39], v[18:19]
	s_xor_b32 s15, exec_lo, s15
; %bb.105:                              ;   in Loop: Header=BB108_103 Depth=2
	v_add_nc_u32_e32 v17, 1, v17
	s_mov_b32 s14, -1
                                        ; implicit-def: $vgpr20
	s_delay_alu instid0(VALU_DEP_1)
	v_and_b32_e32 v17, 15, v17
; %bb.106:                              ;   in Loop: Header=BB108_103 Depth=2
	s_and_not1_saveexec_b32 s15, s15
	s_cbranch_execz .LBB108_112
; %bb.107:                              ;   in Loop: Header=BB108_103 Depth=2
	v_dual_mov_b32 v18, s38 :: v_dual_mov_b32 v19, s39
	s_mov_b32 s17, -1
	s_mov_b32 s16, exec_lo
	ds_cmpstore_rtn_b64 v[18:19], v20, v[8:9], v[18:19]
	s_waitcnt lgkmcnt(0)
	v_cmpx_eq_u64_e64 s[38:39], v[18:19]
	s_cbranch_execz .LBB108_111
; %bb.108:                              ;   in Loop: Header=BB108_103 Depth=2
	v_lshlrev_b32_e32 v18, 5, v17
	s_mov_b32 s17, 0
	s_delay_alu instid0(VALU_DEP_1)
	v_add_nc_u32_e32 v20, v40, v18
	ds_load_b64 v[18:19], v20 offset:8
.LBB108_109:                            ;   Parent Loop BB108_85 Depth=1
                                        ;     Parent Loop BB108_103 Depth=2
                                        ; =>    This Inner Loop Header: Depth=3
	s_waitcnt lgkmcnt(0)
	v_add_f64 v[21:22], v[18:19], v[15:16]
	ds_cmpstore_rtn_b64 v[21:22], v20, v[21:22], v[18:19] offset:8
	s_waitcnt lgkmcnt(0)
	v_cmp_eq_u64_e32 vcc_lo, v[21:22], v[18:19]
	v_dual_mov_b32 v18, v21 :: v_dual_mov_b32 v19, v22
	s_or_b32 s17, vcc_lo, s17
	s_delay_alu instid0(SALU_CYCLE_1)
	s_and_not1_b32 exec_lo, exec_lo, s17
	s_cbranch_execnz .LBB108_109
; %bb.110:                              ;   in Loop: Header=BB108_103 Depth=2
	s_or_b32 exec_lo, exec_lo, s17
	s_delay_alu instid0(SALU_CYCLE_1)
	s_xor_b32 s17, exec_lo, -1
.LBB108_111:                            ;   in Loop: Header=BB108_103 Depth=2
	s_or_b32 exec_lo, exec_lo, s16
	s_delay_alu instid0(SALU_CYCLE_1) | instskip(SKIP_1) | instid1(SALU_CYCLE_1)
	s_and_not1_b32 s14, s14, exec_lo
	s_and_b32 s16, s17, exec_lo
	s_or_b32 s14, s14, s16
.LBB108_112:                            ;   in Loop: Header=BB108_103 Depth=2
	s_or_b32 exec_lo, exec_lo, s15
	s_delay_alu instid0(SALU_CYCLE_1)
	s_and_b32 s14, s14, exec_lo
.LBB108_113:                            ;   in Loop: Header=BB108_103 Depth=2
	s_and_not1_saveexec_b32 s13, s13
	s_cbranch_execz .LBB108_102
; %bb.114:                              ;   in Loop: Header=BB108_103 Depth=2
	v_lshlrev_b32_e32 v18, 5, v17
	s_mov_b32 s15, 0
	s_delay_alu instid0(VALU_DEP_1)
	v_add_nc_u32_e32 v20, v40, v18
	ds_load_b64 v[18:19], v20 offset:8
.LBB108_115:                            ;   Parent Loop BB108_85 Depth=1
                                        ;     Parent Loop BB108_103 Depth=2
                                        ; =>    This Inner Loop Header: Depth=3
	s_waitcnt lgkmcnt(0)
	v_add_f64 v[21:22], v[18:19], v[15:16]
	ds_cmpstore_rtn_b64 v[21:22], v20, v[21:22], v[18:19] offset:8
	s_waitcnt lgkmcnt(0)
	v_cmp_eq_u64_e32 vcc_lo, v[21:22], v[18:19]
	v_dual_mov_b32 v18, v21 :: v_dual_mov_b32 v19, v22
	s_or_b32 s15, vcc_lo, s15
	s_delay_alu instid0(SALU_CYCLE_1)
	s_and_not1_b32 exec_lo, exec_lo, s15
	s_cbranch_execnz .LBB108_115
; %bb.116:                              ;   in Loop: Header=BB108_103 Depth=2
	s_or_b32 exec_lo, exec_lo, s15
	s_delay_alu instid0(SALU_CYCLE_1)
	s_and_not1_b32 s14, s14, exec_lo
	s_branch .LBB108_102
.LBB108_117:                            ;   in Loop: Header=BB108_85 Depth=1
	s_or_b32 exec_lo, exec_lo, s12
	v_mul_f64 v[13:14], v[4:5], v[13:14]
	v_dual_mov_b32 v16, v11 :: v_dual_mov_b32 v15, v10
	s_mov_b32 s12, 0
	s_branch .LBB108_119
.LBB108_118:                            ;   in Loop: Header=BB108_119 Depth=2
	s_or_b32 exec_lo, exec_lo, s13
	s_xor_b32 s13, s14, -1
	s_delay_alu instid0(SALU_CYCLE_1) | instskip(NEXT) | instid1(SALU_CYCLE_1)
	s_and_b32 s13, exec_lo, s13
	s_or_b32 s12, s13, s12
	s_delay_alu instid0(SALU_CYCLE_1)
	s_and_not1_b32 exec_lo, exec_lo, s12
	s_cbranch_execz .LBB108_133
.LBB108_119:                            ;   Parent Loop BB108_85 Depth=1
                                        ; =>  This Loop Header: Depth=2
                                        ;       Child Loop BB108_125 Depth 3
                                        ;       Child Loop BB108_131 Depth 3
	s_delay_alu instid0(VALU_DEP_1)
	v_lshl_add_u32 v18, v15, 3, v38
	s_mov_b32 s13, exec_lo
                                        ; implicit-def: $sgpr14
	ds_load_b64 v[16:17], v18
	s_waitcnt lgkmcnt(0)
	v_cmpx_ne_u64_e64 v[16:17], v[8:9]
	s_xor_b32 s13, exec_lo, s13
	s_cbranch_execz .LBB108_129
; %bb.120:                              ;   in Loop: Header=BB108_119 Depth=2
	s_mov_b32 s15, exec_lo
                                        ; implicit-def: $sgpr14
	v_cmpx_ne_u64_e64 s[38:39], v[16:17]
	s_xor_b32 s15, exec_lo, s15
; %bb.121:                              ;   in Loop: Header=BB108_119 Depth=2
	v_add_nc_u32_e32 v15, 1, v15
	s_mov_b32 s14, -1
                                        ; implicit-def: $vgpr18
	s_delay_alu instid0(VALU_DEP_1)
	v_and_b32_e32 v15, 15, v15
; %bb.122:                              ;   in Loop: Header=BB108_119 Depth=2
	s_and_not1_saveexec_b32 s15, s15
	s_cbranch_execz .LBB108_128
; %bb.123:                              ;   in Loop: Header=BB108_119 Depth=2
	v_dual_mov_b32 v16, s38 :: v_dual_mov_b32 v17, s39
	s_mov_b32 s17, -1
	s_mov_b32 s16, exec_lo
	ds_cmpstore_rtn_b64 v[16:17], v18, v[8:9], v[16:17]
	s_waitcnt lgkmcnt(0)
	v_cmpx_eq_u64_e64 s[38:39], v[16:17]
	s_cbranch_execz .LBB108_127
; %bb.124:                              ;   in Loop: Header=BB108_119 Depth=2
	v_lshlrev_b32_e32 v16, 5, v15
	s_mov_b32 s17, 0
	s_delay_alu instid0(VALU_DEP_1)
	v_add_nc_u32_e32 v18, v40, v16
	ds_load_b64 v[16:17], v18 offset:16
.LBB108_125:                            ;   Parent Loop BB108_85 Depth=1
                                        ;     Parent Loop BB108_119 Depth=2
                                        ; =>    This Inner Loop Header: Depth=3
	s_waitcnt lgkmcnt(0)
	v_add_f64 v[19:20], v[16:17], v[13:14]
	ds_cmpstore_rtn_b64 v[19:20], v18, v[19:20], v[16:17] offset:16
	s_waitcnt lgkmcnt(0)
	v_cmp_eq_u64_e32 vcc_lo, v[19:20], v[16:17]
	v_dual_mov_b32 v16, v19 :: v_dual_mov_b32 v17, v20
	s_or_b32 s17, vcc_lo, s17
	s_delay_alu instid0(SALU_CYCLE_1)
	s_and_not1_b32 exec_lo, exec_lo, s17
	s_cbranch_execnz .LBB108_125
; %bb.126:                              ;   in Loop: Header=BB108_119 Depth=2
	s_or_b32 exec_lo, exec_lo, s17
	s_delay_alu instid0(SALU_CYCLE_1)
	s_xor_b32 s17, exec_lo, -1
.LBB108_127:                            ;   in Loop: Header=BB108_119 Depth=2
	s_or_b32 exec_lo, exec_lo, s16
	s_delay_alu instid0(SALU_CYCLE_1) | instskip(SKIP_1) | instid1(SALU_CYCLE_1)
	s_and_not1_b32 s14, s14, exec_lo
	s_and_b32 s16, s17, exec_lo
	s_or_b32 s14, s14, s16
.LBB108_128:                            ;   in Loop: Header=BB108_119 Depth=2
	s_or_b32 exec_lo, exec_lo, s15
	s_delay_alu instid0(SALU_CYCLE_1)
	s_and_b32 s14, s14, exec_lo
.LBB108_129:                            ;   in Loop: Header=BB108_119 Depth=2
	s_and_not1_saveexec_b32 s13, s13
	s_cbranch_execz .LBB108_118
; %bb.130:                              ;   in Loop: Header=BB108_119 Depth=2
	v_lshlrev_b32_e32 v16, 5, v15
	s_mov_b32 s15, 0
	s_delay_alu instid0(VALU_DEP_1)
	v_add_nc_u32_e32 v18, v40, v16
	ds_load_b64 v[16:17], v18 offset:16
.LBB108_131:                            ;   Parent Loop BB108_85 Depth=1
                                        ;     Parent Loop BB108_119 Depth=2
                                        ; =>    This Inner Loop Header: Depth=3
	s_waitcnt lgkmcnt(0)
	v_add_f64 v[19:20], v[16:17], v[13:14]
	ds_cmpstore_rtn_b64 v[19:20], v18, v[19:20], v[16:17] offset:16
	s_waitcnt lgkmcnt(0)
	v_cmp_eq_u64_e32 vcc_lo, v[19:20], v[16:17]
	v_dual_mov_b32 v16, v19 :: v_dual_mov_b32 v17, v20
	s_or_b32 s15, vcc_lo, s15
	s_delay_alu instid0(SALU_CYCLE_1)
	s_and_not1_b32 exec_lo, exec_lo, s15
	s_cbranch_execnz .LBB108_131
; %bb.132:                              ;   in Loop: Header=BB108_119 Depth=2
	s_or_b32 exec_lo, exec_lo, s15
	s_delay_alu instid0(SALU_CYCLE_1)
	s_and_not1_b32 s14, s14, exec_lo
	s_branch .LBB108_118
.LBB108_133:                            ;   in Loop: Header=BB108_85 Depth=1
	s_or_b32 exec_lo, exec_lo, s12
	v_mul_f64 v[11:12], v[4:5], v[11:12]
	s_mov_b32 s12, 0
	s_branch .LBB108_135
.LBB108_134:                            ;   in Loop: Header=BB108_135 Depth=2
	s_or_b32 exec_lo, exec_lo, s13
	s_xor_b32 s13, s14, -1
	s_delay_alu instid0(SALU_CYCLE_1) | instskip(NEXT) | instid1(SALU_CYCLE_1)
	s_and_b32 s13, exec_lo, s13
	s_or_b32 s12, s13, s12
	s_delay_alu instid0(SALU_CYCLE_1)
	s_and_not1_b32 exec_lo, exec_lo, s12
	s_cbranch_execz .LBB108_84
.LBB108_135:                            ;   Parent Loop BB108_85 Depth=1
                                        ; =>  This Loop Header: Depth=2
                                        ;       Child Loop BB108_141 Depth 3
                                        ;       Child Loop BB108_147 Depth 3
	v_lshl_add_u32 v15, v10, 3, v38
	s_mov_b32 s13, exec_lo
                                        ; implicit-def: $sgpr14
	ds_load_b64 v[13:14], v15
	s_waitcnt lgkmcnt(0)
	v_cmpx_ne_u64_e64 v[13:14], v[8:9]
	s_xor_b32 s13, exec_lo, s13
	s_cbranch_execz .LBB108_145
; %bb.136:                              ;   in Loop: Header=BB108_135 Depth=2
	s_mov_b32 s15, exec_lo
                                        ; implicit-def: $sgpr14
	v_cmpx_ne_u64_e64 s[38:39], v[13:14]
	s_xor_b32 s15, exec_lo, s15
; %bb.137:                              ;   in Loop: Header=BB108_135 Depth=2
	v_add_nc_u32_e32 v10, 1, v10
	s_mov_b32 s14, -1
                                        ; implicit-def: $vgpr15
	s_delay_alu instid0(VALU_DEP_1)
	v_and_b32_e32 v10, 15, v10
; %bb.138:                              ;   in Loop: Header=BB108_135 Depth=2
	s_and_not1_saveexec_b32 s15, s15
	s_cbranch_execz .LBB108_144
; %bb.139:                              ;   in Loop: Header=BB108_135 Depth=2
	v_dual_mov_b32 v13, s38 :: v_dual_mov_b32 v14, s39
	s_mov_b32 s17, -1
	s_mov_b32 s16, exec_lo
	ds_cmpstore_rtn_b64 v[13:14], v15, v[8:9], v[13:14]
	s_waitcnt lgkmcnt(0)
	v_cmpx_eq_u64_e64 s[38:39], v[13:14]
	s_cbranch_execz .LBB108_143
; %bb.140:                              ;   in Loop: Header=BB108_135 Depth=2
	v_lshlrev_b32_e32 v13, 5, v10
	s_mov_b32 s17, 0
	s_delay_alu instid0(VALU_DEP_1)
	v_add_nc_u32_e32 v15, v40, v13
	ds_load_b64 v[13:14], v15 offset:24
.LBB108_141:                            ;   Parent Loop BB108_85 Depth=1
                                        ;     Parent Loop BB108_135 Depth=2
                                        ; =>    This Inner Loop Header: Depth=3
	s_waitcnt lgkmcnt(0)
	v_add_f64 v[16:17], v[13:14], v[11:12]
	ds_cmpstore_rtn_b64 v[16:17], v15, v[16:17], v[13:14] offset:24
	s_waitcnt lgkmcnt(0)
	v_cmp_eq_u64_e32 vcc_lo, v[16:17], v[13:14]
	v_dual_mov_b32 v13, v16 :: v_dual_mov_b32 v14, v17
	s_or_b32 s17, vcc_lo, s17
	s_delay_alu instid0(SALU_CYCLE_1)
	s_and_not1_b32 exec_lo, exec_lo, s17
	s_cbranch_execnz .LBB108_141
; %bb.142:                              ;   in Loop: Header=BB108_135 Depth=2
	s_or_b32 exec_lo, exec_lo, s17
	s_delay_alu instid0(SALU_CYCLE_1)
	s_xor_b32 s17, exec_lo, -1
.LBB108_143:                            ;   in Loop: Header=BB108_135 Depth=2
	s_or_b32 exec_lo, exec_lo, s16
	s_delay_alu instid0(SALU_CYCLE_1) | instskip(SKIP_1) | instid1(SALU_CYCLE_1)
	s_and_not1_b32 s14, s14, exec_lo
	s_and_b32 s16, s17, exec_lo
	s_or_b32 s14, s14, s16
.LBB108_144:                            ;   in Loop: Header=BB108_135 Depth=2
	s_or_b32 exec_lo, exec_lo, s15
	s_delay_alu instid0(SALU_CYCLE_1)
	s_and_b32 s14, s14, exec_lo
.LBB108_145:                            ;   in Loop: Header=BB108_135 Depth=2
	s_and_not1_saveexec_b32 s13, s13
	s_cbranch_execz .LBB108_134
; %bb.146:                              ;   in Loop: Header=BB108_135 Depth=2
	v_lshlrev_b32_e32 v13, 5, v10
	s_mov_b32 s15, 0
	s_delay_alu instid0(VALU_DEP_1)
	v_add_nc_u32_e32 v15, v40, v13
	ds_load_b64 v[13:14], v15 offset:24
.LBB108_147:                            ;   Parent Loop BB108_85 Depth=1
                                        ;     Parent Loop BB108_135 Depth=2
                                        ; =>    This Inner Loop Header: Depth=3
	s_waitcnt lgkmcnt(0)
	v_add_f64 v[16:17], v[13:14], v[11:12]
	ds_cmpstore_rtn_b64 v[16:17], v15, v[16:17], v[13:14] offset:24
	s_waitcnt lgkmcnt(0)
	v_cmp_eq_u64_e32 vcc_lo, v[16:17], v[13:14]
	v_dual_mov_b32 v13, v16 :: v_dual_mov_b32 v14, v17
	s_or_b32 s15, vcc_lo, s15
	s_delay_alu instid0(SALU_CYCLE_1)
	s_and_not1_b32 exec_lo, exec_lo, s15
	s_cbranch_execnz .LBB108_147
; %bb.148:                              ;   in Loop: Header=BB108_135 Depth=2
	s_or_b32 exec_lo, exec_lo, s15
	s_delay_alu instid0(SALU_CYCLE_1)
	s_and_not1_b32 s14, s14, exec_lo
	s_branch .LBB108_134
.LBB108_149:
	s_or_b32 exec_lo, exec_lo, s2
.LBB108_150:
	buffer_gl0_inv
	ds_load_b64 v[0:1], v41
	s_waitcnt lgkmcnt(0)
	v_cmp_gt_i64_e32 vcc_lo, s[38:39], v[0:1]
	s_and_b32 exec_lo, exec_lo, vcc_lo
	s_cbranch_execz .LBB108_152
; %bb.151:
	v_add_co_u32 v2, vcc_lo, s10, v6
	v_add_co_ci_u32_e32 v3, vcc_lo, s11, v7, vcc_lo
	v_lshl_add_u32 v34, v39, 5, v40
	s_cmp_eq_u32 s0, 0
	s_cselect_b32 s0, 1, 2
	global_load_b64 v[41:42], v[2:3], off
	ds_load_b128 v[2:5], v38
	ds_load_b128 v[6:9], v38 offset:16
	ds_load_b128 v[10:13], v38 offset:32
	;; [unrolled: 1-line block ×7, first 2 shown]
	ds_load_2addr_b64 v[34:37], v34 offset1:3
	v_lshlrev_b32_e32 v43, 2, v39
	s_waitcnt lgkmcnt(8)
	v_cmp_gt_i64_e32 vcc_lo, v[0:1], v[2:3]
	v_cndmask_b32_e64 v2, 0, 1, vcc_lo
	s_waitcnt vmcnt(0)
	v_sub_co_u32 v3, vcc_lo, v41, s26
	v_subrev_co_ci_u32_e32 v41, vcc_lo, 0, v42, vcc_lo
	v_cmp_gt_i64_e32 vcc_lo, v[0:1], v[4:5]
	v_cndmask_b32_e64 v4, 0, 1, vcc_lo
	s_delay_alu instid0(VALU_DEP_4) | instskip(NEXT) | instid1(VALU_DEP_4)
	v_add_co_u32 v2, vcc_lo, v3, v2
	v_add_co_ci_u32_e32 v3, vcc_lo, 0, v41, vcc_lo
	s_waitcnt lgkmcnt(7)
	v_cmp_gt_i64_e32 vcc_lo, v[0:1], v[6:7]
	v_cndmask_b32_e64 v5, 0, 1, vcc_lo
	v_add_co_u32 v2, vcc_lo, v2, v4
	v_add_co_ci_u32_e32 v3, vcc_lo, 0, v3, vcc_lo
	v_cmp_gt_i64_e32 vcc_lo, v[0:1], v[8:9]
	v_cndmask_b32_e64 v4, 0, 1, vcc_lo
	s_delay_alu instid0(VALU_DEP_4) | instskip(NEXT) | instid1(VALU_DEP_4)
	v_add_co_u32 v2, vcc_lo, v2, v5
	v_add_co_ci_u32_e32 v3, vcc_lo, 0, v3, vcc_lo
	s_waitcnt lgkmcnt(6)
	v_cmp_gt_i64_e32 vcc_lo, v[0:1], v[10:11]
	v_cndmask_b32_e64 v5, 0, 1, vcc_lo
	v_add_co_u32 v2, vcc_lo, v2, v4
	v_add_co_ci_u32_e32 v3, vcc_lo, 0, v3, vcc_lo
	;; [unrolled: 10-line block ×7, first 2 shown]
	v_cmp_gt_i64_e32 vcc_lo, v[0:1], v[32:33]
	v_cndmask_b32_e64 v4, 0, 1, vcc_lo
	s_delay_alu instid0(VALU_DEP_4) | instskip(NEXT) | instid1(VALU_DEP_4)
	v_add_co_u32 v2, vcc_lo, v2, v5
	v_add_co_ci_u32_e32 v3, vcc_lo, 0, v3, vcc_lo
	s_delay_alu instid0(VALU_DEP_2)
	v_add_co_u32 v6, vcc_lo, v2, v4
	s_waitcnt lgkmcnt(0)
	v_mov_b32_e32 v2, v34
	v_or_b32_e32 v39, s0, v43
	s_cselect_b32 s0, 2, 1
	v_add_co_ci_u32_e32 v7, vcc_lo, 0, v3, vcc_lo
	v_or_b32_e32 v38, s0, v43
	s_delay_alu instid0(VALU_DEP_3) | instskip(SKIP_2) | instid1(VALU_DEP_4)
	v_lshl_add_u32 v39, v39, 3, v40
	v_mov_b32_e32 v3, v35
	v_add_co_u32 v0, vcc_lo, v0, s26
	v_lshl_add_u32 v8, v38, 3, v40
	ds_load_b64 v[4:5], v39
	ds_load_b64 v[34:35], v8
	v_lshlrev_b64 v[8:9], 3, v[6:7]
	v_lshlrev_b64 v[6:7], 5, v[6:7]
	v_add_co_ci_u32_e32 v1, vcc_lo, 0, v1, vcc_lo
	s_delay_alu instid0(VALU_DEP_3) | instskip(NEXT) | instid1(VALU_DEP_4)
	v_add_co_u32 v8, vcc_lo, s28, v8
	v_add_co_ci_u32_e32 v9, vcc_lo, s29, v9, vcc_lo
	s_delay_alu instid0(VALU_DEP_4)
	v_add_co_u32 v6, vcc_lo, s30, v6
	v_add_co_ci_u32_e32 v7, vcc_lo, s31, v7, vcc_lo
	global_store_b64 v[8:9], v[0:1], off
	s_waitcnt lgkmcnt(1)
	global_store_b128 v[6:7], v[2:5], off
	s_waitcnt lgkmcnt(0)
	global_store_b128 v[6:7], v[34:37], off offset:16
.LBB108_152:
	s_nop 0
	s_sendmsg sendmsg(MSG_DEALLOC_VGPRS)
	s_endpgm
	.section	.rodata,"a",@progbits
	.p2align	6, 0x0
	.amdhsa_kernel _ZN9rocsparseL27bsrgemm_fill_wf_per_row_2x2ILj256ELj16ELj16ELj137ElldEEv20rocsparse_direction_T4_S2_PKS2_S4_NS_24const_host_device_scalarIT5_EEPKT3_S4_PKS6_SA_S4_SC_S7_SA_S4_SC_SA_PS2_PS6_21rocsparse_index_base_SF_SF_SF_bbb
		.amdhsa_group_segment_fixed_size 10240
		.amdhsa_private_segment_fixed_size 0
		.amdhsa_kernarg_size 172
		.amdhsa_user_sgpr_count 15
		.amdhsa_user_sgpr_dispatch_ptr 0
		.amdhsa_user_sgpr_queue_ptr 0
		.amdhsa_user_sgpr_kernarg_segment_ptr 1
		.amdhsa_user_sgpr_dispatch_id 0
		.amdhsa_user_sgpr_private_segment_size 0
		.amdhsa_wavefront_size32 1
		.amdhsa_uses_dynamic_stack 0
		.amdhsa_enable_private_segment 0
		.amdhsa_system_sgpr_workgroup_id_x 1
		.amdhsa_system_sgpr_workgroup_id_y 0
		.amdhsa_system_sgpr_workgroup_id_z 0
		.amdhsa_system_sgpr_workgroup_info 0
		.amdhsa_system_vgpr_workitem_id 0
		.amdhsa_next_free_vgpr 45
		.amdhsa_next_free_sgpr 48
		.amdhsa_reserve_vcc 1
		.amdhsa_float_round_mode_32 0
		.amdhsa_float_round_mode_16_64 0
		.amdhsa_float_denorm_mode_32 3
		.amdhsa_float_denorm_mode_16_64 3
		.amdhsa_dx10_clamp 1
		.amdhsa_ieee_mode 1
		.amdhsa_fp16_overflow 0
		.amdhsa_workgroup_processor_mode 1
		.amdhsa_memory_ordered 1
		.amdhsa_forward_progress 0
		.amdhsa_shared_vgpr_count 0
		.amdhsa_exception_fp_ieee_invalid_op 0
		.amdhsa_exception_fp_denorm_src 0
		.amdhsa_exception_fp_ieee_div_zero 0
		.amdhsa_exception_fp_ieee_overflow 0
		.amdhsa_exception_fp_ieee_underflow 0
		.amdhsa_exception_fp_ieee_inexact 0
		.amdhsa_exception_int_div_zero 0
	.end_amdhsa_kernel
	.section	.text._ZN9rocsparseL27bsrgemm_fill_wf_per_row_2x2ILj256ELj16ELj16ELj137ElldEEv20rocsparse_direction_T4_S2_PKS2_S4_NS_24const_host_device_scalarIT5_EEPKT3_S4_PKS6_SA_S4_SC_S7_SA_S4_SC_SA_PS2_PS6_21rocsparse_index_base_SF_SF_SF_bbb,"axG",@progbits,_ZN9rocsparseL27bsrgemm_fill_wf_per_row_2x2ILj256ELj16ELj16ELj137ElldEEv20rocsparse_direction_T4_S2_PKS2_S4_NS_24const_host_device_scalarIT5_EEPKT3_S4_PKS6_SA_S4_SC_S7_SA_S4_SC_SA_PS2_PS6_21rocsparse_index_base_SF_SF_SF_bbb,comdat
.Lfunc_end108:
	.size	_ZN9rocsparseL27bsrgemm_fill_wf_per_row_2x2ILj256ELj16ELj16ELj137ElldEEv20rocsparse_direction_T4_S2_PKS2_S4_NS_24const_host_device_scalarIT5_EEPKT3_S4_PKS6_SA_S4_SC_S7_SA_S4_SC_SA_PS2_PS6_21rocsparse_index_base_SF_SF_SF_bbb, .Lfunc_end108-_ZN9rocsparseL27bsrgemm_fill_wf_per_row_2x2ILj256ELj16ELj16ELj137ElldEEv20rocsparse_direction_T4_S2_PKS2_S4_NS_24const_host_device_scalarIT5_EEPKT3_S4_PKS6_SA_S4_SC_S7_SA_S4_SC_SA_PS2_PS6_21rocsparse_index_base_SF_SF_SF_bbb
                                        ; -- End function
	.section	.AMDGPU.csdata,"",@progbits
; Kernel info:
; codeLenInByte = 5644
; NumSgprs: 50
; NumVgprs: 45
; ScratchSize: 0
; MemoryBound: 0
; FloatMode: 240
; IeeeMode: 1
; LDSByteSize: 10240 bytes/workgroup (compile time only)
; SGPRBlocks: 6
; VGPRBlocks: 5
; NumSGPRsForWavesPerEU: 50
; NumVGPRsForWavesPerEU: 45
; Occupancy: 16
; WaveLimiterHint : 1
; COMPUTE_PGM_RSRC2:SCRATCH_EN: 0
; COMPUTE_PGM_RSRC2:USER_SGPR: 15
; COMPUTE_PGM_RSRC2:TRAP_HANDLER: 0
; COMPUTE_PGM_RSRC2:TGID_X_EN: 1
; COMPUTE_PGM_RSRC2:TGID_Y_EN: 0
; COMPUTE_PGM_RSRC2:TGID_Z_EN: 0
; COMPUTE_PGM_RSRC2:TIDIG_COMP_CNT: 0
	.section	.text._ZN9rocsparseL27bsrgemm_fill_wf_per_row_2x2ILj256ELj16ELj32ELj137ElldEEv20rocsparse_direction_T4_S2_PKS2_S4_NS_24const_host_device_scalarIT5_EEPKT3_S4_PKS6_SA_S4_SC_S7_SA_S4_SC_SA_PS2_PS6_21rocsparse_index_base_SF_SF_SF_bbb,"axG",@progbits,_ZN9rocsparseL27bsrgemm_fill_wf_per_row_2x2ILj256ELj16ELj32ELj137ElldEEv20rocsparse_direction_T4_S2_PKS2_S4_NS_24const_host_device_scalarIT5_EEPKT3_S4_PKS6_SA_S4_SC_S7_SA_S4_SC_SA_PS2_PS6_21rocsparse_index_base_SF_SF_SF_bbb,comdat
	.globl	_ZN9rocsparseL27bsrgemm_fill_wf_per_row_2x2ILj256ELj16ELj32ELj137ElldEEv20rocsparse_direction_T4_S2_PKS2_S4_NS_24const_host_device_scalarIT5_EEPKT3_S4_PKS6_SA_S4_SC_S7_SA_S4_SC_SA_PS2_PS6_21rocsparse_index_base_SF_SF_SF_bbb ; -- Begin function _ZN9rocsparseL27bsrgemm_fill_wf_per_row_2x2ILj256ELj16ELj32ELj137ElldEEv20rocsparse_direction_T4_S2_PKS2_S4_NS_24const_host_device_scalarIT5_EEPKT3_S4_PKS6_SA_S4_SC_S7_SA_S4_SC_SA_PS2_PS6_21rocsparse_index_base_SF_SF_SF_bbb
	.p2align	8
	.type	_ZN9rocsparseL27bsrgemm_fill_wf_per_row_2x2ILj256ELj16ELj32ELj137ElldEEv20rocsparse_direction_T4_S2_PKS2_S4_NS_24const_host_device_scalarIT5_EEPKT3_S4_PKS6_SA_S4_SC_S7_SA_S4_SC_SA_PS2_PS6_21rocsparse_index_base_SF_SF_SF_bbb,@function
_ZN9rocsparseL27bsrgemm_fill_wf_per_row_2x2ILj256ELj16ELj32ELj137ElldEEv20rocsparse_direction_T4_S2_PKS2_S4_NS_24const_host_device_scalarIT5_EEPKT3_S4_PKS6_SA_S4_SC_S7_SA_S4_SC_SA_PS2_PS6_21rocsparse_index_base_SF_SF_SF_bbb: ; @_ZN9rocsparseL27bsrgemm_fill_wf_per_row_2x2ILj256ELj16ELj32ELj137ElldEEv20rocsparse_direction_T4_S2_PKS2_S4_NS_24const_host_device_scalarIT5_EEPKT3_S4_PKS6_SA_S4_SC_S7_SA_S4_SC_SA_PS2_PS6_21rocsparse_index_base_SF_SF_SF_bbb
; %bb.0:
	s_clause 0x3
	s_load_b32 s12, s[0:1], 0xa8
	s_load_b64 s[4:5], s[0:1], 0x28
	s_load_b128 s[24:27], s[0:1], 0x98
	s_load_b64 s[2:3], s[0:1], 0x60
	s_waitcnt lgkmcnt(0)
	s_and_b32 s6, 1, s12
	s_bitcmp1_b32 s12, 16
	s_cselect_b32 s14, -1, 0
	s_cmp_eq_u32 s6, 1
	s_cselect_b32 s13, -1, 0
	s_delay_alu instid0(SALU_CYCLE_1)
	s_and_b32 s6, s13, exec_lo
	s_cselect_b32 s7, s5, 0
	s_cselect_b32 s6, s4, 0
	s_xor_b32 s8, s13, -1
	v_dual_mov_b32 v9, s7 :: v_dual_mov_b32 v8, s6
	s_or_b32 s8, s8, s14
	s_delay_alu instid0(SALU_CYCLE_1)
	s_and_b32 vcc_lo, exec_lo, s8
	s_cbranch_vccnz .LBB109_2
; %bb.1:
	v_dual_mov_b32 v1, s4 :: v_dual_mov_b32 v2, s5
	flat_load_b64 v[8:9], v[1:2]
.LBB109_2:
	s_clause 0x4
	s_load_b128 s[28:31], s[0:1], 0x88
	s_load_b256 s[4:11], s[0:1], 0x68
	s_load_b128 s[40:43], s[0:1], 0x50
	s_load_b128 s[44:47], s[0:1], 0x18
	s_load_b256 s[16:23], s[0:1], 0x30
	s_bitcmp1_b32 s12, 8
	s_cselect_b32 s12, -1, 0
	s_delay_alu instid0(SALU_CYCLE_1)
	s_and_b32 s33, s12, exec_lo
	s_cselect_b32 s35, s3, 0
	s_cselect_b32 s34, s2, 0
	s_xor_b32 s33, s12, -1
	v_dual_mov_b32 v4, s34 :: v_dual_mov_b32 v5, s35
	s_or_b32 s14, s33, s14
	s_delay_alu instid0(SALU_CYCLE_1)
	s_and_b32 vcc_lo, exec_lo, s14
	s_cbranch_vccnz .LBB109_4
; %bb.3:
	v_dual_mov_b32 v1, s2 :: v_dual_mov_b32 v2, s3
	flat_load_b64 v[4:5], v[1:2]
.LBB109_4:
	s_load_b128 s[36:39], s[0:1], 0x8
	v_lshrrev_b32_e32 v2, 4, v0
	v_and_b32_e32 v41, 15, v0
	s_mov_b32 s2, 0
	s_delay_alu instid0(VALU_DEP_2) | instskip(NEXT) | instid1(VALU_DEP_2)
	v_lshlrev_b32_e32 v0, 8, v2
	v_lshlrev_b32_e32 v3, 3, v41
	s_delay_alu instid0(VALU_DEP_1) | instskip(NEXT) | instid1(VALU_DEP_1)
	v_or3_b32 v38, v0, v3, 0x4000
	v_mov_b32_e32 v6, v38
	v_or_b32_e32 v39, -16, v41
	s_waitcnt lgkmcnt(0)
	v_dual_mov_b32 v0, s38 :: v_dual_mov_b32 v1, s39
	s_delay_alu instid0(VALU_DEP_2)
	v_mov_b32_e32 v7, v39
.LBB109_5:                              ; =>This Inner Loop Header: Depth=1
	s_delay_alu instid0(VALU_DEP_1) | instskip(NEXT) | instid1(VALU_DEP_1)
	v_add_co_u32 v7, s3, v7, 16
	s_xor_b32 s3, s3, -1
	ds_store_b64 v6, v[0:1]
	v_add_nc_u32_e32 v6, 0x80, v6
	s_and_b32 s3, exec_lo, s3
	s_delay_alu instid0(SALU_CYCLE_1) | instskip(NEXT) | instid1(SALU_CYCLE_1)
	s_or_b32 s2, s3, s2
	s_and_not1_b32 exec_lo, exec_lo, s2
	s_cbranch_execnz .LBB109_5
; %bb.6:
	s_or_b32 exec_lo, exec_lo, s2
	v_mov_b32_e32 v0, 0
	v_lshlrev_b32_e32 v42, 10, v2
	v_mov_b32_e32 v6, v39
	s_mov_b32 s2, 0
	s_delay_alu instid0(VALU_DEP_3) | instskip(NEXT) | instid1(VALU_DEP_3)
	v_mov_b32_e32 v1, v0
	v_or_b32_e32 v3, v42, v3
.LBB109_7:                              ; =>This Inner Loop Header: Depth=1
	s_delay_alu instid0(VALU_DEP_3) | instskip(SKIP_4) | instid1(SALU_CYCLE_1)
	v_add_nc_u32_e32 v6, 16, v6
	ds_store_b64 v3, v[0:1]
	v_add_nc_u32_e32 v3, 0x80, v3
	v_cmp_lt_u32_e32 vcc_lo, 0x6f, v6
	s_or_b32 s2, vcc_lo, s2
	s_and_not1_b32 exec_lo, exec_lo, s2
	s_cbranch_execnz .LBB109_7
; %bb.8:
	s_or_b32 exec_lo, exec_lo, s2
	v_lshl_or_b32 v0, s15, 4, v2
	v_mov_b32_e32 v1, 0
	s_waitcnt vmcnt(0) lgkmcnt(0)
	s_barrier
	buffer_gl0_inv
	s_mov_b32 s2, exec_lo
	v_cmpx_gt_i64_e64 s[36:37], v[0:1]
	s_cbranch_execz .LBB109_156
; %bb.9:
	s_cmp_eq_u64 s[46:47], 0
	s_cbranch_scc1 .LBB109_11
; %bb.10:
	s_load_b64 s[2:3], s[44:45], 0x0
	v_lshlrev_b64 v[0:1], 3, v[0:1]
	s_waitcnt lgkmcnt(0)
	s_lshl_b64 s[2:3], s[2:3], 3
	s_delay_alu instid0(SALU_CYCLE_1) | instskip(SKIP_1) | instid1(VALU_DEP_1)
	s_add_u32 s2, s46, s2
	s_addc_u32 s3, s47, s3
	v_add_co_u32 v0, vcc_lo, s2, v0
	v_add_co_ci_u32_e32 v1, vcc_lo, s3, v1, vcc_lo
	global_load_b64 v[0:1], v[0:1], off
.LBB109_11:
	s_load_b32 s0, s[0:1], 0x0
	s_waitcnt vmcnt(0)
	v_lshlrev_b64 v[6:7], 3, v[0:1]
	v_lshl_or_b32 v40, v2, 8, 0x4000
	s_and_not1_b32 vcc_lo, exec_lo, s13
	s_cbranch_vccnz .LBB109_83
; %bb.12:
	s_delay_alu instid0(VALU_DEP_2) | instskip(NEXT) | instid1(VALU_DEP_3)
	v_add_co_u32 v0, vcc_lo, s16, v6
	v_add_co_ci_u32_e32 v1, vcc_lo, s17, v7, vcc_lo
	v_sub_co_u32 v12, s1, v41, s24
	s_delay_alu instid0(VALU_DEP_1)
	v_sub_co_ci_u32_e64 v13, null, 0, 0, s1
	global_load_b128 v[0:3], v[0:1], off
	s_mov_b32 s2, 0
	s_mov_b32 s1, exec_lo
	s_waitcnt vmcnt(0)
	v_sub_co_u32 v10, vcc_lo, v2, s24
	v_subrev_co_ci_u32_e32 v11, vcc_lo, 0, v3, vcc_lo
	v_add_co_u32 v12, vcc_lo, v0, v12
	v_add_co_ci_u32_e32 v13, vcc_lo, v1, v13, vcc_lo
	s_delay_alu instid0(VALU_DEP_1)
	v_cmpx_lt_i64_e64 v[12:13], v[10:11]
	s_cbranch_execz .LBB109_82
; %bb.13:
	s_waitcnt lgkmcnt(0)
	s_cmp_eq_u32 s0, 0
	s_mov_b32 s3, s25
	s_cselect_b32 s13, 1, 2
	s_cselect_b32 s14, 2, 1
	s_branch .LBB109_15
.LBB109_14:                             ;   in Loop: Header=BB109_15 Depth=1
	s_or_b32 exec_lo, exec_lo, s15
	v_add_co_u32 v12, vcc_lo, v12, 16
	v_add_co_ci_u32_e32 v13, vcc_lo, 0, v13, vcc_lo
	s_delay_alu instid0(VALU_DEP_1) | instskip(SKIP_1) | instid1(SALU_CYCLE_1)
	v_cmp_ge_i64_e32 vcc_lo, v[12:13], v[10:11]
	s_or_b32 s2, vcc_lo, s2
	s_and_not1_b32 exec_lo, exec_lo, s2
	s_cbranch_execz .LBB109_82
.LBB109_15:                             ; =>This Loop Header: Depth=1
                                        ;     Child Loop BB109_18 Depth 2
                                        ;       Child Loop BB109_20 Depth 3
                                        ;         Child Loop BB109_26 Depth 4
                                        ;         Child Loop BB109_32 Depth 4
                                        ;       Child Loop BB109_36 Depth 3
                                        ;         Child Loop BB109_42 Depth 4
                                        ;         Child Loop BB109_48 Depth 4
	;; [unrolled: 3-line block ×4, first 2 shown]
	v_lshlrev_b64 v[0:1], 3, v[12:13]
	s_mov_b32 s15, exec_lo
	s_delay_alu instid0(VALU_DEP_1) | instskip(NEXT) | instid1(VALU_DEP_2)
	v_add_co_u32 v0, vcc_lo, s18, v0
	v_add_co_ci_u32_e32 v1, vcc_lo, s19, v1, vcc_lo
	global_load_b64 v[0:1], v[0:1], off
	s_waitcnt vmcnt(0)
	v_sub_co_u32 v0, vcc_lo, v0, s24
	v_subrev_co_ci_u32_e32 v1, vcc_lo, 0, v1, vcc_lo
	s_delay_alu instid0(VALU_DEP_1) | instskip(NEXT) | instid1(VALU_DEP_1)
	v_lshlrev_b64 v[0:1], 3, v[0:1]
	v_add_co_u32 v0, vcc_lo, s22, v0
	s_delay_alu instid0(VALU_DEP_2)
	v_add_co_ci_u32_e32 v1, vcc_lo, s23, v1, vcc_lo
	global_load_b128 v[0:3], v[0:1], off
	s_waitcnt vmcnt(0)
	v_cmpx_lt_i64_e64 v[0:1], v[2:3]
	s_cbranch_execz .LBB109_14
; %bb.16:                               ;   in Loop: Header=BB109_15 Depth=1
	v_lshlrev_b64 v[14:15], 2, v[12:13]
	v_lshlrev_b64 v[18:19], 5, v[12:13]
	s_mov_b32 s16, 0
	s_delay_alu instid0(VALU_DEP_2) | instskip(NEXT) | instid1(VALU_DEP_3)
	v_or_b32_e32 v17, 0, v15
	v_or_b32_e32 v16, s14, v14
	;; [unrolled: 1-line block ×4, first 2 shown]
	v_add_co_u32 v18, vcc_lo, s20, v18
	s_delay_alu instid0(VALU_DEP_4) | instskip(SKIP_1) | instid1(VALU_DEP_4)
	v_lshlrev_b64 v[16:17], 3, v[16:17]
	v_add_co_ci_u32_e32 v19, vcc_lo, s21, v19, vcc_lo
	v_lshlrev_b64 v[14:15], 3, v[14:15]
	s_delay_alu instid0(VALU_DEP_3) | instskip(NEXT) | instid1(VALU_DEP_4)
	v_add_co_u32 v16, vcc_lo, s20, v16
	v_add_co_ci_u32_e32 v17, vcc_lo, s21, v17, vcc_lo
	s_delay_alu instid0(VALU_DEP_3) | instskip(NEXT) | instid1(VALU_DEP_4)
	v_add_co_u32 v14, vcc_lo, s20, v14
	v_add_co_ci_u32_e32 v15, vcc_lo, s21, v15, vcc_lo
	s_clause 0x3
	global_load_b64 v[20:21], v[18:19], off offset:24
	global_load_b64 v[16:17], v[16:17], off
	global_load_b64 v[22:23], v[14:15], off
	;; [unrolled: 1-line block ×3, first 2 shown]
	v_sub_co_u32 v2, vcc_lo, v2, s3
	v_subrev_co_ci_u32_e32 v3, vcc_lo, 0, v3, vcc_lo
	v_sub_co_u32 v0, vcc_lo, v0, s3
	v_subrev_co_ci_u32_e32 v1, vcc_lo, 0, v1, vcc_lo
	s_waitcnt vmcnt(3)
	v_mul_f64 v[14:15], v[8:9], v[20:21]
	s_waitcnt vmcnt(2)
	v_mul_f64 v[16:17], v[8:9], v[16:17]
	;; [unrolled: 2-line block ×4, first 2 shown]
	s_branch .LBB109_18
.LBB109_17:                             ;   in Loop: Header=BB109_18 Depth=2
	s_or_b32 exec_lo, exec_lo, s17
	v_add_co_u32 v0, vcc_lo, v0, 1
	v_add_co_ci_u32_e32 v1, vcc_lo, 0, v1, vcc_lo
	s_delay_alu instid0(VALU_DEP_1) | instskip(SKIP_1) | instid1(SALU_CYCLE_1)
	v_cmp_ge_i64_e32 vcc_lo, v[0:1], v[2:3]
	s_or_b32 s16, vcc_lo, s16
	s_and_not1_b32 exec_lo, exec_lo, s16
	s_cbranch_execz .LBB109_14
.LBB109_18:                             ;   Parent Loop BB109_15 Depth=1
                                        ; =>  This Loop Header: Depth=2
                                        ;       Child Loop BB109_20 Depth 3
                                        ;         Child Loop BB109_26 Depth 4
                                        ;         Child Loop BB109_32 Depth 4
                                        ;       Child Loop BB109_36 Depth 3
                                        ;         Child Loop BB109_42 Depth 4
                                        ;         Child Loop BB109_48 Depth 4
	;; [unrolled: 3-line block ×4, first 2 shown]
	v_lshlrev_b64 v[22:23], 2, v[0:1]
	s_mov_b32 s17, 0
	s_delay_alu instid0(VALU_DEP_1) | instskip(NEXT) | instid1(VALU_DEP_2)
	v_or_b32_e32 v25, 0, v23
	v_or_b32_e32 v24, s14, v22
	;; [unrolled: 1-line block ×4, first 2 shown]
	s_delay_alu instid0(VALU_DEP_3) | instskip(NEXT) | instid1(VALU_DEP_2)
	v_lshlrev_b64 v[24:25], 3, v[24:25]
	v_lshlrev_b64 v[22:23], 3, v[22:23]
	s_delay_alu instid0(VALU_DEP_2) | instskip(NEXT) | instid1(VALU_DEP_3)
	v_add_co_u32 v24, vcc_lo, s42, v24
	v_add_co_ci_u32_e32 v25, vcc_lo, s43, v25, vcc_lo
	global_load_b64 v[29:30], v[24:25], off
	v_lshlrev_b64 v[24:25], 5, v[0:1]
	s_delay_alu instid0(VALU_DEP_1) | instskip(NEXT) | instid1(VALU_DEP_2)
	v_add_co_u32 v27, vcc_lo, s42, v24
	v_add_co_ci_u32_e32 v28, vcc_lo, s43, v25, vcc_lo
	v_lshlrev_b64 v[24:25], 3, v[0:1]
	global_load_b64 v[31:32], v[27:28], off
	v_add_co_u32 v24, vcc_lo, s40, v24
	v_add_co_ci_u32_e32 v25, vcc_lo, s41, v25, vcc_lo
	v_add_co_u32 v22, vcc_lo, s42, v22
	v_add_co_ci_u32_e32 v23, vcc_lo, s43, v23, vcc_lo
	global_load_b64 v[35:36], v[24:25], off
	s_clause 0x1
	global_load_b64 v[25:26], v[22:23], off
	global_load_b64 v[27:28], v[27:28], off offset:24
	s_waitcnt vmcnt(4)
	v_mul_f64 v[22:23], v[20:21], v[29:30]
	s_waitcnt vmcnt(3)
	s_delay_alu instid0(VALU_DEP_1) | instskip(SKIP_3) | instid1(VALU_DEP_2)
	v_fma_f64 v[33:34], v[18:19], v[31:32], v[22:23]
	s_waitcnt vmcnt(2)
	v_sub_co_u32 v22, vcc_lo, v35, s3
	v_subrev_co_ci_u32_e32 v23, vcc_lo, 0, v36, vcc_lo
	v_lshl_add_u32 v24, v22, 3, v22
	s_delay_alu instid0(VALU_DEP_1) | instskip(SKIP_1) | instid1(VALU_DEP_1)
	v_and_b32_e32 v24, 31, v24
	s_waitcnt vmcnt(1)
	v_dual_mov_b32 v36, v25 :: v_dual_mov_b32 v35, v24
	s_branch .LBB109_20
.LBB109_19:                             ;   in Loop: Header=BB109_20 Depth=3
	s_or_b32 exec_lo, exec_lo, s25
	s_xor_b32 s25, s33, -1
	s_delay_alu instid0(SALU_CYCLE_1) | instskip(NEXT) | instid1(SALU_CYCLE_1)
	s_and_b32 s25, exec_lo, s25
	s_or_b32 s17, s25, s17
	s_delay_alu instid0(SALU_CYCLE_1)
	s_and_not1_b32 exec_lo, exec_lo, s17
	s_cbranch_execz .LBB109_34
.LBB109_20:                             ;   Parent Loop BB109_15 Depth=1
                                        ;     Parent Loop BB109_18 Depth=2
                                        ; =>    This Loop Header: Depth=3
                                        ;         Child Loop BB109_26 Depth 4
                                        ;         Child Loop BB109_32 Depth 4
	s_delay_alu instid0(VALU_DEP_1)
	v_lshl_add_u32 v43, v35, 3, v40
	s_mov_b32 s25, exec_lo
                                        ; implicit-def: $sgpr33
	ds_load_b64 v[36:37], v43
	s_waitcnt lgkmcnt(0)
	v_cmpx_ne_u64_e64 v[36:37], v[22:23]
	s_xor_b32 s25, exec_lo, s25
	s_cbranch_execz .LBB109_30
; %bb.21:                               ;   in Loop: Header=BB109_20 Depth=3
	s_mov_b32 s34, exec_lo
                                        ; implicit-def: $sgpr33
	v_cmpx_ne_u64_e64 s[38:39], v[36:37]
	s_xor_b32 s34, exec_lo, s34
; %bb.22:                               ;   in Loop: Header=BB109_20 Depth=3
	v_add_nc_u32_e32 v35, 1, v35
	s_mov_b32 s33, -1
                                        ; implicit-def: $vgpr43
	s_delay_alu instid0(VALU_DEP_1)
	v_and_b32_e32 v35, 31, v35
; %bb.23:                               ;   in Loop: Header=BB109_20 Depth=3
	s_and_not1_saveexec_b32 s34, s34
	s_cbranch_execz .LBB109_29
; %bb.24:                               ;   in Loop: Header=BB109_20 Depth=3
	v_dual_mov_b32 v36, s38 :: v_dual_mov_b32 v37, s39
	s_mov_b32 s36, -1
	s_mov_b32 s35, exec_lo
	ds_cmpstore_rtn_b64 v[36:37], v43, v[22:23], v[36:37]
	s_waitcnt lgkmcnt(0)
	v_cmpx_eq_u64_e64 s[38:39], v[36:37]
	s_cbranch_execz .LBB109_28
; %bb.25:                               ;   in Loop: Header=BB109_20 Depth=3
	v_lshlrev_b32_e32 v36, 5, v35
	s_mov_b32 s36, 0
	s_delay_alu instid0(VALU_DEP_1)
	v_add_nc_u32_e32 v43, v42, v36
	ds_load_b64 v[36:37], v43
.LBB109_26:                             ;   Parent Loop BB109_15 Depth=1
                                        ;     Parent Loop BB109_18 Depth=2
                                        ;       Parent Loop BB109_20 Depth=3
                                        ; =>      This Inner Loop Header: Depth=4
	s_waitcnt lgkmcnt(0)
	v_add_f64 v[44:45], v[36:37], v[33:34]
	ds_cmpstore_rtn_b64 v[44:45], v43, v[44:45], v[36:37]
	s_waitcnt lgkmcnt(0)
	v_cmp_eq_u64_e32 vcc_lo, v[44:45], v[36:37]
	v_dual_mov_b32 v36, v44 :: v_dual_mov_b32 v37, v45
	s_or_b32 s36, vcc_lo, s36
	s_delay_alu instid0(SALU_CYCLE_1)
	s_and_not1_b32 exec_lo, exec_lo, s36
	s_cbranch_execnz .LBB109_26
; %bb.27:                               ;   in Loop: Header=BB109_20 Depth=3
	s_or_b32 exec_lo, exec_lo, s36
	s_delay_alu instid0(SALU_CYCLE_1)
	s_xor_b32 s36, exec_lo, -1
.LBB109_28:                             ;   in Loop: Header=BB109_20 Depth=3
	s_or_b32 exec_lo, exec_lo, s35
	s_delay_alu instid0(SALU_CYCLE_1) | instskip(SKIP_1) | instid1(SALU_CYCLE_1)
	s_and_not1_b32 s33, s33, exec_lo
	s_and_b32 s35, s36, exec_lo
	s_or_b32 s33, s33, s35
.LBB109_29:                             ;   in Loop: Header=BB109_20 Depth=3
	s_or_b32 exec_lo, exec_lo, s34
	s_delay_alu instid0(SALU_CYCLE_1)
	s_and_b32 s33, s33, exec_lo
.LBB109_30:                             ;   in Loop: Header=BB109_20 Depth=3
	s_and_not1_saveexec_b32 s25, s25
	s_cbranch_execz .LBB109_19
; %bb.31:                               ;   in Loop: Header=BB109_20 Depth=3
	v_lshlrev_b32_e32 v36, 5, v35
	s_mov_b32 s34, 0
	s_delay_alu instid0(VALU_DEP_1)
	v_add_nc_u32_e32 v43, v42, v36
	ds_load_b64 v[36:37], v43
.LBB109_32:                             ;   Parent Loop BB109_15 Depth=1
                                        ;     Parent Loop BB109_18 Depth=2
                                        ;       Parent Loop BB109_20 Depth=3
                                        ; =>      This Inner Loop Header: Depth=4
	s_waitcnt lgkmcnt(0)
	v_add_f64 v[44:45], v[36:37], v[33:34]
	ds_cmpstore_rtn_b64 v[44:45], v43, v[44:45], v[36:37]
	s_waitcnt lgkmcnt(0)
	v_cmp_eq_u64_e32 vcc_lo, v[44:45], v[36:37]
	v_dual_mov_b32 v36, v44 :: v_dual_mov_b32 v37, v45
	s_or_b32 s34, vcc_lo, s34
	s_delay_alu instid0(SALU_CYCLE_1)
	s_and_not1_b32 exec_lo, exec_lo, s34
	s_cbranch_execnz .LBB109_32
; %bb.33:                               ;   in Loop: Header=BB109_20 Depth=3
	s_or_b32 exec_lo, exec_lo, s34
	s_delay_alu instid0(SALU_CYCLE_1)
	s_and_not1_b32 s33, s33, exec_lo
	s_branch .LBB109_19
.LBB109_34:                             ;   in Loop: Header=BB109_18 Depth=2
	s_or_b32 exec_lo, exec_lo, s17
	s_waitcnt vmcnt(0)
	v_mul_f64 v[33:34], v[20:21], v[27:28]
	v_dual_mov_b32 v36, v25 :: v_dual_mov_b32 v35, v24
	s_mov_b32 s17, 0
	s_delay_alu instid0(VALU_DEP_2)
	v_fma_f64 v[33:34], v[18:19], v[25:26], v[33:34]
	s_branch .LBB109_36
.LBB109_35:                             ;   in Loop: Header=BB109_36 Depth=3
	s_or_b32 exec_lo, exec_lo, s25
	s_xor_b32 s25, s33, -1
	s_delay_alu instid0(SALU_CYCLE_1) | instskip(NEXT) | instid1(SALU_CYCLE_1)
	s_and_b32 s25, exec_lo, s25
	s_or_b32 s17, s25, s17
	s_delay_alu instid0(SALU_CYCLE_1)
	s_and_not1_b32 exec_lo, exec_lo, s17
	s_cbranch_execz .LBB109_50
.LBB109_36:                             ;   Parent Loop BB109_15 Depth=1
                                        ;     Parent Loop BB109_18 Depth=2
                                        ; =>    This Loop Header: Depth=3
                                        ;         Child Loop BB109_42 Depth 4
                                        ;         Child Loop BB109_48 Depth 4
	s_delay_alu instid0(VALU_DEP_2)
	v_lshl_add_u32 v43, v35, 3, v40
	s_mov_b32 s25, exec_lo
                                        ; implicit-def: $sgpr33
	ds_load_b64 v[36:37], v43
	s_waitcnt lgkmcnt(0)
	v_cmpx_ne_u64_e64 v[36:37], v[22:23]
	s_xor_b32 s25, exec_lo, s25
	s_cbranch_execz .LBB109_46
; %bb.37:                               ;   in Loop: Header=BB109_36 Depth=3
	s_mov_b32 s34, exec_lo
                                        ; implicit-def: $sgpr33
	v_cmpx_ne_u64_e64 s[38:39], v[36:37]
	s_xor_b32 s34, exec_lo, s34
; %bb.38:                               ;   in Loop: Header=BB109_36 Depth=3
	v_add_nc_u32_e32 v35, 1, v35
	s_mov_b32 s33, -1
                                        ; implicit-def: $vgpr43
	s_delay_alu instid0(VALU_DEP_1)
	v_and_b32_e32 v35, 31, v35
; %bb.39:                               ;   in Loop: Header=BB109_36 Depth=3
	s_and_not1_saveexec_b32 s34, s34
	s_cbranch_execz .LBB109_45
; %bb.40:                               ;   in Loop: Header=BB109_36 Depth=3
	v_dual_mov_b32 v36, s38 :: v_dual_mov_b32 v37, s39
	s_mov_b32 s36, -1
	s_mov_b32 s35, exec_lo
	ds_cmpstore_rtn_b64 v[36:37], v43, v[22:23], v[36:37]
	s_waitcnt lgkmcnt(0)
	v_cmpx_eq_u64_e64 s[38:39], v[36:37]
	s_cbranch_execz .LBB109_44
; %bb.41:                               ;   in Loop: Header=BB109_36 Depth=3
	v_lshlrev_b32_e32 v36, 5, v35
	s_mov_b32 s36, 0
	s_delay_alu instid0(VALU_DEP_1)
	v_add_nc_u32_e32 v43, v42, v36
	ds_load_b64 v[36:37], v43 offset:8
.LBB109_42:                             ;   Parent Loop BB109_15 Depth=1
                                        ;     Parent Loop BB109_18 Depth=2
                                        ;       Parent Loop BB109_36 Depth=3
                                        ; =>      This Inner Loop Header: Depth=4
	s_waitcnt lgkmcnt(0)
	v_add_f64 v[44:45], v[36:37], v[33:34]
	ds_cmpstore_rtn_b64 v[44:45], v43, v[44:45], v[36:37] offset:8
	s_waitcnt lgkmcnt(0)
	v_cmp_eq_u64_e32 vcc_lo, v[44:45], v[36:37]
	v_dual_mov_b32 v36, v44 :: v_dual_mov_b32 v37, v45
	s_or_b32 s36, vcc_lo, s36
	s_delay_alu instid0(SALU_CYCLE_1)
	s_and_not1_b32 exec_lo, exec_lo, s36
	s_cbranch_execnz .LBB109_42
; %bb.43:                               ;   in Loop: Header=BB109_36 Depth=3
	s_or_b32 exec_lo, exec_lo, s36
	s_delay_alu instid0(SALU_CYCLE_1)
	s_xor_b32 s36, exec_lo, -1
.LBB109_44:                             ;   in Loop: Header=BB109_36 Depth=3
	s_or_b32 exec_lo, exec_lo, s35
	s_delay_alu instid0(SALU_CYCLE_1) | instskip(SKIP_1) | instid1(SALU_CYCLE_1)
	s_and_not1_b32 s33, s33, exec_lo
	s_and_b32 s35, s36, exec_lo
	s_or_b32 s33, s33, s35
.LBB109_45:                             ;   in Loop: Header=BB109_36 Depth=3
	s_or_b32 exec_lo, exec_lo, s34
	s_delay_alu instid0(SALU_CYCLE_1)
	s_and_b32 s33, s33, exec_lo
.LBB109_46:                             ;   in Loop: Header=BB109_36 Depth=3
	s_and_not1_saveexec_b32 s25, s25
	s_cbranch_execz .LBB109_35
; %bb.47:                               ;   in Loop: Header=BB109_36 Depth=3
	v_lshlrev_b32_e32 v36, 5, v35
	s_mov_b32 s34, 0
	s_delay_alu instid0(VALU_DEP_1)
	v_add_nc_u32_e32 v43, v42, v36
	ds_load_b64 v[36:37], v43 offset:8
.LBB109_48:                             ;   Parent Loop BB109_15 Depth=1
                                        ;     Parent Loop BB109_18 Depth=2
                                        ;       Parent Loop BB109_36 Depth=3
                                        ; =>      This Inner Loop Header: Depth=4
	s_waitcnt lgkmcnt(0)
	v_add_f64 v[44:45], v[36:37], v[33:34]
	ds_cmpstore_rtn_b64 v[44:45], v43, v[44:45], v[36:37] offset:8
	s_waitcnt lgkmcnt(0)
	v_cmp_eq_u64_e32 vcc_lo, v[44:45], v[36:37]
	v_dual_mov_b32 v36, v44 :: v_dual_mov_b32 v37, v45
	s_or_b32 s34, vcc_lo, s34
	s_delay_alu instid0(SALU_CYCLE_1)
	s_and_not1_b32 exec_lo, exec_lo, s34
	s_cbranch_execnz .LBB109_48
; %bb.49:                               ;   in Loop: Header=BB109_36 Depth=3
	s_or_b32 exec_lo, exec_lo, s34
	s_delay_alu instid0(SALU_CYCLE_1)
	s_and_not1_b32 s33, s33, exec_lo
	s_branch .LBB109_35
.LBB109_50:                             ;   in Loop: Header=BB109_18 Depth=2
	s_or_b32 exec_lo, exec_lo, s17
	v_mul_f64 v[29:30], v[14:15], v[29:30]
	s_mov_b32 s17, 0
	s_delay_alu instid0(VALU_DEP_1)
	v_fma_f64 v[29:30], v[16:17], v[31:32], v[29:30]
	v_dual_mov_b32 v32, v25 :: v_dual_mov_b32 v31, v24
	s_branch .LBB109_52
.LBB109_51:                             ;   in Loop: Header=BB109_52 Depth=3
	s_or_b32 exec_lo, exec_lo, s25
	s_xor_b32 s25, s33, -1
	s_delay_alu instid0(SALU_CYCLE_1) | instskip(NEXT) | instid1(SALU_CYCLE_1)
	s_and_b32 s25, exec_lo, s25
	s_or_b32 s17, s25, s17
	s_delay_alu instid0(SALU_CYCLE_1)
	s_and_not1_b32 exec_lo, exec_lo, s17
	s_cbranch_execz .LBB109_66
.LBB109_52:                             ;   Parent Loop BB109_15 Depth=1
                                        ;     Parent Loop BB109_18 Depth=2
                                        ; =>    This Loop Header: Depth=3
                                        ;         Child Loop BB109_58 Depth 4
                                        ;         Child Loop BB109_64 Depth 4
	s_delay_alu instid0(VALU_DEP_1)
	v_lshl_add_u32 v34, v31, 3, v40
	s_mov_b32 s25, exec_lo
                                        ; implicit-def: $sgpr33
	ds_load_b64 v[32:33], v34
	s_waitcnt lgkmcnt(0)
	v_cmpx_ne_u64_e64 v[32:33], v[22:23]
	s_xor_b32 s25, exec_lo, s25
	s_cbranch_execz .LBB109_62
; %bb.53:                               ;   in Loop: Header=BB109_52 Depth=3
	s_mov_b32 s34, exec_lo
                                        ; implicit-def: $sgpr33
	v_cmpx_ne_u64_e64 s[38:39], v[32:33]
	s_xor_b32 s34, exec_lo, s34
; %bb.54:                               ;   in Loop: Header=BB109_52 Depth=3
	v_add_nc_u32_e32 v31, 1, v31
	s_mov_b32 s33, -1
                                        ; implicit-def: $vgpr34
	s_delay_alu instid0(VALU_DEP_1)
	v_and_b32_e32 v31, 31, v31
; %bb.55:                               ;   in Loop: Header=BB109_52 Depth=3
	s_and_not1_saveexec_b32 s34, s34
	s_cbranch_execz .LBB109_61
; %bb.56:                               ;   in Loop: Header=BB109_52 Depth=3
	v_dual_mov_b32 v32, s38 :: v_dual_mov_b32 v33, s39
	s_mov_b32 s36, -1
	s_mov_b32 s35, exec_lo
	ds_cmpstore_rtn_b64 v[32:33], v34, v[22:23], v[32:33]
	s_waitcnt lgkmcnt(0)
	v_cmpx_eq_u64_e64 s[38:39], v[32:33]
	s_cbranch_execz .LBB109_60
; %bb.57:                               ;   in Loop: Header=BB109_52 Depth=3
	v_lshlrev_b32_e32 v32, 5, v31
	s_mov_b32 s36, 0
	s_delay_alu instid0(VALU_DEP_1)
	v_add_nc_u32_e32 v34, v42, v32
	ds_load_b64 v[32:33], v34 offset:16
.LBB109_58:                             ;   Parent Loop BB109_15 Depth=1
                                        ;     Parent Loop BB109_18 Depth=2
                                        ;       Parent Loop BB109_52 Depth=3
                                        ; =>      This Inner Loop Header: Depth=4
	s_waitcnt lgkmcnt(0)
	v_add_f64 v[35:36], v[32:33], v[29:30]
	ds_cmpstore_rtn_b64 v[35:36], v34, v[35:36], v[32:33] offset:16
	s_waitcnt lgkmcnt(0)
	v_cmp_eq_u64_e32 vcc_lo, v[35:36], v[32:33]
	v_dual_mov_b32 v32, v35 :: v_dual_mov_b32 v33, v36
	s_or_b32 s36, vcc_lo, s36
	s_delay_alu instid0(SALU_CYCLE_1)
	s_and_not1_b32 exec_lo, exec_lo, s36
	s_cbranch_execnz .LBB109_58
; %bb.59:                               ;   in Loop: Header=BB109_52 Depth=3
	s_or_b32 exec_lo, exec_lo, s36
	s_delay_alu instid0(SALU_CYCLE_1)
	s_xor_b32 s36, exec_lo, -1
.LBB109_60:                             ;   in Loop: Header=BB109_52 Depth=3
	s_or_b32 exec_lo, exec_lo, s35
	s_delay_alu instid0(SALU_CYCLE_1) | instskip(SKIP_1) | instid1(SALU_CYCLE_1)
	s_and_not1_b32 s33, s33, exec_lo
	s_and_b32 s35, s36, exec_lo
	s_or_b32 s33, s33, s35
.LBB109_61:                             ;   in Loop: Header=BB109_52 Depth=3
	s_or_b32 exec_lo, exec_lo, s34
	s_delay_alu instid0(SALU_CYCLE_1)
	s_and_b32 s33, s33, exec_lo
.LBB109_62:                             ;   in Loop: Header=BB109_52 Depth=3
	s_and_not1_saveexec_b32 s25, s25
	s_cbranch_execz .LBB109_51
; %bb.63:                               ;   in Loop: Header=BB109_52 Depth=3
	v_lshlrev_b32_e32 v32, 5, v31
	s_mov_b32 s34, 0
	s_delay_alu instid0(VALU_DEP_1)
	v_add_nc_u32_e32 v34, v42, v32
	ds_load_b64 v[32:33], v34 offset:16
.LBB109_64:                             ;   Parent Loop BB109_15 Depth=1
                                        ;     Parent Loop BB109_18 Depth=2
                                        ;       Parent Loop BB109_52 Depth=3
                                        ; =>      This Inner Loop Header: Depth=4
	s_waitcnt lgkmcnt(0)
	v_add_f64 v[35:36], v[32:33], v[29:30]
	ds_cmpstore_rtn_b64 v[35:36], v34, v[35:36], v[32:33] offset:16
	s_waitcnt lgkmcnt(0)
	v_cmp_eq_u64_e32 vcc_lo, v[35:36], v[32:33]
	v_dual_mov_b32 v32, v35 :: v_dual_mov_b32 v33, v36
	s_or_b32 s34, vcc_lo, s34
	s_delay_alu instid0(SALU_CYCLE_1)
	s_and_not1_b32 exec_lo, exec_lo, s34
	s_cbranch_execnz .LBB109_64
; %bb.65:                               ;   in Loop: Header=BB109_52 Depth=3
	s_or_b32 exec_lo, exec_lo, s34
	s_delay_alu instid0(SALU_CYCLE_1)
	s_and_not1_b32 s33, s33, exec_lo
	s_branch .LBB109_51
.LBB109_66:                             ;   in Loop: Header=BB109_18 Depth=2
	s_or_b32 exec_lo, exec_lo, s17
	v_mul_f64 v[27:28], v[14:15], v[27:28]
	s_mov_b32 s17, 0
	s_delay_alu instid0(VALU_DEP_1)
	v_fma_f64 v[25:26], v[16:17], v[25:26], v[27:28]
	s_branch .LBB109_68
.LBB109_67:                             ;   in Loop: Header=BB109_68 Depth=3
	s_or_b32 exec_lo, exec_lo, s25
	s_xor_b32 s25, s33, -1
	s_delay_alu instid0(SALU_CYCLE_1) | instskip(NEXT) | instid1(SALU_CYCLE_1)
	s_and_b32 s25, exec_lo, s25
	s_or_b32 s17, s25, s17
	s_delay_alu instid0(SALU_CYCLE_1)
	s_and_not1_b32 exec_lo, exec_lo, s17
	s_cbranch_execz .LBB109_17
.LBB109_68:                             ;   Parent Loop BB109_15 Depth=1
                                        ;     Parent Loop BB109_18 Depth=2
                                        ; =>    This Loop Header: Depth=3
                                        ;         Child Loop BB109_74 Depth 4
                                        ;         Child Loop BB109_80 Depth 4
	v_lshl_add_u32 v29, v24, 3, v40
	s_mov_b32 s25, exec_lo
                                        ; implicit-def: $sgpr33
	ds_load_b64 v[27:28], v29
	s_waitcnt lgkmcnt(0)
	v_cmpx_ne_u64_e64 v[27:28], v[22:23]
	s_xor_b32 s25, exec_lo, s25
	s_cbranch_execz .LBB109_78
; %bb.69:                               ;   in Loop: Header=BB109_68 Depth=3
	s_mov_b32 s34, exec_lo
                                        ; implicit-def: $sgpr33
	v_cmpx_ne_u64_e64 s[38:39], v[27:28]
	s_xor_b32 s34, exec_lo, s34
; %bb.70:                               ;   in Loop: Header=BB109_68 Depth=3
	v_add_nc_u32_e32 v24, 1, v24
	s_mov_b32 s33, -1
                                        ; implicit-def: $vgpr29
	s_delay_alu instid0(VALU_DEP_1)
	v_and_b32_e32 v24, 31, v24
; %bb.71:                               ;   in Loop: Header=BB109_68 Depth=3
	s_and_not1_saveexec_b32 s34, s34
	s_cbranch_execz .LBB109_77
; %bb.72:                               ;   in Loop: Header=BB109_68 Depth=3
	v_dual_mov_b32 v27, s38 :: v_dual_mov_b32 v28, s39
	s_mov_b32 s36, -1
	s_mov_b32 s35, exec_lo
	ds_cmpstore_rtn_b64 v[27:28], v29, v[22:23], v[27:28]
	s_waitcnt lgkmcnt(0)
	v_cmpx_eq_u64_e64 s[38:39], v[27:28]
	s_cbranch_execz .LBB109_76
; %bb.73:                               ;   in Loop: Header=BB109_68 Depth=3
	v_lshlrev_b32_e32 v27, 5, v24
	s_mov_b32 s36, 0
	s_delay_alu instid0(VALU_DEP_1)
	v_add_nc_u32_e32 v29, v42, v27
	ds_load_b64 v[27:28], v29 offset:24
.LBB109_74:                             ;   Parent Loop BB109_15 Depth=1
                                        ;     Parent Loop BB109_18 Depth=2
                                        ;       Parent Loop BB109_68 Depth=3
                                        ; =>      This Inner Loop Header: Depth=4
	s_waitcnt lgkmcnt(0)
	v_add_f64 v[30:31], v[27:28], v[25:26]
	ds_cmpstore_rtn_b64 v[30:31], v29, v[30:31], v[27:28] offset:24
	s_waitcnt lgkmcnt(0)
	v_cmp_eq_u64_e32 vcc_lo, v[30:31], v[27:28]
	v_dual_mov_b32 v27, v30 :: v_dual_mov_b32 v28, v31
	s_or_b32 s36, vcc_lo, s36
	s_delay_alu instid0(SALU_CYCLE_1)
	s_and_not1_b32 exec_lo, exec_lo, s36
	s_cbranch_execnz .LBB109_74
; %bb.75:                               ;   in Loop: Header=BB109_68 Depth=3
	s_or_b32 exec_lo, exec_lo, s36
	s_delay_alu instid0(SALU_CYCLE_1)
	s_xor_b32 s36, exec_lo, -1
.LBB109_76:                             ;   in Loop: Header=BB109_68 Depth=3
	s_or_b32 exec_lo, exec_lo, s35
	s_delay_alu instid0(SALU_CYCLE_1) | instskip(SKIP_1) | instid1(SALU_CYCLE_1)
	s_and_not1_b32 s33, s33, exec_lo
	s_and_b32 s35, s36, exec_lo
	s_or_b32 s33, s33, s35
.LBB109_77:                             ;   in Loop: Header=BB109_68 Depth=3
	s_or_b32 exec_lo, exec_lo, s34
	s_delay_alu instid0(SALU_CYCLE_1)
	s_and_b32 s33, s33, exec_lo
.LBB109_78:                             ;   in Loop: Header=BB109_68 Depth=3
	s_and_not1_saveexec_b32 s25, s25
	s_cbranch_execz .LBB109_67
; %bb.79:                               ;   in Loop: Header=BB109_68 Depth=3
	v_lshlrev_b32_e32 v27, 5, v24
	s_mov_b32 s34, 0
	s_delay_alu instid0(VALU_DEP_1)
	v_add_nc_u32_e32 v29, v42, v27
	ds_load_b64 v[27:28], v29 offset:24
.LBB109_80:                             ;   Parent Loop BB109_15 Depth=1
                                        ;     Parent Loop BB109_18 Depth=2
                                        ;       Parent Loop BB109_68 Depth=3
                                        ; =>      This Inner Loop Header: Depth=4
	s_waitcnt lgkmcnt(0)
	v_add_f64 v[30:31], v[27:28], v[25:26]
	ds_cmpstore_rtn_b64 v[30:31], v29, v[30:31], v[27:28] offset:24
	s_waitcnt lgkmcnt(0)
	v_cmp_eq_u64_e32 vcc_lo, v[30:31], v[27:28]
	v_dual_mov_b32 v27, v30 :: v_dual_mov_b32 v28, v31
	s_or_b32 s34, vcc_lo, s34
	s_delay_alu instid0(SALU_CYCLE_1)
	s_and_not1_b32 exec_lo, exec_lo, s34
	s_cbranch_execnz .LBB109_80
; %bb.81:                               ;   in Loop: Header=BB109_68 Depth=3
	s_or_b32 exec_lo, exec_lo, s34
	s_delay_alu instid0(SALU_CYCLE_1)
	s_and_not1_b32 s33, s33, exec_lo
	s_branch .LBB109_67
.LBB109_82:
	s_or_b32 exec_lo, exec_lo, s1
.LBB109_83:
	s_delay_alu instid0(SALU_CYCLE_1)
	s_and_not1_b32 vcc_lo, exec_lo, s12
	s_waitcnt lgkmcnt(0)
	buffer_gl0_inv
	s_cbranch_vccnz .LBB109_152
; %bb.84:
	v_add_co_u32 v0, vcc_lo, s4, v6
	v_add_co_ci_u32_e32 v1, vcc_lo, s5, v7, vcc_lo
	v_sub_co_u32 v2, s1, v41, s27
	s_delay_alu instid0(VALU_DEP_1)
	v_sub_co_ci_u32_e64 v3, null, 0, 0, s1
	global_load_b128 v[8:11], v[0:1], off
	s_mov_b32 s1, 0
	s_mov_b32 s2, exec_lo
	s_waitcnt vmcnt(0)
	v_sub_co_u32 v0, vcc_lo, v10, s27
	v_subrev_co_ci_u32_e32 v1, vcc_lo, 0, v11, vcc_lo
	v_add_co_u32 v2, vcc_lo, v8, v2
	v_add_co_ci_u32_e32 v3, vcc_lo, v9, v3, vcc_lo
	s_delay_alu instid0(VALU_DEP_1)
	v_cmpx_lt_i64_e64 v[2:3], v[0:1]
	s_cbranch_execz .LBB109_151
; %bb.85:
	s_cmp_eq_u32 s0, 0
	s_mov_b32 s3, s27
	s_cselect_b32 s4, 1, 2
	s_cselect_b32 s5, 2, 1
	s_branch .LBB109_87
.LBB109_86:                             ;   in Loop: Header=BB109_87 Depth=1
	s_or_b32 exec_lo, exec_lo, s12
	v_add_co_u32 v2, vcc_lo, v2, 16
	v_add_co_ci_u32_e32 v3, vcc_lo, 0, v3, vcc_lo
	s_delay_alu instid0(VALU_DEP_1) | instskip(SKIP_1) | instid1(SALU_CYCLE_1)
	v_cmp_ge_i64_e32 vcc_lo, v[2:3], v[0:1]
	s_or_b32 s1, vcc_lo, s1
	s_and_not1_b32 exec_lo, exec_lo, s1
	s_cbranch_execz .LBB109_151
.LBB109_87:                             ; =>This Loop Header: Depth=1
                                        ;     Child Loop BB109_89 Depth 2
                                        ;       Child Loop BB109_95 Depth 3
                                        ;       Child Loop BB109_101 Depth 3
                                        ;     Child Loop BB109_105 Depth 2
                                        ;       Child Loop BB109_111 Depth 3
                                        ;       Child Loop BB109_117 Depth 3
	;; [unrolled: 3-line block ×4, first 2 shown]
	v_lshlrev_b64 v[8:9], 5, v[2:3]
	v_lshlrev_b64 v[10:11], 3, v[2:3]
	;; [unrolled: 1-line block ×3, first 2 shown]
	s_mov_b32 s12, 0
	s_delay_alu instid0(VALU_DEP_3) | instskip(NEXT) | instid1(VALU_DEP_4)
	v_add_co_u32 v8, vcc_lo, s8, v8
	v_add_co_ci_u32_e32 v9, vcc_lo, s9, v9, vcc_lo
	s_delay_alu instid0(VALU_DEP_4)
	v_add_co_u32 v10, vcc_lo, s6, v10
	v_add_co_ci_u32_e32 v11, vcc_lo, s7, v11, vcc_lo
	global_load_b64 v[17:18], v[8:9], off
	v_or_b32_e32 v15, 0, v13
	v_or_b32_e32 v14, s5, v12
	;; [unrolled: 1-line block ×4, first 2 shown]
	global_load_b64 v[19:20], v[10:11], off
	v_lshlrev_b64 v[10:11], 3, v[14:15]
	v_lshlrev_b64 v[12:13], 3, v[12:13]
	s_delay_alu instid0(VALU_DEP_2) | instskip(NEXT) | instid1(VALU_DEP_3)
	v_add_co_u32 v10, vcc_lo, s8, v10
	v_add_co_ci_u32_e32 v11, vcc_lo, s9, v11, vcc_lo
	s_delay_alu instid0(VALU_DEP_3) | instskip(NEXT) | instid1(VALU_DEP_4)
	v_add_co_u32 v15, vcc_lo, s8, v12
	v_add_co_ci_u32_e32 v16, vcc_lo, s9, v13, vcc_lo
	s_clause 0x2
	global_load_b64 v[13:14], v[10:11], off
	global_load_b64 v[15:16], v[15:16], off
	global_load_b64 v[11:12], v[8:9], off offset:24
	s_waitcnt vmcnt(4)
	v_mul_f64 v[17:18], v[4:5], v[17:18]
	s_waitcnt vmcnt(3)
	v_sub_co_u32 v8, vcc_lo, v19, s3
	v_subrev_co_ci_u32_e32 v9, vcc_lo, 0, v20, vcc_lo
	s_delay_alu instid0(VALU_DEP_2) | instskip(NEXT) | instid1(VALU_DEP_1)
	v_lshl_add_u32 v10, v8, 3, v8
	v_and_b32_e32 v10, 31, v10
	s_waitcnt vmcnt(0)
	s_delay_alu instid0(VALU_DEP_1)
	v_dual_mov_b32 v20, v11 :: v_dual_mov_b32 v19, v10
	s_branch .LBB109_89
.LBB109_88:                             ;   in Loop: Header=BB109_89 Depth=2
	s_or_b32 exec_lo, exec_lo, s13
	s_xor_b32 s13, s14, -1
	s_delay_alu instid0(SALU_CYCLE_1) | instskip(NEXT) | instid1(SALU_CYCLE_1)
	s_and_b32 s13, exec_lo, s13
	s_or_b32 s12, s13, s12
	s_delay_alu instid0(SALU_CYCLE_1)
	s_and_not1_b32 exec_lo, exec_lo, s12
	s_cbranch_execz .LBB109_103
.LBB109_89:                             ;   Parent Loop BB109_87 Depth=1
                                        ; =>  This Loop Header: Depth=2
                                        ;       Child Loop BB109_95 Depth 3
                                        ;       Child Loop BB109_101 Depth 3
	s_delay_alu instid0(VALU_DEP_1)
	v_lshl_add_u32 v22, v19, 3, v40
	s_mov_b32 s13, exec_lo
                                        ; implicit-def: $sgpr14
	ds_load_b64 v[20:21], v22
	s_waitcnt lgkmcnt(0)
	v_cmpx_ne_u64_e64 v[20:21], v[8:9]
	s_xor_b32 s13, exec_lo, s13
	s_cbranch_execz .LBB109_99
; %bb.90:                               ;   in Loop: Header=BB109_89 Depth=2
	s_mov_b32 s15, exec_lo
                                        ; implicit-def: $sgpr14
	v_cmpx_ne_u64_e64 s[38:39], v[20:21]
	s_xor_b32 s15, exec_lo, s15
; %bb.91:                               ;   in Loop: Header=BB109_89 Depth=2
	v_add_nc_u32_e32 v19, 1, v19
	s_mov_b32 s14, -1
                                        ; implicit-def: $vgpr22
	s_delay_alu instid0(VALU_DEP_1)
	v_and_b32_e32 v19, 31, v19
; %bb.92:                               ;   in Loop: Header=BB109_89 Depth=2
	s_and_not1_saveexec_b32 s15, s15
	s_cbranch_execz .LBB109_98
; %bb.93:                               ;   in Loop: Header=BB109_89 Depth=2
	v_dual_mov_b32 v20, s38 :: v_dual_mov_b32 v21, s39
	s_mov_b32 s17, -1
	s_mov_b32 s16, exec_lo
	ds_cmpstore_rtn_b64 v[20:21], v22, v[8:9], v[20:21]
	s_waitcnt lgkmcnt(0)
	v_cmpx_eq_u64_e64 s[38:39], v[20:21]
	s_cbranch_execz .LBB109_97
; %bb.94:                               ;   in Loop: Header=BB109_89 Depth=2
	v_lshlrev_b32_e32 v20, 5, v19
	s_mov_b32 s17, 0
	s_delay_alu instid0(VALU_DEP_1)
	v_add_nc_u32_e32 v22, v42, v20
	ds_load_b64 v[20:21], v22
.LBB109_95:                             ;   Parent Loop BB109_87 Depth=1
                                        ;     Parent Loop BB109_89 Depth=2
                                        ; =>    This Inner Loop Header: Depth=3
	s_waitcnt lgkmcnt(0)
	v_add_f64 v[23:24], v[20:21], v[17:18]
	ds_cmpstore_rtn_b64 v[23:24], v22, v[23:24], v[20:21]
	s_waitcnt lgkmcnt(0)
	v_cmp_eq_u64_e32 vcc_lo, v[23:24], v[20:21]
	v_dual_mov_b32 v20, v23 :: v_dual_mov_b32 v21, v24
	s_or_b32 s17, vcc_lo, s17
	s_delay_alu instid0(SALU_CYCLE_1)
	s_and_not1_b32 exec_lo, exec_lo, s17
	s_cbranch_execnz .LBB109_95
; %bb.96:                               ;   in Loop: Header=BB109_89 Depth=2
	s_or_b32 exec_lo, exec_lo, s17
	s_delay_alu instid0(SALU_CYCLE_1)
	s_xor_b32 s17, exec_lo, -1
.LBB109_97:                             ;   in Loop: Header=BB109_89 Depth=2
	s_or_b32 exec_lo, exec_lo, s16
	s_delay_alu instid0(SALU_CYCLE_1) | instskip(SKIP_1) | instid1(SALU_CYCLE_1)
	s_and_not1_b32 s14, s14, exec_lo
	s_and_b32 s16, s17, exec_lo
	s_or_b32 s14, s14, s16
.LBB109_98:                             ;   in Loop: Header=BB109_89 Depth=2
	s_or_b32 exec_lo, exec_lo, s15
	s_delay_alu instid0(SALU_CYCLE_1)
	s_and_b32 s14, s14, exec_lo
.LBB109_99:                             ;   in Loop: Header=BB109_89 Depth=2
	s_and_not1_saveexec_b32 s13, s13
	s_cbranch_execz .LBB109_88
; %bb.100:                              ;   in Loop: Header=BB109_89 Depth=2
	v_lshlrev_b32_e32 v20, 5, v19
	s_mov_b32 s15, 0
	s_delay_alu instid0(VALU_DEP_1)
	v_add_nc_u32_e32 v22, v42, v20
	ds_load_b64 v[20:21], v22
.LBB109_101:                            ;   Parent Loop BB109_87 Depth=1
                                        ;     Parent Loop BB109_89 Depth=2
                                        ; =>    This Inner Loop Header: Depth=3
	s_waitcnt lgkmcnt(0)
	v_add_f64 v[23:24], v[20:21], v[17:18]
	ds_cmpstore_rtn_b64 v[23:24], v22, v[23:24], v[20:21]
	s_waitcnt lgkmcnt(0)
	v_cmp_eq_u64_e32 vcc_lo, v[23:24], v[20:21]
	v_dual_mov_b32 v20, v23 :: v_dual_mov_b32 v21, v24
	s_or_b32 s15, vcc_lo, s15
	s_delay_alu instid0(SALU_CYCLE_1)
	s_and_not1_b32 exec_lo, exec_lo, s15
	s_cbranch_execnz .LBB109_101
; %bb.102:                              ;   in Loop: Header=BB109_89 Depth=2
	s_or_b32 exec_lo, exec_lo, s15
	s_delay_alu instid0(SALU_CYCLE_1)
	s_and_not1_b32 s14, s14, exec_lo
	s_branch .LBB109_88
.LBB109_103:                            ;   in Loop: Header=BB109_87 Depth=1
	s_or_b32 exec_lo, exec_lo, s12
	v_mul_f64 v[15:16], v[4:5], v[15:16]
	v_dual_mov_b32 v18, v11 :: v_dual_mov_b32 v17, v10
	s_mov_b32 s12, 0
	s_branch .LBB109_105
.LBB109_104:                            ;   in Loop: Header=BB109_105 Depth=2
	s_or_b32 exec_lo, exec_lo, s13
	s_xor_b32 s13, s14, -1
	s_delay_alu instid0(SALU_CYCLE_1) | instskip(NEXT) | instid1(SALU_CYCLE_1)
	s_and_b32 s13, exec_lo, s13
	s_or_b32 s12, s13, s12
	s_delay_alu instid0(SALU_CYCLE_1)
	s_and_not1_b32 exec_lo, exec_lo, s12
	s_cbranch_execz .LBB109_119
.LBB109_105:                            ;   Parent Loop BB109_87 Depth=1
                                        ; =>  This Loop Header: Depth=2
                                        ;       Child Loop BB109_111 Depth 3
                                        ;       Child Loop BB109_117 Depth 3
	s_delay_alu instid0(VALU_DEP_1)
	v_lshl_add_u32 v20, v17, 3, v40
	s_mov_b32 s13, exec_lo
                                        ; implicit-def: $sgpr14
	ds_load_b64 v[18:19], v20
	s_waitcnt lgkmcnt(0)
	v_cmpx_ne_u64_e64 v[18:19], v[8:9]
	s_xor_b32 s13, exec_lo, s13
	s_cbranch_execz .LBB109_115
; %bb.106:                              ;   in Loop: Header=BB109_105 Depth=2
	s_mov_b32 s15, exec_lo
                                        ; implicit-def: $sgpr14
	v_cmpx_ne_u64_e64 s[38:39], v[18:19]
	s_xor_b32 s15, exec_lo, s15
; %bb.107:                              ;   in Loop: Header=BB109_105 Depth=2
	v_add_nc_u32_e32 v17, 1, v17
	s_mov_b32 s14, -1
                                        ; implicit-def: $vgpr20
	s_delay_alu instid0(VALU_DEP_1)
	v_and_b32_e32 v17, 31, v17
; %bb.108:                              ;   in Loop: Header=BB109_105 Depth=2
	s_and_not1_saveexec_b32 s15, s15
	s_cbranch_execz .LBB109_114
; %bb.109:                              ;   in Loop: Header=BB109_105 Depth=2
	v_dual_mov_b32 v18, s38 :: v_dual_mov_b32 v19, s39
	s_mov_b32 s17, -1
	s_mov_b32 s16, exec_lo
	ds_cmpstore_rtn_b64 v[18:19], v20, v[8:9], v[18:19]
	s_waitcnt lgkmcnt(0)
	v_cmpx_eq_u64_e64 s[38:39], v[18:19]
	s_cbranch_execz .LBB109_113
; %bb.110:                              ;   in Loop: Header=BB109_105 Depth=2
	v_lshlrev_b32_e32 v18, 5, v17
	s_mov_b32 s17, 0
	s_delay_alu instid0(VALU_DEP_1)
	v_add_nc_u32_e32 v20, v42, v18
	ds_load_b64 v[18:19], v20 offset:8
.LBB109_111:                            ;   Parent Loop BB109_87 Depth=1
                                        ;     Parent Loop BB109_105 Depth=2
                                        ; =>    This Inner Loop Header: Depth=3
	s_waitcnt lgkmcnt(0)
	v_add_f64 v[21:22], v[18:19], v[15:16]
	ds_cmpstore_rtn_b64 v[21:22], v20, v[21:22], v[18:19] offset:8
	s_waitcnt lgkmcnt(0)
	v_cmp_eq_u64_e32 vcc_lo, v[21:22], v[18:19]
	v_dual_mov_b32 v18, v21 :: v_dual_mov_b32 v19, v22
	s_or_b32 s17, vcc_lo, s17
	s_delay_alu instid0(SALU_CYCLE_1)
	s_and_not1_b32 exec_lo, exec_lo, s17
	s_cbranch_execnz .LBB109_111
; %bb.112:                              ;   in Loop: Header=BB109_105 Depth=2
	s_or_b32 exec_lo, exec_lo, s17
	s_delay_alu instid0(SALU_CYCLE_1)
	s_xor_b32 s17, exec_lo, -1
.LBB109_113:                            ;   in Loop: Header=BB109_105 Depth=2
	s_or_b32 exec_lo, exec_lo, s16
	s_delay_alu instid0(SALU_CYCLE_1) | instskip(SKIP_1) | instid1(SALU_CYCLE_1)
	s_and_not1_b32 s14, s14, exec_lo
	s_and_b32 s16, s17, exec_lo
	s_or_b32 s14, s14, s16
.LBB109_114:                            ;   in Loop: Header=BB109_105 Depth=2
	s_or_b32 exec_lo, exec_lo, s15
	s_delay_alu instid0(SALU_CYCLE_1)
	s_and_b32 s14, s14, exec_lo
.LBB109_115:                            ;   in Loop: Header=BB109_105 Depth=2
	s_and_not1_saveexec_b32 s13, s13
	s_cbranch_execz .LBB109_104
; %bb.116:                              ;   in Loop: Header=BB109_105 Depth=2
	v_lshlrev_b32_e32 v18, 5, v17
	s_mov_b32 s15, 0
	s_delay_alu instid0(VALU_DEP_1)
	v_add_nc_u32_e32 v20, v42, v18
	ds_load_b64 v[18:19], v20 offset:8
.LBB109_117:                            ;   Parent Loop BB109_87 Depth=1
                                        ;     Parent Loop BB109_105 Depth=2
                                        ; =>    This Inner Loop Header: Depth=3
	s_waitcnt lgkmcnt(0)
	v_add_f64 v[21:22], v[18:19], v[15:16]
	ds_cmpstore_rtn_b64 v[21:22], v20, v[21:22], v[18:19] offset:8
	s_waitcnt lgkmcnt(0)
	v_cmp_eq_u64_e32 vcc_lo, v[21:22], v[18:19]
	v_dual_mov_b32 v18, v21 :: v_dual_mov_b32 v19, v22
	s_or_b32 s15, vcc_lo, s15
	s_delay_alu instid0(SALU_CYCLE_1)
	s_and_not1_b32 exec_lo, exec_lo, s15
	s_cbranch_execnz .LBB109_117
; %bb.118:                              ;   in Loop: Header=BB109_105 Depth=2
	s_or_b32 exec_lo, exec_lo, s15
	s_delay_alu instid0(SALU_CYCLE_1)
	s_and_not1_b32 s14, s14, exec_lo
	s_branch .LBB109_104
.LBB109_119:                            ;   in Loop: Header=BB109_87 Depth=1
	s_or_b32 exec_lo, exec_lo, s12
	v_mul_f64 v[13:14], v[4:5], v[13:14]
	v_dual_mov_b32 v16, v11 :: v_dual_mov_b32 v15, v10
	s_mov_b32 s12, 0
	s_branch .LBB109_121
.LBB109_120:                            ;   in Loop: Header=BB109_121 Depth=2
	s_or_b32 exec_lo, exec_lo, s13
	s_xor_b32 s13, s14, -1
	s_delay_alu instid0(SALU_CYCLE_1) | instskip(NEXT) | instid1(SALU_CYCLE_1)
	s_and_b32 s13, exec_lo, s13
	s_or_b32 s12, s13, s12
	s_delay_alu instid0(SALU_CYCLE_1)
	s_and_not1_b32 exec_lo, exec_lo, s12
	s_cbranch_execz .LBB109_135
.LBB109_121:                            ;   Parent Loop BB109_87 Depth=1
                                        ; =>  This Loop Header: Depth=2
                                        ;       Child Loop BB109_127 Depth 3
                                        ;       Child Loop BB109_133 Depth 3
	s_delay_alu instid0(VALU_DEP_1)
	v_lshl_add_u32 v18, v15, 3, v40
	s_mov_b32 s13, exec_lo
                                        ; implicit-def: $sgpr14
	ds_load_b64 v[16:17], v18
	s_waitcnt lgkmcnt(0)
	v_cmpx_ne_u64_e64 v[16:17], v[8:9]
	s_xor_b32 s13, exec_lo, s13
	s_cbranch_execz .LBB109_131
; %bb.122:                              ;   in Loop: Header=BB109_121 Depth=2
	s_mov_b32 s15, exec_lo
                                        ; implicit-def: $sgpr14
	v_cmpx_ne_u64_e64 s[38:39], v[16:17]
	s_xor_b32 s15, exec_lo, s15
; %bb.123:                              ;   in Loop: Header=BB109_121 Depth=2
	v_add_nc_u32_e32 v15, 1, v15
	s_mov_b32 s14, -1
                                        ; implicit-def: $vgpr18
	s_delay_alu instid0(VALU_DEP_1)
	v_and_b32_e32 v15, 31, v15
; %bb.124:                              ;   in Loop: Header=BB109_121 Depth=2
	s_and_not1_saveexec_b32 s15, s15
	s_cbranch_execz .LBB109_130
; %bb.125:                              ;   in Loop: Header=BB109_121 Depth=2
	v_dual_mov_b32 v16, s38 :: v_dual_mov_b32 v17, s39
	s_mov_b32 s17, -1
	s_mov_b32 s16, exec_lo
	ds_cmpstore_rtn_b64 v[16:17], v18, v[8:9], v[16:17]
	s_waitcnt lgkmcnt(0)
	v_cmpx_eq_u64_e64 s[38:39], v[16:17]
	s_cbranch_execz .LBB109_129
; %bb.126:                              ;   in Loop: Header=BB109_121 Depth=2
	v_lshlrev_b32_e32 v16, 5, v15
	s_mov_b32 s17, 0
	s_delay_alu instid0(VALU_DEP_1)
	v_add_nc_u32_e32 v18, v42, v16
	ds_load_b64 v[16:17], v18 offset:16
.LBB109_127:                            ;   Parent Loop BB109_87 Depth=1
                                        ;     Parent Loop BB109_121 Depth=2
                                        ; =>    This Inner Loop Header: Depth=3
	s_waitcnt lgkmcnt(0)
	v_add_f64 v[19:20], v[16:17], v[13:14]
	ds_cmpstore_rtn_b64 v[19:20], v18, v[19:20], v[16:17] offset:16
	s_waitcnt lgkmcnt(0)
	v_cmp_eq_u64_e32 vcc_lo, v[19:20], v[16:17]
	v_dual_mov_b32 v16, v19 :: v_dual_mov_b32 v17, v20
	s_or_b32 s17, vcc_lo, s17
	s_delay_alu instid0(SALU_CYCLE_1)
	s_and_not1_b32 exec_lo, exec_lo, s17
	s_cbranch_execnz .LBB109_127
; %bb.128:                              ;   in Loop: Header=BB109_121 Depth=2
	s_or_b32 exec_lo, exec_lo, s17
	s_delay_alu instid0(SALU_CYCLE_1)
	s_xor_b32 s17, exec_lo, -1
.LBB109_129:                            ;   in Loop: Header=BB109_121 Depth=2
	s_or_b32 exec_lo, exec_lo, s16
	s_delay_alu instid0(SALU_CYCLE_1) | instskip(SKIP_1) | instid1(SALU_CYCLE_1)
	s_and_not1_b32 s14, s14, exec_lo
	s_and_b32 s16, s17, exec_lo
	s_or_b32 s14, s14, s16
.LBB109_130:                            ;   in Loop: Header=BB109_121 Depth=2
	s_or_b32 exec_lo, exec_lo, s15
	s_delay_alu instid0(SALU_CYCLE_1)
	s_and_b32 s14, s14, exec_lo
.LBB109_131:                            ;   in Loop: Header=BB109_121 Depth=2
	s_and_not1_saveexec_b32 s13, s13
	s_cbranch_execz .LBB109_120
; %bb.132:                              ;   in Loop: Header=BB109_121 Depth=2
	v_lshlrev_b32_e32 v16, 5, v15
	s_mov_b32 s15, 0
	s_delay_alu instid0(VALU_DEP_1)
	v_add_nc_u32_e32 v18, v42, v16
	ds_load_b64 v[16:17], v18 offset:16
.LBB109_133:                            ;   Parent Loop BB109_87 Depth=1
                                        ;     Parent Loop BB109_121 Depth=2
                                        ; =>    This Inner Loop Header: Depth=3
	s_waitcnt lgkmcnt(0)
	v_add_f64 v[19:20], v[16:17], v[13:14]
	ds_cmpstore_rtn_b64 v[19:20], v18, v[19:20], v[16:17] offset:16
	s_waitcnt lgkmcnt(0)
	v_cmp_eq_u64_e32 vcc_lo, v[19:20], v[16:17]
	v_dual_mov_b32 v16, v19 :: v_dual_mov_b32 v17, v20
	s_or_b32 s15, vcc_lo, s15
	s_delay_alu instid0(SALU_CYCLE_1)
	s_and_not1_b32 exec_lo, exec_lo, s15
	s_cbranch_execnz .LBB109_133
; %bb.134:                              ;   in Loop: Header=BB109_121 Depth=2
	s_or_b32 exec_lo, exec_lo, s15
	s_delay_alu instid0(SALU_CYCLE_1)
	s_and_not1_b32 s14, s14, exec_lo
	s_branch .LBB109_120
.LBB109_135:                            ;   in Loop: Header=BB109_87 Depth=1
	s_or_b32 exec_lo, exec_lo, s12
	v_mul_f64 v[11:12], v[4:5], v[11:12]
	s_mov_b32 s12, 0
	s_branch .LBB109_137
.LBB109_136:                            ;   in Loop: Header=BB109_137 Depth=2
	s_or_b32 exec_lo, exec_lo, s13
	s_xor_b32 s13, s14, -1
	s_delay_alu instid0(SALU_CYCLE_1) | instskip(NEXT) | instid1(SALU_CYCLE_1)
	s_and_b32 s13, exec_lo, s13
	s_or_b32 s12, s13, s12
	s_delay_alu instid0(SALU_CYCLE_1)
	s_and_not1_b32 exec_lo, exec_lo, s12
	s_cbranch_execz .LBB109_86
.LBB109_137:                            ;   Parent Loop BB109_87 Depth=1
                                        ; =>  This Loop Header: Depth=2
                                        ;       Child Loop BB109_143 Depth 3
                                        ;       Child Loop BB109_149 Depth 3
	v_lshl_add_u32 v15, v10, 3, v40
	s_mov_b32 s13, exec_lo
                                        ; implicit-def: $sgpr14
	ds_load_b64 v[13:14], v15
	s_waitcnt lgkmcnt(0)
	v_cmpx_ne_u64_e64 v[13:14], v[8:9]
	s_xor_b32 s13, exec_lo, s13
	s_cbranch_execz .LBB109_147
; %bb.138:                              ;   in Loop: Header=BB109_137 Depth=2
	s_mov_b32 s15, exec_lo
                                        ; implicit-def: $sgpr14
	v_cmpx_ne_u64_e64 s[38:39], v[13:14]
	s_xor_b32 s15, exec_lo, s15
; %bb.139:                              ;   in Loop: Header=BB109_137 Depth=2
	v_add_nc_u32_e32 v10, 1, v10
	s_mov_b32 s14, -1
                                        ; implicit-def: $vgpr15
	s_delay_alu instid0(VALU_DEP_1)
	v_and_b32_e32 v10, 31, v10
; %bb.140:                              ;   in Loop: Header=BB109_137 Depth=2
	s_and_not1_saveexec_b32 s15, s15
	s_cbranch_execz .LBB109_146
; %bb.141:                              ;   in Loop: Header=BB109_137 Depth=2
	v_dual_mov_b32 v13, s38 :: v_dual_mov_b32 v14, s39
	s_mov_b32 s17, -1
	s_mov_b32 s16, exec_lo
	ds_cmpstore_rtn_b64 v[13:14], v15, v[8:9], v[13:14]
	s_waitcnt lgkmcnt(0)
	v_cmpx_eq_u64_e64 s[38:39], v[13:14]
	s_cbranch_execz .LBB109_145
; %bb.142:                              ;   in Loop: Header=BB109_137 Depth=2
	v_lshlrev_b32_e32 v13, 5, v10
	s_mov_b32 s17, 0
	s_delay_alu instid0(VALU_DEP_1)
	v_add_nc_u32_e32 v15, v42, v13
	ds_load_b64 v[13:14], v15 offset:24
.LBB109_143:                            ;   Parent Loop BB109_87 Depth=1
                                        ;     Parent Loop BB109_137 Depth=2
                                        ; =>    This Inner Loop Header: Depth=3
	s_waitcnt lgkmcnt(0)
	v_add_f64 v[16:17], v[13:14], v[11:12]
	ds_cmpstore_rtn_b64 v[16:17], v15, v[16:17], v[13:14] offset:24
	s_waitcnt lgkmcnt(0)
	v_cmp_eq_u64_e32 vcc_lo, v[16:17], v[13:14]
	v_dual_mov_b32 v13, v16 :: v_dual_mov_b32 v14, v17
	s_or_b32 s17, vcc_lo, s17
	s_delay_alu instid0(SALU_CYCLE_1)
	s_and_not1_b32 exec_lo, exec_lo, s17
	s_cbranch_execnz .LBB109_143
; %bb.144:                              ;   in Loop: Header=BB109_137 Depth=2
	s_or_b32 exec_lo, exec_lo, s17
	s_delay_alu instid0(SALU_CYCLE_1)
	s_xor_b32 s17, exec_lo, -1
.LBB109_145:                            ;   in Loop: Header=BB109_137 Depth=2
	s_or_b32 exec_lo, exec_lo, s16
	s_delay_alu instid0(SALU_CYCLE_1) | instskip(SKIP_1) | instid1(SALU_CYCLE_1)
	s_and_not1_b32 s14, s14, exec_lo
	s_and_b32 s16, s17, exec_lo
	s_or_b32 s14, s14, s16
.LBB109_146:                            ;   in Loop: Header=BB109_137 Depth=2
	s_or_b32 exec_lo, exec_lo, s15
	s_delay_alu instid0(SALU_CYCLE_1)
	s_and_b32 s14, s14, exec_lo
.LBB109_147:                            ;   in Loop: Header=BB109_137 Depth=2
	s_and_not1_saveexec_b32 s13, s13
	s_cbranch_execz .LBB109_136
; %bb.148:                              ;   in Loop: Header=BB109_137 Depth=2
	v_lshlrev_b32_e32 v13, 5, v10
	s_mov_b32 s15, 0
	s_delay_alu instid0(VALU_DEP_1)
	v_add_nc_u32_e32 v15, v42, v13
	ds_load_b64 v[13:14], v15 offset:24
.LBB109_149:                            ;   Parent Loop BB109_87 Depth=1
                                        ;     Parent Loop BB109_137 Depth=2
                                        ; =>    This Inner Loop Header: Depth=3
	s_waitcnt lgkmcnt(0)
	v_add_f64 v[16:17], v[13:14], v[11:12]
	ds_cmpstore_rtn_b64 v[16:17], v15, v[16:17], v[13:14] offset:24
	s_waitcnt lgkmcnt(0)
	v_cmp_eq_u64_e32 vcc_lo, v[16:17], v[13:14]
	v_dual_mov_b32 v13, v16 :: v_dual_mov_b32 v14, v17
	s_or_b32 s15, vcc_lo, s15
	s_delay_alu instid0(SALU_CYCLE_1)
	s_and_not1_b32 exec_lo, exec_lo, s15
	s_cbranch_execnz .LBB109_149
; %bb.150:                              ;   in Loop: Header=BB109_137 Depth=2
	s_or_b32 exec_lo, exec_lo, s15
	s_delay_alu instid0(SALU_CYCLE_1)
	s_and_not1_b32 s14, s14, exec_lo
	s_branch .LBB109_136
.LBB109_151:
	s_or_b32 exec_lo, exec_lo, s2
.LBB109_152:
	v_add_co_u32 v0, vcc_lo, s10, v6
	v_add_co_ci_u32_e32 v1, vcc_lo, s11, v7, vcc_lo
	buffer_gl0_inv
	v_lshl_add_u32 v4, v41, 5, v42
	s_cmp_eq_u32 s0, 0
	global_load_b64 v[0:1], v[0:1], off
	s_mov_b32 s0, 0
	s_cselect_b32 s1, 8, 16
	s_cselect_b32 s2, 16, 8
	s_waitcnt vmcnt(0)
	v_sub_co_u32 v2, vcc_lo, v0, s26
	v_subrev_co_ci_u32_e32 v3, vcc_lo, 0, v1, vcc_lo
	s_branch .LBB109_154
.LBB109_153:                            ;   in Loop: Header=BB109_154 Depth=1
	s_or_b32 exec_lo, exec_lo, s3
	v_add_co_u32 v39, s3, v39, 16
	s_delay_alu instid0(VALU_DEP_1) | instskip(SKIP_3) | instid1(SALU_CYCLE_1)
	s_xor_b32 s3, s3, -1
	v_add_nc_u32_e32 v4, 0x200, v4
	v_add_nc_u32_e32 v38, 0x80, v38
	s_and_b32 s3, exec_lo, s3
	s_or_b32 s0, s3, s0
	s_delay_alu instid0(SALU_CYCLE_1)
	s_and_not1_b32 exec_lo, exec_lo, s0
	s_cbranch_execz .LBB109_156
.LBB109_154:                            ; =>This Inner Loop Header: Depth=1
	ds_load_b64 v[0:1], v38
	s_mov_b32 s3, exec_lo
	s_waitcnt lgkmcnt(0)
	v_cmpx_gt_i64_e64 s[38:39], v[0:1]
	s_cbranch_execz .LBB109_153
; %bb.155:                              ;   in Loop: Header=BB109_154 Depth=1
	ds_load_b128 v[5:8], v40
	ds_load_b128 v[9:12], v40 offset:16
	ds_load_b128 v[13:16], v40 offset:32
	;; [unrolled: 1-line block ×7, first 2 shown]
	s_waitcnt lgkmcnt(7)
	v_cmp_gt_i64_e32 vcc_lo, v[0:1], v[5:6]
	v_cndmask_b32_e64 v5, 0, 1, vcc_lo
	v_cmp_gt_i64_e32 vcc_lo, v[0:1], v[7:8]
	v_cndmask_b32_e64 v6, 0, 1, vcc_lo
	s_delay_alu instid0(VALU_DEP_3)
	v_add_co_u32 v5, vcc_lo, v2, v5
	v_add_co_ci_u32_e32 v7, vcc_lo, 0, v3, vcc_lo
	s_waitcnt lgkmcnt(6)
	v_cmp_gt_i64_e32 vcc_lo, v[0:1], v[9:10]
	v_cndmask_b32_e64 v8, 0, 1, vcc_lo
	v_add_co_u32 v5, vcc_lo, v5, v6
	v_add_co_ci_u32_e32 v6, vcc_lo, 0, v7, vcc_lo
	v_cmp_gt_i64_e32 vcc_lo, v[0:1], v[11:12]
	v_cndmask_b32_e64 v7, 0, 1, vcc_lo
	s_delay_alu instid0(VALU_DEP_4) | instskip(NEXT) | instid1(VALU_DEP_4)
	v_add_co_u32 v5, vcc_lo, v5, v8
	v_add_co_ci_u32_e32 v6, vcc_lo, 0, v6, vcc_lo
	s_waitcnt lgkmcnt(5)
	v_cmp_gt_i64_e32 vcc_lo, v[0:1], v[13:14]
	v_cndmask_b32_e64 v8, 0, 1, vcc_lo
	v_add_co_u32 v5, vcc_lo, v5, v7
	v_add_co_ci_u32_e32 v6, vcc_lo, 0, v6, vcc_lo
	v_cmp_gt_i64_e32 vcc_lo, v[0:1], v[15:16]
	v_cndmask_b32_e64 v7, 0, 1, vcc_lo
	s_delay_alu instid0(VALU_DEP_4) | instskip(NEXT) | instid1(VALU_DEP_4)
	;; [unrolled: 10-line block ×5, first 2 shown]
	v_add_co_u32 v5, vcc_lo, v5, v8
	v_add_co_ci_u32_e32 v6, vcc_lo, 0, v6, vcc_lo
	s_delay_alu instid0(VALU_DEP_2) | instskip(NEXT) | instid1(VALU_DEP_2)
	v_add_co_u32 v9, vcc_lo, v5, v7
	v_add_co_ci_u32_e32 v10, vcc_lo, 0, v6, vcc_lo
	s_waitcnt lgkmcnt(1)
	v_cmp_gt_i64_e32 vcc_lo, v[0:1], v[29:30]
	ds_load_b128 v[5:8], v40 offset:128
	v_cndmask_b32_e64 v11, 0, 1, vcc_lo
	v_cmp_gt_i64_e32 vcc_lo, v[0:1], v[31:32]
	v_cndmask_b32_e64 v12, 0, 1, vcc_lo
	s_delay_alu instid0(VALU_DEP_3) | instskip(SKIP_1) | instid1(VALU_DEP_2)
	v_add_co_u32 v9, vcc_lo, v9, v11
	v_add_co_ci_u32_e32 v10, vcc_lo, 0, v10, vcc_lo
	v_add_co_u32 v13, vcc_lo, v9, v12
	s_delay_alu instid0(VALU_DEP_2)
	v_add_co_ci_u32_e32 v14, vcc_lo, 0, v10, vcc_lo
	ds_load_b128 v[9:12], v40 offset:144
	s_waitcnt lgkmcnt(2)
	v_cmp_gt_i64_e32 vcc_lo, v[0:1], v[33:34]
	v_cndmask_b32_e64 v15, 0, 1, vcc_lo
	v_cmp_gt_i64_e32 vcc_lo, v[0:1], v[35:36]
	v_cndmask_b32_e64 v16, 0, 1, vcc_lo
	s_delay_alu instid0(VALU_DEP_3) | instskip(SKIP_1) | instid1(VALU_DEP_2)
	v_add_co_u32 v13, vcc_lo, v13, v15
	v_add_co_ci_u32_e32 v14, vcc_lo, 0, v14, vcc_lo
	v_add_co_u32 v13, vcc_lo, v13, v16
	s_delay_alu instid0(VALU_DEP_2)
	v_add_co_ci_u32_e32 v14, vcc_lo, 0, v14, vcc_lo
	s_waitcnt lgkmcnt(1)
	v_cmp_gt_i64_e32 vcc_lo, v[0:1], v[5:6]
	v_cndmask_b32_e64 v15, 0, 1, vcc_lo
	v_cmp_gt_i64_e32 vcc_lo, v[0:1], v[7:8]
	ds_load_b128 v[5:8], v40 offset:160
	v_cndmask_b32_e64 v16, 0, 1, vcc_lo
	v_add_co_u32 v13, vcc_lo, v13, v15
	v_add_co_ci_u32_e32 v14, vcc_lo, 0, v14, vcc_lo
	s_waitcnt lgkmcnt(1)
	v_cmp_gt_i64_e32 vcc_lo, v[0:1], v[9:10]
	v_cndmask_b32_e64 v9, 0, 1, vcc_lo
	v_add_co_u32 v10, vcc_lo, v13, v16
	v_add_co_ci_u32_e32 v13, vcc_lo, 0, v14, vcc_lo
	v_cmp_gt_i64_e32 vcc_lo, v[0:1], v[11:12]
	v_cndmask_b32_e64 v14, 0, 1, vcc_lo
	s_delay_alu instid0(VALU_DEP_4) | instskip(SKIP_3) | instid1(VALU_DEP_2)
	v_add_co_u32 v15, vcc_lo, v10, v9
	ds_load_b128 v[9:12], v40 offset:176
	v_add_co_ci_u32_e32 v13, vcc_lo, 0, v13, vcc_lo
	v_add_co_u32 v17, vcc_lo, v15, v14
	v_add_co_ci_u32_e32 v18, vcc_lo, 0, v13, vcc_lo
	s_waitcnt lgkmcnt(1)
	v_cmp_gt_i64_e32 vcc_lo, v[0:1], v[5:6]
	ds_load_b128 v[13:16], v40 offset:192
	v_cndmask_b32_e64 v5, 0, 1, vcc_lo
	v_cmp_gt_i64_e32 vcc_lo, v[0:1], v[7:8]
	v_cndmask_b32_e64 v6, 0, 1, vcc_lo
	s_delay_alu instid0(VALU_DEP_3) | instskip(SKIP_1) | instid1(VALU_DEP_2)
	v_add_co_u32 v5, vcc_lo, v17, v5
	v_add_co_ci_u32_e32 v7, vcc_lo, 0, v18, vcc_lo
	v_add_co_u32 v17, vcc_lo, v5, v6
	s_delay_alu instid0(VALU_DEP_2)
	v_add_co_ci_u32_e32 v18, vcc_lo, 0, v7, vcc_lo
	ds_load_b128 v[5:8], v40 offset:208
	s_waitcnt lgkmcnt(2)
	v_cmp_gt_i64_e32 vcc_lo, v[0:1], v[9:10]
	v_cndmask_b32_e64 v9, 0, 1, vcc_lo
	v_cmp_gt_i64_e32 vcc_lo, v[0:1], v[11:12]
	v_cndmask_b32_e64 v10, 0, 1, vcc_lo
	s_delay_alu instid0(VALU_DEP_3)
	v_add_co_u32 v9, vcc_lo, v17, v9
	v_add_co_ci_u32_e32 v11, vcc_lo, 0, v18, vcc_lo
	s_waitcnt lgkmcnt(1)
	v_cmp_gt_i64_e32 vcc_lo, v[0:1], v[13:14]
	v_cndmask_b32_e64 v12, 0, 1, vcc_lo
	v_add_co_u32 v9, vcc_lo, v9, v10
	v_add_co_ci_u32_e32 v10, vcc_lo, 0, v11, vcc_lo
	v_cmp_gt_i64_e32 vcc_lo, v[0:1], v[15:16]
	v_cndmask_b32_e64 v13, 0, 1, vcc_lo
	s_delay_alu instid0(VALU_DEP_4) | instskip(NEXT) | instid1(VALU_DEP_4)
	v_add_co_u32 v14, vcc_lo, v9, v12
	v_add_co_ci_u32_e32 v15, vcc_lo, 0, v10, vcc_lo
	ds_load_b128 v[9:12], v40 offset:224
	v_add_co_u32 v17, vcc_lo, v14, v13
	v_add_co_ci_u32_e32 v18, vcc_lo, 0, v15, vcc_lo
	ds_load_b128 v[13:16], v40 offset:240
	s_waitcnt lgkmcnt(2)
	v_cmp_gt_i64_e32 vcc_lo, v[0:1], v[5:6]
	v_cndmask_b32_e64 v5, 0, 1, vcc_lo
	v_cmp_gt_i64_e32 vcc_lo, v[0:1], v[7:8]
	v_cndmask_b32_e64 v6, 0, 1, vcc_lo
	s_delay_alu instid0(VALU_DEP_3) | instskip(SKIP_1) | instid1(VALU_DEP_2)
	v_add_co_u32 v5, vcc_lo, v17, v5
	v_add_co_ci_u32_e32 v7, vcc_lo, 0, v18, vcc_lo
	v_add_co_u32 v17, vcc_lo, v5, v6
	s_delay_alu instid0(VALU_DEP_2)
	v_add_co_ci_u32_e32 v18, vcc_lo, 0, v7, vcc_lo
	s_waitcnt lgkmcnt(1)
	v_cmp_gt_i64_e32 vcc_lo, v[0:1], v[9:10]
	ds_load_2addr_b64 v[5:8], v4 offset1:3
	v_cndmask_b32_e64 v9, 0, 1, vcc_lo
	v_cmp_gt_i64_e32 vcc_lo, v[0:1], v[11:12]
	v_cndmask_b32_e64 v10, 0, 1, vcc_lo
	s_delay_alu instid0(VALU_DEP_3)
	v_add_co_u32 v9, vcc_lo, v17, v9
	v_add_co_ci_u32_e32 v11, vcc_lo, 0, v18, vcc_lo
	s_waitcnt lgkmcnt(1)
	v_cmp_gt_i64_e32 vcc_lo, v[0:1], v[13:14]
	v_cndmask_b32_e64 v12, 0, 1, vcc_lo
	v_add_co_u32 v9, vcc_lo, v9, v10
	v_add_co_ci_u32_e32 v10, vcc_lo, 0, v11, vcc_lo
	v_cmp_gt_i64_e32 vcc_lo, v[0:1], v[15:16]
	v_add_nc_u32_e32 v15, s2, v4
	v_cndmask_b32_e64 v11, 0, 1, vcc_lo
	v_add_co_u32 v9, vcc_lo, v9, v12
	v_add_co_ci_u32_e32 v10, vcc_lo, 0, v10, vcc_lo
	v_add_nc_u32_e32 v12, s1, v4
	s_delay_alu instid0(VALU_DEP_3)
	v_add_co_u32 v13, vcc_lo, v9, v11
	s_waitcnt lgkmcnt(0)
	v_mov_b32_e32 v9, v5
	v_add_co_ci_u32_e32 v14, vcc_lo, 0, v10, vcc_lo
	v_mov_b32_e32 v10, v6
	ds_load_b64 v[11:12], v12
	ds_load_b64 v[5:6], v15
	v_add_co_u32 v0, vcc_lo, v0, s26
	v_lshlrev_b64 v[15:16], 3, v[13:14]
	v_lshlrev_b64 v[13:14], 5, v[13:14]
	v_add_co_ci_u32_e32 v1, vcc_lo, 0, v1, vcc_lo
	s_delay_alu instid0(VALU_DEP_3) | instskip(NEXT) | instid1(VALU_DEP_4)
	v_add_co_u32 v15, vcc_lo, s28, v15
	v_add_co_ci_u32_e32 v16, vcc_lo, s29, v16, vcc_lo
	s_delay_alu instid0(VALU_DEP_4)
	v_add_co_u32 v13, vcc_lo, s30, v13
	v_add_co_ci_u32_e32 v14, vcc_lo, s31, v14, vcc_lo
	global_store_b64 v[15:16], v[0:1], off
	s_waitcnt lgkmcnt(1)
	global_store_b128 v[13:14], v[9:12], off
	s_waitcnt lgkmcnt(0)
	global_store_b128 v[13:14], v[5:8], off offset:16
	s_branch .LBB109_153
.LBB109_156:
	s_nop 0
	s_sendmsg sendmsg(MSG_DEALLOC_VGPRS)
	s_endpgm
	.section	.rodata,"a",@progbits
	.p2align	6, 0x0
	.amdhsa_kernel _ZN9rocsparseL27bsrgemm_fill_wf_per_row_2x2ILj256ELj16ELj32ELj137ElldEEv20rocsparse_direction_T4_S2_PKS2_S4_NS_24const_host_device_scalarIT5_EEPKT3_S4_PKS6_SA_S4_SC_S7_SA_S4_SC_SA_PS2_PS6_21rocsparse_index_base_SF_SF_SF_bbb
		.amdhsa_group_segment_fixed_size 20480
		.amdhsa_private_segment_fixed_size 0
		.amdhsa_kernarg_size 172
		.amdhsa_user_sgpr_count 15
		.amdhsa_user_sgpr_dispatch_ptr 0
		.amdhsa_user_sgpr_queue_ptr 0
		.amdhsa_user_sgpr_kernarg_segment_ptr 1
		.amdhsa_user_sgpr_dispatch_id 0
		.amdhsa_user_sgpr_private_segment_size 0
		.amdhsa_wavefront_size32 1
		.amdhsa_uses_dynamic_stack 0
		.amdhsa_enable_private_segment 0
		.amdhsa_system_sgpr_workgroup_id_x 1
		.amdhsa_system_sgpr_workgroup_id_y 0
		.amdhsa_system_sgpr_workgroup_id_z 0
		.amdhsa_system_sgpr_workgroup_info 0
		.amdhsa_system_vgpr_workitem_id 0
		.amdhsa_next_free_vgpr 46
		.amdhsa_next_free_sgpr 48
		.amdhsa_reserve_vcc 1
		.amdhsa_float_round_mode_32 0
		.amdhsa_float_round_mode_16_64 0
		.amdhsa_float_denorm_mode_32 3
		.amdhsa_float_denorm_mode_16_64 3
		.amdhsa_dx10_clamp 1
		.amdhsa_ieee_mode 1
		.amdhsa_fp16_overflow 0
		.amdhsa_workgroup_processor_mode 1
		.amdhsa_memory_ordered 1
		.amdhsa_forward_progress 0
		.amdhsa_shared_vgpr_count 0
		.amdhsa_exception_fp_ieee_invalid_op 0
		.amdhsa_exception_fp_denorm_src 0
		.amdhsa_exception_fp_ieee_div_zero 0
		.amdhsa_exception_fp_ieee_overflow 0
		.amdhsa_exception_fp_ieee_underflow 0
		.amdhsa_exception_fp_ieee_inexact 0
		.amdhsa_exception_int_div_zero 0
	.end_amdhsa_kernel
	.section	.text._ZN9rocsparseL27bsrgemm_fill_wf_per_row_2x2ILj256ELj16ELj32ELj137ElldEEv20rocsparse_direction_T4_S2_PKS2_S4_NS_24const_host_device_scalarIT5_EEPKT3_S4_PKS6_SA_S4_SC_S7_SA_S4_SC_SA_PS2_PS6_21rocsparse_index_base_SF_SF_SF_bbb,"axG",@progbits,_ZN9rocsparseL27bsrgemm_fill_wf_per_row_2x2ILj256ELj16ELj32ELj137ElldEEv20rocsparse_direction_T4_S2_PKS2_S4_NS_24const_host_device_scalarIT5_EEPKT3_S4_PKS6_SA_S4_SC_S7_SA_S4_SC_SA_PS2_PS6_21rocsparse_index_base_SF_SF_SF_bbb,comdat
.Lfunc_end109:
	.size	_ZN9rocsparseL27bsrgemm_fill_wf_per_row_2x2ILj256ELj16ELj32ELj137ElldEEv20rocsparse_direction_T4_S2_PKS2_S4_NS_24const_host_device_scalarIT5_EEPKT3_S4_PKS6_SA_S4_SC_S7_SA_S4_SC_SA_PS2_PS6_21rocsparse_index_base_SF_SF_SF_bbb, .Lfunc_end109-_ZN9rocsparseL27bsrgemm_fill_wf_per_row_2x2ILj256ELj16ELj32ELj137ElldEEv20rocsparse_direction_T4_S2_PKS2_S4_NS_24const_host_device_scalarIT5_EEPKT3_S4_PKS6_SA_S4_SC_S7_SA_S4_SC_SA_PS2_PS6_21rocsparse_index_base_SF_SF_SF_bbb
                                        ; -- End function
	.section	.AMDGPU.csdata,"",@progbits
; Kernel info:
; codeLenInByte = 6296
; NumSgprs: 50
; NumVgprs: 46
; ScratchSize: 0
; MemoryBound: 0
; FloatMode: 240
; IeeeMode: 1
; LDSByteSize: 20480 bytes/workgroup (compile time only)
; SGPRBlocks: 6
; VGPRBlocks: 5
; NumSGPRsForWavesPerEU: 50
; NumVGPRsForWavesPerEU: 46
; Occupancy: 12
; WaveLimiterHint : 1
; COMPUTE_PGM_RSRC2:SCRATCH_EN: 0
; COMPUTE_PGM_RSRC2:USER_SGPR: 15
; COMPUTE_PGM_RSRC2:TRAP_HANDLER: 0
; COMPUTE_PGM_RSRC2:TGID_X_EN: 1
; COMPUTE_PGM_RSRC2:TGID_Y_EN: 0
; COMPUTE_PGM_RSRC2:TGID_Z_EN: 0
; COMPUTE_PGM_RSRC2:TIDIG_COMP_CNT: 0
	.section	.text._ZN9rocsparseL30bsrgemm_fill_block_per_row_2x2ILj256ELj16ELj64ELj137ElldEEv20rocsparse_direction_T4_S2_PKS2_S4_NS_24const_host_device_scalarIT5_EEPKT3_S4_PKS6_SA_S4_SC_S7_SA_S4_SC_SA_PS2_PS6_21rocsparse_index_base_SF_SF_SF_bbb,"axG",@progbits,_ZN9rocsparseL30bsrgemm_fill_block_per_row_2x2ILj256ELj16ELj64ELj137ElldEEv20rocsparse_direction_T4_S2_PKS2_S4_NS_24const_host_device_scalarIT5_EEPKT3_S4_PKS6_SA_S4_SC_S7_SA_S4_SC_SA_PS2_PS6_21rocsparse_index_base_SF_SF_SF_bbb,comdat
	.globl	_ZN9rocsparseL30bsrgemm_fill_block_per_row_2x2ILj256ELj16ELj64ELj137ElldEEv20rocsparse_direction_T4_S2_PKS2_S4_NS_24const_host_device_scalarIT5_EEPKT3_S4_PKS6_SA_S4_SC_S7_SA_S4_SC_SA_PS2_PS6_21rocsparse_index_base_SF_SF_SF_bbb ; -- Begin function _ZN9rocsparseL30bsrgemm_fill_block_per_row_2x2ILj256ELj16ELj64ELj137ElldEEv20rocsparse_direction_T4_S2_PKS2_S4_NS_24const_host_device_scalarIT5_EEPKT3_S4_PKS6_SA_S4_SC_S7_SA_S4_SC_SA_PS2_PS6_21rocsparse_index_base_SF_SF_SF_bbb
	.p2align	8
	.type	_ZN9rocsparseL30bsrgemm_fill_block_per_row_2x2ILj256ELj16ELj64ELj137ElldEEv20rocsparse_direction_T4_S2_PKS2_S4_NS_24const_host_device_scalarIT5_EEPKT3_S4_PKS6_SA_S4_SC_S7_SA_S4_SC_SA_PS2_PS6_21rocsparse_index_base_SF_SF_SF_bbb,@function
_ZN9rocsparseL30bsrgemm_fill_block_per_row_2x2ILj256ELj16ELj64ELj137ElldEEv20rocsparse_direction_T4_S2_PKS2_S4_NS_24const_host_device_scalarIT5_EEPKT3_S4_PKS6_SA_S4_SC_S7_SA_S4_SC_SA_PS2_PS6_21rocsparse_index_base_SF_SF_SF_bbb: ; @_ZN9rocsparseL30bsrgemm_fill_block_per_row_2x2ILj256ELj16ELj64ELj137ElldEEv20rocsparse_direction_T4_S2_PKS2_S4_NS_24const_host_device_scalarIT5_EEPKT3_S4_PKS6_SA_S4_SC_S7_SA_S4_SC_SA_PS2_PS6_21rocsparse_index_base_SF_SF_SF_bbb
; %bb.0:
	s_clause 0x2
	s_load_b32 s7, s[0:1], 0xa8
	s_load_b64 s[4:5], s[0:1], 0x28
	s_load_b64 s[2:3], s[0:1], 0x60
	s_mov_b32 s16, s15
	s_waitcnt lgkmcnt(0)
	s_and_b32 s6, 1, s7
	s_bitcmp1_b32 s7, 16
	s_cselect_b32 s8, -1, 0
	s_cmp_eq_u32 s6, 1
	s_cselect_b32 s6, -1, 0
	s_delay_alu instid0(SALU_CYCLE_1)
	s_and_b32 s9, s6, exec_lo
	s_cselect_b32 s11, s5, 0
	s_cselect_b32 s10, s4, 0
	s_xor_b32 s9, s6, -1
	v_dual_mov_b32 v3, s10 :: v_dual_mov_b32 v4, s11
	s_or_b32 s9, s9, s8
	s_delay_alu instid0(SALU_CYCLE_1)
	s_and_b32 vcc_lo, exec_lo, s9
	s_cbranch_vccnz .LBB110_2
; %bb.1:
	v_dual_mov_b32 v1, s4 :: v_dual_mov_b32 v2, s5
	flat_load_b64 v[3:4], v[1:2]
.LBB110_2:
	s_bitcmp1_b32 s7, 8
	s_cselect_b32 s25, -1, 0
	s_delay_alu instid0(SALU_CYCLE_1)
	s_and_b32 s4, s25, exec_lo
	s_cselect_b32 s5, s3, 0
	s_cselect_b32 s4, s2, 0
	s_xor_b32 s7, s25, -1
	v_dual_mov_b32 v1, s4 :: v_dual_mov_b32 v2, s5
	s_or_b32 s7, s7, s8
	s_delay_alu instid0(SALU_CYCLE_1)
	s_and_b32 vcc_lo, exec_lo, s7
	s_cbranch_vccnz .LBB110_4
; %bb.3:
	v_dual_mov_b32 v1, s2 :: v_dual_mov_b32 v2, s3
	flat_load_b64 v[1:2], v[1:2]
.LBB110_4:
	s_load_b64 s[18:19], s[0:1], 0x10
	v_cmp_gt_u32_e64 s2, 64, v0
	v_lshl_add_u32 v35, v0, 3, 0
	s_delay_alu instid0(VALU_DEP_2)
	s_and_saveexec_b32 s3, s2
	s_cbranch_execz .LBB110_6
; %bb.5:
	s_waitcnt lgkmcnt(0)
	v_dual_mov_b32 v5, s18 :: v_dual_mov_b32 v6, s19
	ds_store_b64 v35, v[5:6]
.LBB110_6:
	s_or_b32 exec_lo, exec_lo, s3
	s_clause 0x1
	s_load_b128 s[12:15], s[0:1], 0x98
	s_load_b64 s[4:5], s[0:1], 0x20
	s_mov_b32 s3, exec_lo
	v_cmpx_gt_u32_e32 0x100, v0
	s_cbranch_execz .LBB110_8
; %bb.7:
	v_mov_b32_e32 v5, 0
	s_delay_alu instid0(VALU_DEP_1)
	v_mov_b32_e32 v6, v5
	ds_store_b64 v35, v[5:6] offset:512
.LBB110_8:
	s_or_b32 exec_lo, exec_lo, s3
	s_waitcnt lgkmcnt(0)
	s_cmp_eq_u64 s[4:5], 0
	s_mov_b32 s17, 0
	s_waitcnt vmcnt(0)
	s_barrier
	buffer_gl0_inv
	s_cbranch_scc1 .LBB110_10
; %bb.9:
	s_load_b64 s[8:9], s[0:1], 0x18
	s_waitcnt lgkmcnt(0)
	s_load_b64 s[8:9], s[8:9], 0x0
	s_waitcnt lgkmcnt(0)
	s_lshl_b64 s[8:9], s[8:9], 3
	s_delay_alu instid0(SALU_CYCLE_1) | instskip(SKIP_2) | instid1(SALU_CYCLE_1)
	s_add_u32 s3, s4, s8
	s_addc_u32 s7, s5, s9
	s_lshl_b64 s[4:5], s[16:17], 3
	s_add_u32 s4, s3, s4
	s_addc_u32 s5, s7, s5
	s_load_b64 s[16:17], s[4:5], 0x0
.LBB110_10:
	s_load_b32 s24, s[0:1], 0x0
	s_and_not1_b32 vcc_lo, exec_lo, s6
	s_cbranch_vccnz .LBB110_82
; %bb.11:
	s_load_b64 s[4:5], s[0:1], 0x30
	s_waitcnt lgkmcnt(0)
	s_lshl_b64 s[6:7], s[16:17], 3
	v_lshrrev_b32_e32 v5, 4, v0
	s_mov_b32 s26, 0
	s_delay_alu instid0(VALU_DEP_1) | instskip(NEXT) | instid1(VALU_DEP_1)
	v_sub_co_u32 v5, s3, v5, s12
	v_sub_co_ci_u32_e64 v6, null, 0, 0, s3
	s_mov_b32 s3, exec_lo
	s_add_u32 s4, s4, s6
	s_addc_u32 s5, s5, s7
	s_load_b128 s[4:7], s[4:5], 0x0
	s_waitcnt lgkmcnt(0)
	v_add_co_u32 v5, vcc_lo, s4, v5
	v_add_co_ci_u32_e32 v6, vcc_lo, s5, v6, vcc_lo
	s_sub_u32 s20, s6, s12
	s_subb_u32 s21, s7, 0
	s_delay_alu instid0(VALU_DEP_1) | instid1(SALU_CYCLE_1)
	v_cmpx_gt_i64_e64 s[20:21], v[5:6]
	s_cbranch_execz .LBB110_81
; %bb.12:
	s_clause 0x1
	s_load_b64 s[22:23], s[0:1], 0x58
	s_load_b256 s[4:11], s[0:1], 0x38
	v_and_b32_e32 v7, 15, v0
	s_cmp_eq_u32 s24, 0
	s_cselect_b32 s28, 2, 1
	s_delay_alu instid0(VALU_DEP_1) | instskip(NEXT) | instid1(VALU_DEP_1)
	v_sub_co_u32 v36, s27, v7, s13
	v_sub_co_ci_u32_e64 v37, null, 0, 0, s27
	s_cselect_b32 s27, 1, 2
	s_branch .LBB110_14
.LBB110_13:                             ;   in Loop: Header=BB110_14 Depth=1
	s_or_b32 exec_lo, exec_lo, s29
	v_add_co_u32 v5, vcc_lo, v5, 16
	v_add_co_ci_u32_e32 v6, vcc_lo, 0, v6, vcc_lo
	s_delay_alu instid0(VALU_DEP_1) | instskip(SKIP_1) | instid1(SALU_CYCLE_1)
	v_cmp_le_i64_e32 vcc_lo, s[20:21], v[5:6]
	s_or_b32 s26, vcc_lo, s26
	s_and_not1_b32 exec_lo, exec_lo, s26
	s_cbranch_execz .LBB110_81
.LBB110_14:                             ; =>This Loop Header: Depth=1
                                        ;     Child Loop BB110_17 Depth 2
                                        ;       Child Loop BB110_19 Depth 3
                                        ;         Child Loop BB110_25 Depth 4
                                        ;         Child Loop BB110_31 Depth 4
                                        ;       Child Loop BB110_35 Depth 3
                                        ;         Child Loop BB110_41 Depth 4
                                        ;         Child Loop BB110_47 Depth 4
                                        ;       Child Loop BB110_51 Depth 3
                                        ;         Child Loop BB110_57 Depth 4
                                        ;         Child Loop BB110_63 Depth 4
                                        ;       Child Loop BB110_67 Depth 3
                                        ;         Child Loop BB110_73 Depth 4
                                        ;         Child Loop BB110_79 Depth 4
	v_lshlrev_b64 v[7:8], 3, v[5:6]
	s_mov_b32 s29, exec_lo
	s_waitcnt lgkmcnt(0)
	s_delay_alu instid0(VALU_DEP_1) | instskip(NEXT) | instid1(VALU_DEP_2)
	v_add_co_u32 v7, vcc_lo, s4, v7
	v_add_co_ci_u32_e32 v8, vcc_lo, s5, v8, vcc_lo
	global_load_b64 v[7:8], v[7:8], off
	s_waitcnt vmcnt(0)
	v_sub_co_u32 v7, vcc_lo, v7, s12
	v_subrev_co_ci_u32_e32 v8, vcc_lo, 0, v8, vcc_lo
	s_delay_alu instid0(VALU_DEP_1) | instskip(NEXT) | instid1(VALU_DEP_1)
	v_lshlrev_b64 v[7:8], 3, v[7:8]
	v_add_co_u32 v7, vcc_lo, s8, v7
	s_delay_alu instid0(VALU_DEP_2)
	v_add_co_ci_u32_e32 v8, vcc_lo, s9, v8, vcc_lo
	global_load_b128 v[9:12], v[7:8], off
	s_waitcnt vmcnt(0)
	v_sub_co_u32 v7, vcc_lo, v11, s13
	v_subrev_co_ci_u32_e32 v8, vcc_lo, 0, v12, vcc_lo
	v_add_co_u32 v9, vcc_lo, v9, v36
	v_add_co_ci_u32_e32 v10, vcc_lo, v10, v37, vcc_lo
	s_delay_alu instid0(VALU_DEP_1)
	v_cmpx_lt_i64_e64 v[9:10], v[7:8]
	s_cbranch_execz .LBB110_13
; %bb.15:                               ;   in Loop: Header=BB110_14 Depth=1
	v_lshlrev_b64 v[11:12], 2, v[5:6]
	v_lshlrev_b64 v[15:16], 5, v[5:6]
	s_mov_b32 s30, 0
	s_delay_alu instid0(VALU_DEP_2) | instskip(NEXT) | instid1(VALU_DEP_3)
	v_or_b32_e32 v14, 0, v12
	v_or_b32_e32 v13, s28, v11
	;; [unrolled: 1-line block ×4, first 2 shown]
	v_add_co_u32 v15, vcc_lo, s6, v15
	s_delay_alu instid0(VALU_DEP_4) | instskip(SKIP_1) | instid1(VALU_DEP_4)
	v_lshlrev_b64 v[13:14], 3, v[13:14]
	v_add_co_ci_u32_e32 v16, vcc_lo, s7, v16, vcc_lo
	v_lshlrev_b64 v[11:12], 3, v[11:12]
	s_delay_alu instid0(VALU_DEP_3) | instskip(NEXT) | instid1(VALU_DEP_4)
	v_add_co_u32 v13, vcc_lo, s6, v13
	v_add_co_ci_u32_e32 v14, vcc_lo, s7, v14, vcc_lo
	s_delay_alu instid0(VALU_DEP_3) | instskip(NEXT) | instid1(VALU_DEP_4)
	v_add_co_u32 v11, vcc_lo, s6, v11
	v_add_co_ci_u32_e32 v12, vcc_lo, s7, v12, vcc_lo
	s_clause 0x3
	global_load_b64 v[17:18], v[15:16], off offset:24
	global_load_b64 v[13:14], v[13:14], off
	global_load_b64 v[19:20], v[11:12], off
	;; [unrolled: 1-line block ×3, first 2 shown]
	s_waitcnt vmcnt(3)
	v_mul_f64 v[11:12], v[3:4], v[17:18]
	s_waitcnt vmcnt(2)
	v_mul_f64 v[13:14], v[3:4], v[13:14]
	;; [unrolled: 2-line block ×4, first 2 shown]
	s_branch .LBB110_17
.LBB110_16:                             ;   in Loop: Header=BB110_17 Depth=2
	s_or_b32 exec_lo, exec_lo, s31
	v_add_co_u32 v9, vcc_lo, v9, 16
	v_add_co_ci_u32_e32 v10, vcc_lo, 0, v10, vcc_lo
	s_delay_alu instid0(VALU_DEP_1) | instskip(SKIP_1) | instid1(SALU_CYCLE_1)
	v_cmp_ge_i64_e32 vcc_lo, v[9:10], v[7:8]
	s_or_b32 s30, vcc_lo, s30
	s_and_not1_b32 exec_lo, exec_lo, s30
	s_cbranch_execz .LBB110_13
.LBB110_17:                             ;   Parent Loop BB110_14 Depth=1
                                        ; =>  This Loop Header: Depth=2
                                        ;       Child Loop BB110_19 Depth 3
                                        ;         Child Loop BB110_25 Depth 4
                                        ;         Child Loop BB110_31 Depth 4
                                        ;       Child Loop BB110_35 Depth 3
                                        ;         Child Loop BB110_41 Depth 4
                                        ;         Child Loop BB110_47 Depth 4
	;; [unrolled: 3-line block ×4, first 2 shown]
	v_lshlrev_b64 v[19:20], 2, v[9:10]
	s_mov_b32 s31, 0
	s_delay_alu instid0(VALU_DEP_1) | instskip(NEXT) | instid1(VALU_DEP_2)
	v_or_b32_e32 v22, 0, v20
	v_or_b32_e32 v21, s28, v19
	;; [unrolled: 1-line block ×4, first 2 shown]
	s_delay_alu instid0(VALU_DEP_3) | instskip(NEXT) | instid1(VALU_DEP_2)
	v_lshlrev_b64 v[21:22], 3, v[21:22]
	v_lshlrev_b64 v[19:20], 3, v[19:20]
	s_delay_alu instid0(VALU_DEP_2) | instskip(NEXT) | instid1(VALU_DEP_3)
	v_add_co_u32 v21, vcc_lo, s22, v21
	v_add_co_ci_u32_e32 v22, vcc_lo, s23, v22, vcc_lo
	global_load_b64 v[26:27], v[21:22], off
	v_lshlrev_b64 v[21:22], 5, v[9:10]
	s_delay_alu instid0(VALU_DEP_1) | instskip(NEXT) | instid1(VALU_DEP_2)
	v_add_co_u32 v24, vcc_lo, s22, v21
	v_add_co_ci_u32_e32 v25, vcc_lo, s23, v22, vcc_lo
	v_lshlrev_b64 v[21:22], 3, v[9:10]
	global_load_b64 v[28:29], v[24:25], off
	v_add_co_u32 v21, vcc_lo, s10, v21
	v_add_co_ci_u32_e32 v22, vcc_lo, s11, v22, vcc_lo
	v_add_co_u32 v19, vcc_lo, s22, v19
	v_add_co_ci_u32_e32 v20, vcc_lo, s23, v20, vcc_lo
	global_load_b64 v[32:33], v[21:22], off
	s_clause 0x1
	global_load_b64 v[22:23], v[19:20], off
	global_load_b64 v[24:25], v[24:25], off offset:24
	s_waitcnt vmcnt(4)
	v_mul_f64 v[19:20], v[15:16], v[26:27]
	s_waitcnt vmcnt(3)
	s_delay_alu instid0(VALU_DEP_1) | instskip(SKIP_3) | instid1(VALU_DEP_2)
	v_fma_f64 v[30:31], v[17:18], v[28:29], v[19:20]
	s_waitcnt vmcnt(2)
	v_sub_co_u32 v19, vcc_lo, v32, s13
	v_subrev_co_ci_u32_e32 v20, vcc_lo, 0, v33, vcc_lo
	v_lshl_add_u32 v21, v19, 3, v19
	s_delay_alu instid0(VALU_DEP_1) | instskip(SKIP_1) | instid1(VALU_DEP_1)
	v_and_b32_e32 v21, 63, v21
	s_waitcnt vmcnt(1)
	v_dual_mov_b32 v33, v22 :: v_dual_mov_b32 v32, v21
	s_branch .LBB110_19
.LBB110_18:                             ;   in Loop: Header=BB110_19 Depth=3
	s_or_b32 exec_lo, exec_lo, s33
	s_xor_b32 s33, s34, -1
	s_delay_alu instid0(SALU_CYCLE_1) | instskip(NEXT) | instid1(SALU_CYCLE_1)
	s_and_b32 s33, exec_lo, s33
	s_or_b32 s31, s33, s31
	s_delay_alu instid0(SALU_CYCLE_1)
	s_and_not1_b32 exec_lo, exec_lo, s31
	s_cbranch_execz .LBB110_33
.LBB110_19:                             ;   Parent Loop BB110_14 Depth=1
                                        ;     Parent Loop BB110_17 Depth=2
                                        ; =>    This Loop Header: Depth=3
                                        ;         Child Loop BB110_25 Depth 4
                                        ;         Child Loop BB110_31 Depth 4
	s_delay_alu instid0(VALU_DEP_1)
	v_lshl_add_u32 v38, v32, 3, 0
	s_mov_b32 s33, exec_lo
                                        ; implicit-def: $sgpr34
	ds_load_b64 v[33:34], v38
	s_waitcnt lgkmcnt(0)
	v_cmpx_ne_u64_e64 v[33:34], v[19:20]
	s_xor_b32 s33, exec_lo, s33
	s_cbranch_execz .LBB110_29
; %bb.20:                               ;   in Loop: Header=BB110_19 Depth=3
	s_mov_b32 s35, exec_lo
                                        ; implicit-def: $sgpr34
	v_cmpx_ne_u64_e64 s[18:19], v[33:34]
	s_xor_b32 s35, exec_lo, s35
; %bb.21:                               ;   in Loop: Header=BB110_19 Depth=3
	v_add_nc_u32_e32 v32, 1, v32
	s_mov_b32 s34, -1
                                        ; implicit-def: $vgpr38
	s_delay_alu instid0(VALU_DEP_1)
	v_and_b32_e32 v32, 63, v32
; %bb.22:                               ;   in Loop: Header=BB110_19 Depth=3
	s_and_not1_saveexec_b32 s35, s35
	s_cbranch_execz .LBB110_28
; %bb.23:                               ;   in Loop: Header=BB110_19 Depth=3
	v_dual_mov_b32 v34, s19 :: v_dual_mov_b32 v33, s18
	s_mov_b32 s37, -1
	s_mov_b32 s36, exec_lo
	ds_cmpstore_rtn_b64 v[33:34], v38, v[19:20], v[33:34]
	s_waitcnt lgkmcnt(0)
	v_cmpx_eq_u64_e64 s[18:19], v[33:34]
	s_cbranch_execz .LBB110_27
; %bb.24:                               ;   in Loop: Header=BB110_19 Depth=3
	v_mul_lo_u32 v33, v32, 24
	s_mov_b32 s37, 0
	s_delay_alu instid0(VALU_DEP_1)
	v_add_nc_u32_e32 v38, v38, v33
	ds_load_b64 v[33:34], v38 offset:512
.LBB110_25:                             ;   Parent Loop BB110_14 Depth=1
                                        ;     Parent Loop BB110_17 Depth=2
                                        ;       Parent Loop BB110_19 Depth=3
                                        ; =>      This Inner Loop Header: Depth=4
	s_waitcnt lgkmcnt(0)
	v_add_f64 v[39:40], v[33:34], v[30:31]
	ds_cmpstore_rtn_b64 v[39:40], v38, v[39:40], v[33:34] offset:512
	s_waitcnt lgkmcnt(0)
	v_cmp_eq_u64_e32 vcc_lo, v[39:40], v[33:34]
	v_dual_mov_b32 v33, v39 :: v_dual_mov_b32 v34, v40
	s_or_b32 s37, vcc_lo, s37
	s_delay_alu instid0(SALU_CYCLE_1)
	s_and_not1_b32 exec_lo, exec_lo, s37
	s_cbranch_execnz .LBB110_25
; %bb.26:                               ;   in Loop: Header=BB110_19 Depth=3
	s_or_b32 exec_lo, exec_lo, s37
	s_delay_alu instid0(SALU_CYCLE_1)
	s_xor_b32 s37, exec_lo, -1
.LBB110_27:                             ;   in Loop: Header=BB110_19 Depth=3
	s_or_b32 exec_lo, exec_lo, s36
	s_delay_alu instid0(SALU_CYCLE_1) | instskip(SKIP_1) | instid1(SALU_CYCLE_1)
	s_and_not1_b32 s34, s34, exec_lo
	s_and_b32 s36, s37, exec_lo
	s_or_b32 s34, s34, s36
.LBB110_28:                             ;   in Loop: Header=BB110_19 Depth=3
	s_or_b32 exec_lo, exec_lo, s35
	s_delay_alu instid0(SALU_CYCLE_1)
	s_and_b32 s34, s34, exec_lo
                                        ; implicit-def: $vgpr38
.LBB110_29:                             ;   in Loop: Header=BB110_19 Depth=3
	s_and_not1_saveexec_b32 s33, s33
	s_cbranch_execz .LBB110_18
; %bb.30:                               ;   in Loop: Header=BB110_19 Depth=3
	v_mul_lo_u32 v33, v32, 24
	s_mov_b32 s35, 0
	s_delay_alu instid0(VALU_DEP_1)
	v_add_nc_u32_e32 v38, v38, v33
	ds_load_b64 v[33:34], v38 offset:512
.LBB110_31:                             ;   Parent Loop BB110_14 Depth=1
                                        ;     Parent Loop BB110_17 Depth=2
                                        ;       Parent Loop BB110_19 Depth=3
                                        ; =>      This Inner Loop Header: Depth=4
	s_waitcnt lgkmcnt(0)
	v_add_f64 v[39:40], v[33:34], v[30:31]
	ds_cmpstore_rtn_b64 v[39:40], v38, v[39:40], v[33:34] offset:512
	s_waitcnt lgkmcnt(0)
	v_cmp_eq_u64_e32 vcc_lo, v[39:40], v[33:34]
	v_dual_mov_b32 v33, v39 :: v_dual_mov_b32 v34, v40
	s_or_b32 s35, vcc_lo, s35
	s_delay_alu instid0(SALU_CYCLE_1)
	s_and_not1_b32 exec_lo, exec_lo, s35
	s_cbranch_execnz .LBB110_31
; %bb.32:                               ;   in Loop: Header=BB110_19 Depth=3
	s_or_b32 exec_lo, exec_lo, s35
	s_delay_alu instid0(SALU_CYCLE_1)
	s_and_not1_b32 s34, s34, exec_lo
	s_branch .LBB110_18
.LBB110_33:                             ;   in Loop: Header=BB110_17 Depth=2
	s_or_b32 exec_lo, exec_lo, s31
	s_waitcnt vmcnt(0)
	v_mul_f64 v[30:31], v[15:16], v[24:25]
	v_dual_mov_b32 v33, v22 :: v_dual_mov_b32 v32, v21
	s_mov_b32 s31, 0
	s_delay_alu instid0(VALU_DEP_2)
	v_fma_f64 v[30:31], v[17:18], v[22:23], v[30:31]
	s_branch .LBB110_35
.LBB110_34:                             ;   in Loop: Header=BB110_35 Depth=3
	s_or_b32 exec_lo, exec_lo, s33
	s_xor_b32 s33, s34, -1
	s_delay_alu instid0(SALU_CYCLE_1) | instskip(NEXT) | instid1(SALU_CYCLE_1)
	s_and_b32 s33, exec_lo, s33
	s_or_b32 s31, s33, s31
	s_delay_alu instid0(SALU_CYCLE_1)
	s_and_not1_b32 exec_lo, exec_lo, s31
	s_cbranch_execz .LBB110_49
.LBB110_35:                             ;   Parent Loop BB110_14 Depth=1
                                        ;     Parent Loop BB110_17 Depth=2
                                        ; =>    This Loop Header: Depth=3
                                        ;         Child Loop BB110_41 Depth 4
                                        ;         Child Loop BB110_47 Depth 4
	s_delay_alu instid0(VALU_DEP_2)
	v_lshl_add_u32 v38, v32, 3, 0
	s_mov_b32 s33, exec_lo
                                        ; implicit-def: $sgpr34
	ds_load_b64 v[33:34], v38
	s_waitcnt lgkmcnt(0)
	v_cmpx_ne_u64_e64 v[33:34], v[19:20]
	s_xor_b32 s33, exec_lo, s33
	s_cbranch_execz .LBB110_45
; %bb.36:                               ;   in Loop: Header=BB110_35 Depth=3
	s_mov_b32 s35, exec_lo
                                        ; implicit-def: $sgpr34
	v_cmpx_ne_u64_e64 s[18:19], v[33:34]
	s_xor_b32 s35, exec_lo, s35
; %bb.37:                               ;   in Loop: Header=BB110_35 Depth=3
	v_add_nc_u32_e32 v32, 1, v32
	s_mov_b32 s34, -1
                                        ; implicit-def: $vgpr38
	s_delay_alu instid0(VALU_DEP_1)
	v_and_b32_e32 v32, 63, v32
; %bb.38:                               ;   in Loop: Header=BB110_35 Depth=3
	s_and_not1_saveexec_b32 s35, s35
	s_cbranch_execz .LBB110_44
; %bb.39:                               ;   in Loop: Header=BB110_35 Depth=3
	v_dual_mov_b32 v34, s19 :: v_dual_mov_b32 v33, s18
	s_mov_b32 s37, -1
	s_mov_b32 s36, exec_lo
	ds_cmpstore_rtn_b64 v[33:34], v38, v[19:20], v[33:34]
	s_waitcnt lgkmcnt(0)
	v_cmpx_eq_u64_e64 s[18:19], v[33:34]
	s_cbranch_execz .LBB110_43
; %bb.40:                               ;   in Loop: Header=BB110_35 Depth=3
	v_mul_lo_u32 v33, v32, 24
	s_mov_b32 s37, 0
	s_delay_alu instid0(VALU_DEP_1)
	v_add_nc_u32_e32 v38, v38, v33
	ds_load_b64 v[33:34], v38 offset:520
.LBB110_41:                             ;   Parent Loop BB110_14 Depth=1
                                        ;     Parent Loop BB110_17 Depth=2
                                        ;       Parent Loop BB110_35 Depth=3
                                        ; =>      This Inner Loop Header: Depth=4
	s_waitcnt lgkmcnt(0)
	v_add_f64 v[39:40], v[33:34], v[30:31]
	ds_cmpstore_rtn_b64 v[39:40], v38, v[39:40], v[33:34] offset:520
	s_waitcnt lgkmcnt(0)
	v_cmp_eq_u64_e32 vcc_lo, v[39:40], v[33:34]
	v_dual_mov_b32 v33, v39 :: v_dual_mov_b32 v34, v40
	s_or_b32 s37, vcc_lo, s37
	s_delay_alu instid0(SALU_CYCLE_1)
	s_and_not1_b32 exec_lo, exec_lo, s37
	s_cbranch_execnz .LBB110_41
; %bb.42:                               ;   in Loop: Header=BB110_35 Depth=3
	s_or_b32 exec_lo, exec_lo, s37
	s_delay_alu instid0(SALU_CYCLE_1)
	s_xor_b32 s37, exec_lo, -1
.LBB110_43:                             ;   in Loop: Header=BB110_35 Depth=3
	s_or_b32 exec_lo, exec_lo, s36
	s_delay_alu instid0(SALU_CYCLE_1) | instskip(SKIP_1) | instid1(SALU_CYCLE_1)
	s_and_not1_b32 s34, s34, exec_lo
	s_and_b32 s36, s37, exec_lo
	s_or_b32 s34, s34, s36
.LBB110_44:                             ;   in Loop: Header=BB110_35 Depth=3
	s_or_b32 exec_lo, exec_lo, s35
	s_delay_alu instid0(SALU_CYCLE_1)
	s_and_b32 s34, s34, exec_lo
                                        ; implicit-def: $vgpr38
.LBB110_45:                             ;   in Loop: Header=BB110_35 Depth=3
	s_and_not1_saveexec_b32 s33, s33
	s_cbranch_execz .LBB110_34
; %bb.46:                               ;   in Loop: Header=BB110_35 Depth=3
	v_mul_lo_u32 v33, v32, 24
	s_mov_b32 s35, 0
	s_delay_alu instid0(VALU_DEP_1)
	v_add_nc_u32_e32 v38, v38, v33
	ds_load_b64 v[33:34], v38 offset:520
.LBB110_47:                             ;   Parent Loop BB110_14 Depth=1
                                        ;     Parent Loop BB110_17 Depth=2
                                        ;       Parent Loop BB110_35 Depth=3
                                        ; =>      This Inner Loop Header: Depth=4
	s_waitcnt lgkmcnt(0)
	v_add_f64 v[39:40], v[33:34], v[30:31]
	ds_cmpstore_rtn_b64 v[39:40], v38, v[39:40], v[33:34] offset:520
	s_waitcnt lgkmcnt(0)
	v_cmp_eq_u64_e32 vcc_lo, v[39:40], v[33:34]
	v_dual_mov_b32 v33, v39 :: v_dual_mov_b32 v34, v40
	s_or_b32 s35, vcc_lo, s35
	s_delay_alu instid0(SALU_CYCLE_1)
	s_and_not1_b32 exec_lo, exec_lo, s35
	s_cbranch_execnz .LBB110_47
; %bb.48:                               ;   in Loop: Header=BB110_35 Depth=3
	s_or_b32 exec_lo, exec_lo, s35
	s_delay_alu instid0(SALU_CYCLE_1)
	s_and_not1_b32 s34, s34, exec_lo
	s_branch .LBB110_34
.LBB110_49:                             ;   in Loop: Header=BB110_17 Depth=2
	s_or_b32 exec_lo, exec_lo, s31
	v_mul_f64 v[26:27], v[11:12], v[26:27]
	s_mov_b32 s31, 0
	s_delay_alu instid0(VALU_DEP_1)
	v_fma_f64 v[26:27], v[13:14], v[28:29], v[26:27]
	v_dual_mov_b32 v29, v22 :: v_dual_mov_b32 v28, v21
	s_branch .LBB110_51
.LBB110_50:                             ;   in Loop: Header=BB110_51 Depth=3
	s_or_b32 exec_lo, exec_lo, s33
	s_xor_b32 s33, s34, -1
	s_delay_alu instid0(SALU_CYCLE_1) | instskip(NEXT) | instid1(SALU_CYCLE_1)
	s_and_b32 s33, exec_lo, s33
	s_or_b32 s31, s33, s31
	s_delay_alu instid0(SALU_CYCLE_1)
	s_and_not1_b32 exec_lo, exec_lo, s31
	s_cbranch_execz .LBB110_65
.LBB110_51:                             ;   Parent Loop BB110_14 Depth=1
                                        ;     Parent Loop BB110_17 Depth=2
                                        ; =>    This Loop Header: Depth=3
                                        ;         Child Loop BB110_57 Depth 4
                                        ;         Child Loop BB110_63 Depth 4
	s_delay_alu instid0(VALU_DEP_1)
	v_lshl_add_u32 v31, v28, 3, 0
	s_mov_b32 s33, exec_lo
                                        ; implicit-def: $sgpr34
	ds_load_b64 v[29:30], v31
	s_waitcnt lgkmcnt(0)
	v_cmpx_ne_u64_e64 v[29:30], v[19:20]
	s_xor_b32 s33, exec_lo, s33
	s_cbranch_execz .LBB110_61
; %bb.52:                               ;   in Loop: Header=BB110_51 Depth=3
	s_mov_b32 s35, exec_lo
                                        ; implicit-def: $sgpr34
	v_cmpx_ne_u64_e64 s[18:19], v[29:30]
	s_xor_b32 s35, exec_lo, s35
; %bb.53:                               ;   in Loop: Header=BB110_51 Depth=3
	v_add_nc_u32_e32 v28, 1, v28
	s_mov_b32 s34, -1
                                        ; implicit-def: $vgpr31
	s_delay_alu instid0(VALU_DEP_1)
	v_and_b32_e32 v28, 63, v28
; %bb.54:                               ;   in Loop: Header=BB110_51 Depth=3
	s_and_not1_saveexec_b32 s35, s35
	s_cbranch_execz .LBB110_60
; %bb.55:                               ;   in Loop: Header=BB110_51 Depth=3
	v_dual_mov_b32 v30, s19 :: v_dual_mov_b32 v29, s18
	s_mov_b32 s37, -1
	s_mov_b32 s36, exec_lo
	ds_cmpstore_rtn_b64 v[29:30], v31, v[19:20], v[29:30]
	s_waitcnt lgkmcnt(0)
	v_cmpx_eq_u64_e64 s[18:19], v[29:30]
	s_cbranch_execz .LBB110_59
; %bb.56:                               ;   in Loop: Header=BB110_51 Depth=3
	v_mul_lo_u32 v29, v28, 24
	s_mov_b32 s37, 0
	s_delay_alu instid0(VALU_DEP_1)
	v_add_nc_u32_e32 v31, v31, v29
	ds_load_b64 v[29:30], v31 offset:528
.LBB110_57:                             ;   Parent Loop BB110_14 Depth=1
                                        ;     Parent Loop BB110_17 Depth=2
                                        ;       Parent Loop BB110_51 Depth=3
                                        ; =>      This Inner Loop Header: Depth=4
	s_waitcnt lgkmcnt(0)
	v_add_f64 v[32:33], v[29:30], v[26:27]
	ds_cmpstore_rtn_b64 v[32:33], v31, v[32:33], v[29:30] offset:528
	s_waitcnt lgkmcnt(0)
	v_cmp_eq_u64_e32 vcc_lo, v[32:33], v[29:30]
	v_dual_mov_b32 v29, v32 :: v_dual_mov_b32 v30, v33
	s_or_b32 s37, vcc_lo, s37
	s_delay_alu instid0(SALU_CYCLE_1)
	s_and_not1_b32 exec_lo, exec_lo, s37
	s_cbranch_execnz .LBB110_57
; %bb.58:                               ;   in Loop: Header=BB110_51 Depth=3
	s_or_b32 exec_lo, exec_lo, s37
	s_delay_alu instid0(SALU_CYCLE_1)
	s_xor_b32 s37, exec_lo, -1
.LBB110_59:                             ;   in Loop: Header=BB110_51 Depth=3
	s_or_b32 exec_lo, exec_lo, s36
	s_delay_alu instid0(SALU_CYCLE_1) | instskip(SKIP_1) | instid1(SALU_CYCLE_1)
	s_and_not1_b32 s34, s34, exec_lo
	s_and_b32 s36, s37, exec_lo
	s_or_b32 s34, s34, s36
.LBB110_60:                             ;   in Loop: Header=BB110_51 Depth=3
	s_or_b32 exec_lo, exec_lo, s35
	s_delay_alu instid0(SALU_CYCLE_1)
	s_and_b32 s34, s34, exec_lo
                                        ; implicit-def: $vgpr31
.LBB110_61:                             ;   in Loop: Header=BB110_51 Depth=3
	s_and_not1_saveexec_b32 s33, s33
	s_cbranch_execz .LBB110_50
; %bb.62:                               ;   in Loop: Header=BB110_51 Depth=3
	v_mul_lo_u32 v29, v28, 24
	s_mov_b32 s35, 0
	s_delay_alu instid0(VALU_DEP_1)
	v_add_nc_u32_e32 v31, v31, v29
	ds_load_b64 v[29:30], v31 offset:528
.LBB110_63:                             ;   Parent Loop BB110_14 Depth=1
                                        ;     Parent Loop BB110_17 Depth=2
                                        ;       Parent Loop BB110_51 Depth=3
                                        ; =>      This Inner Loop Header: Depth=4
	s_waitcnt lgkmcnt(0)
	v_add_f64 v[32:33], v[29:30], v[26:27]
	ds_cmpstore_rtn_b64 v[32:33], v31, v[32:33], v[29:30] offset:528
	s_waitcnt lgkmcnt(0)
	v_cmp_eq_u64_e32 vcc_lo, v[32:33], v[29:30]
	v_dual_mov_b32 v29, v32 :: v_dual_mov_b32 v30, v33
	s_or_b32 s35, vcc_lo, s35
	s_delay_alu instid0(SALU_CYCLE_1)
	s_and_not1_b32 exec_lo, exec_lo, s35
	s_cbranch_execnz .LBB110_63
; %bb.64:                               ;   in Loop: Header=BB110_51 Depth=3
	s_or_b32 exec_lo, exec_lo, s35
	s_delay_alu instid0(SALU_CYCLE_1)
	s_and_not1_b32 s34, s34, exec_lo
	s_branch .LBB110_50
.LBB110_65:                             ;   in Loop: Header=BB110_17 Depth=2
	s_or_b32 exec_lo, exec_lo, s31
	v_mul_f64 v[24:25], v[11:12], v[24:25]
	s_mov_b32 s31, 0
	s_delay_alu instid0(VALU_DEP_1)
	v_fma_f64 v[22:23], v[13:14], v[22:23], v[24:25]
	s_branch .LBB110_67
.LBB110_66:                             ;   in Loop: Header=BB110_67 Depth=3
	s_or_b32 exec_lo, exec_lo, s33
	s_xor_b32 s33, s34, -1
	s_delay_alu instid0(SALU_CYCLE_1) | instskip(NEXT) | instid1(SALU_CYCLE_1)
	s_and_b32 s33, exec_lo, s33
	s_or_b32 s31, s33, s31
	s_delay_alu instid0(SALU_CYCLE_1)
	s_and_not1_b32 exec_lo, exec_lo, s31
	s_cbranch_execz .LBB110_16
.LBB110_67:                             ;   Parent Loop BB110_14 Depth=1
                                        ;     Parent Loop BB110_17 Depth=2
                                        ; =>    This Loop Header: Depth=3
                                        ;         Child Loop BB110_73 Depth 4
                                        ;         Child Loop BB110_79 Depth 4
	v_lshl_add_u32 v26, v21, 3, 0
	s_mov_b32 s33, exec_lo
                                        ; implicit-def: $sgpr34
	ds_load_b64 v[24:25], v26
	s_waitcnt lgkmcnt(0)
	v_cmpx_ne_u64_e64 v[24:25], v[19:20]
	s_xor_b32 s33, exec_lo, s33
	s_cbranch_execz .LBB110_77
; %bb.68:                               ;   in Loop: Header=BB110_67 Depth=3
	s_mov_b32 s35, exec_lo
                                        ; implicit-def: $sgpr34
	v_cmpx_ne_u64_e64 s[18:19], v[24:25]
	s_xor_b32 s35, exec_lo, s35
; %bb.69:                               ;   in Loop: Header=BB110_67 Depth=3
	v_add_nc_u32_e32 v21, 1, v21
	s_mov_b32 s34, -1
                                        ; implicit-def: $vgpr26
	s_delay_alu instid0(VALU_DEP_1)
	v_and_b32_e32 v21, 63, v21
; %bb.70:                               ;   in Loop: Header=BB110_67 Depth=3
	s_and_not1_saveexec_b32 s35, s35
	s_cbranch_execz .LBB110_76
; %bb.71:                               ;   in Loop: Header=BB110_67 Depth=3
	v_dual_mov_b32 v25, s19 :: v_dual_mov_b32 v24, s18
	s_mov_b32 s37, -1
	s_mov_b32 s36, exec_lo
	ds_cmpstore_rtn_b64 v[24:25], v26, v[19:20], v[24:25]
	s_waitcnt lgkmcnt(0)
	v_cmpx_eq_u64_e64 s[18:19], v[24:25]
	s_cbranch_execz .LBB110_75
; %bb.72:                               ;   in Loop: Header=BB110_67 Depth=3
	v_mul_lo_u32 v24, v21, 24
	s_mov_b32 s37, 0
	s_delay_alu instid0(VALU_DEP_1)
	v_add_nc_u32_e32 v26, v26, v24
	ds_load_b64 v[24:25], v26 offset:536
.LBB110_73:                             ;   Parent Loop BB110_14 Depth=1
                                        ;     Parent Loop BB110_17 Depth=2
                                        ;       Parent Loop BB110_67 Depth=3
                                        ; =>      This Inner Loop Header: Depth=4
	s_waitcnt lgkmcnt(0)
	v_add_f64 v[27:28], v[24:25], v[22:23]
	ds_cmpstore_rtn_b64 v[27:28], v26, v[27:28], v[24:25] offset:536
	s_waitcnt lgkmcnt(0)
	v_cmp_eq_u64_e32 vcc_lo, v[27:28], v[24:25]
	v_dual_mov_b32 v24, v27 :: v_dual_mov_b32 v25, v28
	s_or_b32 s37, vcc_lo, s37
	s_delay_alu instid0(SALU_CYCLE_1)
	s_and_not1_b32 exec_lo, exec_lo, s37
	s_cbranch_execnz .LBB110_73
; %bb.74:                               ;   in Loop: Header=BB110_67 Depth=3
	s_or_b32 exec_lo, exec_lo, s37
	s_delay_alu instid0(SALU_CYCLE_1)
	s_xor_b32 s37, exec_lo, -1
.LBB110_75:                             ;   in Loop: Header=BB110_67 Depth=3
	s_or_b32 exec_lo, exec_lo, s36
	s_delay_alu instid0(SALU_CYCLE_1) | instskip(SKIP_1) | instid1(SALU_CYCLE_1)
	s_and_not1_b32 s34, s34, exec_lo
	s_and_b32 s36, s37, exec_lo
	s_or_b32 s34, s34, s36
.LBB110_76:                             ;   in Loop: Header=BB110_67 Depth=3
	s_or_b32 exec_lo, exec_lo, s35
	s_delay_alu instid0(SALU_CYCLE_1)
	s_and_b32 s34, s34, exec_lo
                                        ; implicit-def: $vgpr26
.LBB110_77:                             ;   in Loop: Header=BB110_67 Depth=3
	s_and_not1_saveexec_b32 s33, s33
	s_cbranch_execz .LBB110_66
; %bb.78:                               ;   in Loop: Header=BB110_67 Depth=3
	v_mul_lo_u32 v24, v21, 24
	s_mov_b32 s35, 0
	s_delay_alu instid0(VALU_DEP_1)
	v_add_nc_u32_e32 v26, v26, v24
	ds_load_b64 v[24:25], v26 offset:536
.LBB110_79:                             ;   Parent Loop BB110_14 Depth=1
                                        ;     Parent Loop BB110_17 Depth=2
                                        ;       Parent Loop BB110_67 Depth=3
                                        ; =>      This Inner Loop Header: Depth=4
	s_waitcnt lgkmcnt(0)
	v_add_f64 v[27:28], v[24:25], v[22:23]
	ds_cmpstore_rtn_b64 v[27:28], v26, v[27:28], v[24:25] offset:536
	s_waitcnt lgkmcnt(0)
	v_cmp_eq_u64_e32 vcc_lo, v[27:28], v[24:25]
	v_dual_mov_b32 v24, v27 :: v_dual_mov_b32 v25, v28
	s_or_b32 s35, vcc_lo, s35
	s_delay_alu instid0(SALU_CYCLE_1)
	s_and_not1_b32 exec_lo, exec_lo, s35
	s_cbranch_execnz .LBB110_79
; %bb.80:                               ;   in Loop: Header=BB110_67 Depth=3
	s_or_b32 exec_lo, exec_lo, s35
	s_delay_alu instid0(SALU_CYCLE_1)
	s_and_not1_b32 s34, s34, exec_lo
	s_branch .LBB110_66
.LBB110_81:
	s_or_b32 exec_lo, exec_lo, s3
.LBB110_82:
	s_delay_alu instid0(SALU_CYCLE_1)
	s_and_not1_b32 vcc_lo, exec_lo, s25
	s_waitcnt lgkmcnt(0)
	s_barrier
	buffer_gl0_inv
	s_cbranch_vccnz .LBB110_151
; %bb.83:
	s_load_b64 s[4:5], s[0:1], 0x68
	s_lshl_b64 s[6:7], s[16:17], 3
	v_sub_co_u32 v3, s3, v0, s15
	s_delay_alu instid0(VALU_DEP_1)
	v_sub_co_ci_u32_e64 v4, null, 0, 0, s3
	s_mov_b32 s3, 0
	s_mov_b32 s10, exec_lo
	s_waitcnt lgkmcnt(0)
	s_add_u32 s4, s4, s6
	s_addc_u32 s5, s5, s7
	s_load_b128 s[4:7], s[4:5], 0x0
	s_waitcnt lgkmcnt(0)
	v_add_co_u32 v3, vcc_lo, s4, v3
	v_add_co_ci_u32_e32 v4, vcc_lo, s5, v4, vcc_lo
	s_sub_u32 s8, s6, s15
	s_subb_u32 s9, s7, 0
	s_delay_alu instid0(VALU_DEP_1) | instid1(SALU_CYCLE_1)
	v_cmpx_gt_i64_e64 s[8:9], v[3:4]
	s_cbranch_execz .LBB110_150
; %bb.84:
	s_load_b128 s[4:7], s[0:1], 0x70
	s_cmp_eq_u32 s24, 0
	s_mov_b32 s11, s15
	s_cselect_b32 s12, 1, 2
	s_cselect_b32 s13, 2, 1
	s_branch .LBB110_86
.LBB110_85:                             ;   in Loop: Header=BB110_86 Depth=1
	s_or_b32 exec_lo, exec_lo, s15
	v_add_co_u32 v3, vcc_lo, 0x100, v3
	v_add_co_ci_u32_e32 v4, vcc_lo, 0, v4, vcc_lo
	s_delay_alu instid0(VALU_DEP_1) | instskip(SKIP_1) | instid1(SALU_CYCLE_1)
	v_cmp_le_i64_e32 vcc_lo, s[8:9], v[3:4]
	s_or_b32 s3, vcc_lo, s3
	s_and_not1_b32 exec_lo, exec_lo, s3
	s_cbranch_execz .LBB110_150
.LBB110_86:                             ; =>This Loop Header: Depth=1
                                        ;     Child Loop BB110_88 Depth 2
                                        ;       Child Loop BB110_94 Depth 3
                                        ;       Child Loop BB110_100 Depth 3
                                        ;     Child Loop BB110_104 Depth 2
                                        ;       Child Loop BB110_110 Depth 3
                                        ;       Child Loop BB110_116 Depth 3
                                        ;     Child Loop BB110_120 Depth 2
                                        ;       Child Loop BB110_126 Depth 3
                                        ;       Child Loop BB110_132 Depth 3
                                        ;     Child Loop BB110_136 Depth 2
                                        ;       Child Loop BB110_142 Depth 3
                                        ;       Child Loop BB110_148 Depth 3
	v_lshlrev_b64 v[5:6], 5, v[3:4]
	v_lshlrev_b64 v[7:8], 3, v[3:4]
	;; [unrolled: 1-line block ×3, first 2 shown]
	s_mov_b32 s15, 0
	s_waitcnt lgkmcnt(0)
	s_delay_alu instid0(VALU_DEP_3)
	v_add_co_u32 v5, vcc_lo, s6, v5
	v_add_co_ci_u32_e32 v6, vcc_lo, s7, v6, vcc_lo
	v_add_co_u32 v7, vcc_lo, s4, v7
	v_add_co_ci_u32_e32 v8, vcc_lo, s5, v8, vcc_lo
	global_load_b64 v[14:15], v[5:6], off
	v_or_b32_e32 v12, 0, v10
	v_or_b32_e32 v11, s13, v9
	;; [unrolled: 1-line block ×4, first 2 shown]
	global_load_b64 v[16:17], v[7:8], off
	v_lshlrev_b64 v[7:8], 3, v[11:12]
	v_lshlrev_b64 v[9:10], 3, v[9:10]
	s_delay_alu instid0(VALU_DEP_2) | instskip(NEXT) | instid1(VALU_DEP_3)
	v_add_co_u32 v7, vcc_lo, s6, v7
	v_add_co_ci_u32_e32 v8, vcc_lo, s7, v8, vcc_lo
	s_delay_alu instid0(VALU_DEP_3) | instskip(NEXT) | instid1(VALU_DEP_4)
	v_add_co_u32 v12, vcc_lo, s6, v9
	v_add_co_ci_u32_e32 v13, vcc_lo, s7, v10, vcc_lo
	s_clause 0x2
	global_load_b64 v[10:11], v[7:8], off
	global_load_b64 v[12:13], v[12:13], off
	global_load_b64 v[8:9], v[5:6], off offset:24
	s_waitcnt vmcnt(4)
	v_mul_f64 v[14:15], v[1:2], v[14:15]
	s_waitcnt vmcnt(3)
	v_sub_co_u32 v5, vcc_lo, v16, s11
	v_subrev_co_ci_u32_e32 v6, vcc_lo, 0, v17, vcc_lo
	s_delay_alu instid0(VALU_DEP_2) | instskip(NEXT) | instid1(VALU_DEP_1)
	v_lshl_add_u32 v7, v5, 3, v5
	v_and_b32_e32 v7, 63, v7
	s_waitcnt vmcnt(0)
	s_delay_alu instid0(VALU_DEP_1)
	v_dual_mov_b32 v17, v8 :: v_dual_mov_b32 v16, v7
	s_branch .LBB110_88
.LBB110_87:                             ;   in Loop: Header=BB110_88 Depth=2
	s_or_b32 exec_lo, exec_lo, s20
	s_xor_b32 s20, s21, -1
	s_delay_alu instid0(SALU_CYCLE_1) | instskip(NEXT) | instid1(SALU_CYCLE_1)
	s_and_b32 s20, exec_lo, s20
	s_or_b32 s15, s20, s15
	s_delay_alu instid0(SALU_CYCLE_1)
	s_and_not1_b32 exec_lo, exec_lo, s15
	s_cbranch_execz .LBB110_102
.LBB110_88:                             ;   Parent Loop BB110_86 Depth=1
                                        ; =>  This Loop Header: Depth=2
                                        ;       Child Loop BB110_94 Depth 3
                                        ;       Child Loop BB110_100 Depth 3
	s_delay_alu instid0(VALU_DEP_1)
	v_lshl_add_u32 v19, v16, 3, 0
	s_mov_b32 s20, exec_lo
                                        ; implicit-def: $sgpr21
	ds_load_b64 v[17:18], v19
	s_waitcnt lgkmcnt(0)
	v_cmpx_ne_u64_e64 v[17:18], v[5:6]
	s_xor_b32 s20, exec_lo, s20
	s_cbranch_execz .LBB110_98
; %bb.89:                               ;   in Loop: Header=BB110_88 Depth=2
	s_mov_b32 s22, exec_lo
                                        ; implicit-def: $sgpr21
	v_cmpx_ne_u64_e64 s[18:19], v[17:18]
	s_xor_b32 s22, exec_lo, s22
; %bb.90:                               ;   in Loop: Header=BB110_88 Depth=2
	v_add_nc_u32_e32 v16, 1, v16
	s_mov_b32 s21, -1
                                        ; implicit-def: $vgpr19
	s_delay_alu instid0(VALU_DEP_1)
	v_and_b32_e32 v16, 63, v16
; %bb.91:                               ;   in Loop: Header=BB110_88 Depth=2
	s_and_not1_saveexec_b32 s22, s22
	s_cbranch_execz .LBB110_97
; %bb.92:                               ;   in Loop: Header=BB110_88 Depth=2
	v_dual_mov_b32 v17, s18 :: v_dual_mov_b32 v18, s19
	s_mov_b32 s25, -1
	s_mov_b32 s23, exec_lo
	ds_cmpstore_rtn_b64 v[17:18], v19, v[5:6], v[17:18]
	s_waitcnt lgkmcnt(0)
	v_cmpx_eq_u64_e64 s[18:19], v[17:18]
	s_cbranch_execz .LBB110_96
; %bb.93:                               ;   in Loop: Header=BB110_88 Depth=2
	v_mul_lo_u32 v17, v16, 24
	s_mov_b32 s25, 0
	s_delay_alu instid0(VALU_DEP_1)
	v_add_nc_u32_e32 v19, v19, v17
	ds_load_b64 v[17:18], v19 offset:512
.LBB110_94:                             ;   Parent Loop BB110_86 Depth=1
                                        ;     Parent Loop BB110_88 Depth=2
                                        ; =>    This Inner Loop Header: Depth=3
	s_waitcnt lgkmcnt(0)
	v_add_f64 v[20:21], v[17:18], v[14:15]
	ds_cmpstore_rtn_b64 v[20:21], v19, v[20:21], v[17:18] offset:512
	s_waitcnt lgkmcnt(0)
	v_cmp_eq_u64_e32 vcc_lo, v[20:21], v[17:18]
	v_dual_mov_b32 v17, v20 :: v_dual_mov_b32 v18, v21
	s_or_b32 s25, vcc_lo, s25
	s_delay_alu instid0(SALU_CYCLE_1)
	s_and_not1_b32 exec_lo, exec_lo, s25
	s_cbranch_execnz .LBB110_94
; %bb.95:                               ;   in Loop: Header=BB110_88 Depth=2
	s_or_b32 exec_lo, exec_lo, s25
	s_delay_alu instid0(SALU_CYCLE_1)
	s_xor_b32 s25, exec_lo, -1
.LBB110_96:                             ;   in Loop: Header=BB110_88 Depth=2
	s_or_b32 exec_lo, exec_lo, s23
	s_delay_alu instid0(SALU_CYCLE_1) | instskip(SKIP_1) | instid1(SALU_CYCLE_1)
	s_and_not1_b32 s21, s21, exec_lo
	s_and_b32 s23, s25, exec_lo
	s_or_b32 s21, s21, s23
.LBB110_97:                             ;   in Loop: Header=BB110_88 Depth=2
	s_or_b32 exec_lo, exec_lo, s22
	s_delay_alu instid0(SALU_CYCLE_1)
	s_and_b32 s21, s21, exec_lo
                                        ; implicit-def: $vgpr19
.LBB110_98:                             ;   in Loop: Header=BB110_88 Depth=2
	s_and_not1_saveexec_b32 s20, s20
	s_cbranch_execz .LBB110_87
; %bb.99:                               ;   in Loop: Header=BB110_88 Depth=2
	v_mul_lo_u32 v17, v16, 24
	s_mov_b32 s22, 0
	s_delay_alu instid0(VALU_DEP_1)
	v_add_nc_u32_e32 v19, v19, v17
	ds_load_b64 v[17:18], v19 offset:512
.LBB110_100:                            ;   Parent Loop BB110_86 Depth=1
                                        ;     Parent Loop BB110_88 Depth=2
                                        ; =>    This Inner Loop Header: Depth=3
	s_waitcnt lgkmcnt(0)
	v_add_f64 v[20:21], v[17:18], v[14:15]
	ds_cmpstore_rtn_b64 v[20:21], v19, v[20:21], v[17:18] offset:512
	s_waitcnt lgkmcnt(0)
	v_cmp_eq_u64_e32 vcc_lo, v[20:21], v[17:18]
	v_dual_mov_b32 v17, v20 :: v_dual_mov_b32 v18, v21
	s_or_b32 s22, vcc_lo, s22
	s_delay_alu instid0(SALU_CYCLE_1)
	s_and_not1_b32 exec_lo, exec_lo, s22
	s_cbranch_execnz .LBB110_100
; %bb.101:                              ;   in Loop: Header=BB110_88 Depth=2
	s_or_b32 exec_lo, exec_lo, s22
	s_delay_alu instid0(SALU_CYCLE_1)
	s_and_not1_b32 s21, s21, exec_lo
	s_branch .LBB110_87
.LBB110_102:                            ;   in Loop: Header=BB110_86 Depth=1
	s_or_b32 exec_lo, exec_lo, s15
	v_mul_f64 v[12:13], v[1:2], v[12:13]
	v_dual_mov_b32 v15, v8 :: v_dual_mov_b32 v14, v7
	s_mov_b32 s15, 0
	s_branch .LBB110_104
.LBB110_103:                            ;   in Loop: Header=BB110_104 Depth=2
	s_or_b32 exec_lo, exec_lo, s20
	s_xor_b32 s20, s21, -1
	s_delay_alu instid0(SALU_CYCLE_1) | instskip(NEXT) | instid1(SALU_CYCLE_1)
	s_and_b32 s20, exec_lo, s20
	s_or_b32 s15, s20, s15
	s_delay_alu instid0(SALU_CYCLE_1)
	s_and_not1_b32 exec_lo, exec_lo, s15
	s_cbranch_execz .LBB110_118
.LBB110_104:                            ;   Parent Loop BB110_86 Depth=1
                                        ; =>  This Loop Header: Depth=2
                                        ;       Child Loop BB110_110 Depth 3
                                        ;       Child Loop BB110_116 Depth 3
	s_delay_alu instid0(VALU_DEP_1)
	v_lshl_add_u32 v17, v14, 3, 0
	s_mov_b32 s20, exec_lo
                                        ; implicit-def: $sgpr21
	ds_load_b64 v[15:16], v17
	s_waitcnt lgkmcnt(0)
	v_cmpx_ne_u64_e64 v[15:16], v[5:6]
	s_xor_b32 s20, exec_lo, s20
	s_cbranch_execz .LBB110_114
; %bb.105:                              ;   in Loop: Header=BB110_104 Depth=2
	s_mov_b32 s22, exec_lo
                                        ; implicit-def: $sgpr21
	v_cmpx_ne_u64_e64 s[18:19], v[15:16]
	s_xor_b32 s22, exec_lo, s22
; %bb.106:                              ;   in Loop: Header=BB110_104 Depth=2
	v_add_nc_u32_e32 v14, 1, v14
	s_mov_b32 s21, -1
                                        ; implicit-def: $vgpr17
	s_delay_alu instid0(VALU_DEP_1)
	v_and_b32_e32 v14, 63, v14
; %bb.107:                              ;   in Loop: Header=BB110_104 Depth=2
	s_and_not1_saveexec_b32 s22, s22
	s_cbranch_execz .LBB110_113
; %bb.108:                              ;   in Loop: Header=BB110_104 Depth=2
	v_dual_mov_b32 v15, s18 :: v_dual_mov_b32 v16, s19
	s_mov_b32 s25, -1
	s_mov_b32 s23, exec_lo
	ds_cmpstore_rtn_b64 v[15:16], v17, v[5:6], v[15:16]
	s_waitcnt lgkmcnt(0)
	v_cmpx_eq_u64_e64 s[18:19], v[15:16]
	s_cbranch_execz .LBB110_112
; %bb.109:                              ;   in Loop: Header=BB110_104 Depth=2
	v_mul_lo_u32 v15, v14, 24
	s_mov_b32 s25, 0
	s_delay_alu instid0(VALU_DEP_1)
	v_add_nc_u32_e32 v17, v17, v15
	ds_load_b64 v[15:16], v17 offset:520
.LBB110_110:                            ;   Parent Loop BB110_86 Depth=1
                                        ;     Parent Loop BB110_104 Depth=2
                                        ; =>    This Inner Loop Header: Depth=3
	s_waitcnt lgkmcnt(0)
	v_add_f64 v[18:19], v[15:16], v[12:13]
	ds_cmpstore_rtn_b64 v[18:19], v17, v[18:19], v[15:16] offset:520
	s_waitcnt lgkmcnt(0)
	v_cmp_eq_u64_e32 vcc_lo, v[18:19], v[15:16]
	v_dual_mov_b32 v15, v18 :: v_dual_mov_b32 v16, v19
	s_or_b32 s25, vcc_lo, s25
	s_delay_alu instid0(SALU_CYCLE_1)
	s_and_not1_b32 exec_lo, exec_lo, s25
	s_cbranch_execnz .LBB110_110
; %bb.111:                              ;   in Loop: Header=BB110_104 Depth=2
	s_or_b32 exec_lo, exec_lo, s25
	s_delay_alu instid0(SALU_CYCLE_1)
	s_xor_b32 s25, exec_lo, -1
.LBB110_112:                            ;   in Loop: Header=BB110_104 Depth=2
	s_or_b32 exec_lo, exec_lo, s23
	s_delay_alu instid0(SALU_CYCLE_1) | instskip(SKIP_1) | instid1(SALU_CYCLE_1)
	s_and_not1_b32 s21, s21, exec_lo
	s_and_b32 s23, s25, exec_lo
	s_or_b32 s21, s21, s23
.LBB110_113:                            ;   in Loop: Header=BB110_104 Depth=2
	s_or_b32 exec_lo, exec_lo, s22
	s_delay_alu instid0(SALU_CYCLE_1)
	s_and_b32 s21, s21, exec_lo
                                        ; implicit-def: $vgpr17
.LBB110_114:                            ;   in Loop: Header=BB110_104 Depth=2
	s_and_not1_saveexec_b32 s20, s20
	s_cbranch_execz .LBB110_103
; %bb.115:                              ;   in Loop: Header=BB110_104 Depth=2
	v_mul_lo_u32 v15, v14, 24
	s_mov_b32 s22, 0
	s_delay_alu instid0(VALU_DEP_1)
	v_add_nc_u32_e32 v17, v17, v15
	ds_load_b64 v[15:16], v17 offset:520
.LBB110_116:                            ;   Parent Loop BB110_86 Depth=1
                                        ;     Parent Loop BB110_104 Depth=2
                                        ; =>    This Inner Loop Header: Depth=3
	s_waitcnt lgkmcnt(0)
	v_add_f64 v[18:19], v[15:16], v[12:13]
	ds_cmpstore_rtn_b64 v[18:19], v17, v[18:19], v[15:16] offset:520
	s_waitcnt lgkmcnt(0)
	v_cmp_eq_u64_e32 vcc_lo, v[18:19], v[15:16]
	v_dual_mov_b32 v15, v18 :: v_dual_mov_b32 v16, v19
	s_or_b32 s22, vcc_lo, s22
	s_delay_alu instid0(SALU_CYCLE_1)
	s_and_not1_b32 exec_lo, exec_lo, s22
	s_cbranch_execnz .LBB110_116
; %bb.117:                              ;   in Loop: Header=BB110_104 Depth=2
	s_or_b32 exec_lo, exec_lo, s22
	s_delay_alu instid0(SALU_CYCLE_1)
	s_and_not1_b32 s21, s21, exec_lo
	s_branch .LBB110_103
.LBB110_118:                            ;   in Loop: Header=BB110_86 Depth=1
	s_or_b32 exec_lo, exec_lo, s15
	v_mul_f64 v[10:11], v[1:2], v[10:11]
	v_dual_mov_b32 v13, v8 :: v_dual_mov_b32 v12, v7
	s_mov_b32 s15, 0
	s_branch .LBB110_120
.LBB110_119:                            ;   in Loop: Header=BB110_120 Depth=2
	s_or_b32 exec_lo, exec_lo, s20
	s_xor_b32 s20, s21, -1
	s_delay_alu instid0(SALU_CYCLE_1) | instskip(NEXT) | instid1(SALU_CYCLE_1)
	s_and_b32 s20, exec_lo, s20
	s_or_b32 s15, s20, s15
	s_delay_alu instid0(SALU_CYCLE_1)
	s_and_not1_b32 exec_lo, exec_lo, s15
	s_cbranch_execz .LBB110_134
.LBB110_120:                            ;   Parent Loop BB110_86 Depth=1
                                        ; =>  This Loop Header: Depth=2
                                        ;       Child Loop BB110_126 Depth 3
                                        ;       Child Loop BB110_132 Depth 3
	s_delay_alu instid0(VALU_DEP_1)
	v_lshl_add_u32 v15, v12, 3, 0
	s_mov_b32 s20, exec_lo
                                        ; implicit-def: $sgpr21
	ds_load_b64 v[13:14], v15
	s_waitcnt lgkmcnt(0)
	v_cmpx_ne_u64_e64 v[13:14], v[5:6]
	s_xor_b32 s20, exec_lo, s20
	s_cbranch_execz .LBB110_130
; %bb.121:                              ;   in Loop: Header=BB110_120 Depth=2
	s_mov_b32 s22, exec_lo
                                        ; implicit-def: $sgpr21
	v_cmpx_ne_u64_e64 s[18:19], v[13:14]
	s_xor_b32 s22, exec_lo, s22
; %bb.122:                              ;   in Loop: Header=BB110_120 Depth=2
	v_add_nc_u32_e32 v12, 1, v12
	s_mov_b32 s21, -1
                                        ; implicit-def: $vgpr15
	s_delay_alu instid0(VALU_DEP_1)
	v_and_b32_e32 v12, 63, v12
; %bb.123:                              ;   in Loop: Header=BB110_120 Depth=2
	s_and_not1_saveexec_b32 s22, s22
	s_cbranch_execz .LBB110_129
; %bb.124:                              ;   in Loop: Header=BB110_120 Depth=2
	v_dual_mov_b32 v13, s18 :: v_dual_mov_b32 v14, s19
	s_mov_b32 s25, -1
	s_mov_b32 s23, exec_lo
	ds_cmpstore_rtn_b64 v[13:14], v15, v[5:6], v[13:14]
	s_waitcnt lgkmcnt(0)
	v_cmpx_eq_u64_e64 s[18:19], v[13:14]
	s_cbranch_execz .LBB110_128
; %bb.125:                              ;   in Loop: Header=BB110_120 Depth=2
	v_mul_lo_u32 v13, v12, 24
	s_mov_b32 s25, 0
	s_delay_alu instid0(VALU_DEP_1)
	v_add_nc_u32_e32 v15, v15, v13
	ds_load_b64 v[13:14], v15 offset:528
.LBB110_126:                            ;   Parent Loop BB110_86 Depth=1
                                        ;     Parent Loop BB110_120 Depth=2
                                        ; =>    This Inner Loop Header: Depth=3
	s_waitcnt lgkmcnt(0)
	v_add_f64 v[16:17], v[13:14], v[10:11]
	ds_cmpstore_rtn_b64 v[16:17], v15, v[16:17], v[13:14] offset:528
	s_waitcnt lgkmcnt(0)
	v_cmp_eq_u64_e32 vcc_lo, v[16:17], v[13:14]
	v_dual_mov_b32 v13, v16 :: v_dual_mov_b32 v14, v17
	s_or_b32 s25, vcc_lo, s25
	s_delay_alu instid0(SALU_CYCLE_1)
	s_and_not1_b32 exec_lo, exec_lo, s25
	s_cbranch_execnz .LBB110_126
; %bb.127:                              ;   in Loop: Header=BB110_120 Depth=2
	s_or_b32 exec_lo, exec_lo, s25
	s_delay_alu instid0(SALU_CYCLE_1)
	s_xor_b32 s25, exec_lo, -1
.LBB110_128:                            ;   in Loop: Header=BB110_120 Depth=2
	s_or_b32 exec_lo, exec_lo, s23
	s_delay_alu instid0(SALU_CYCLE_1) | instskip(SKIP_1) | instid1(SALU_CYCLE_1)
	s_and_not1_b32 s21, s21, exec_lo
	s_and_b32 s23, s25, exec_lo
	s_or_b32 s21, s21, s23
.LBB110_129:                            ;   in Loop: Header=BB110_120 Depth=2
	s_or_b32 exec_lo, exec_lo, s22
	s_delay_alu instid0(SALU_CYCLE_1)
	s_and_b32 s21, s21, exec_lo
                                        ; implicit-def: $vgpr15
.LBB110_130:                            ;   in Loop: Header=BB110_120 Depth=2
	s_and_not1_saveexec_b32 s20, s20
	s_cbranch_execz .LBB110_119
; %bb.131:                              ;   in Loop: Header=BB110_120 Depth=2
	v_mul_lo_u32 v13, v12, 24
	s_mov_b32 s22, 0
	s_delay_alu instid0(VALU_DEP_1)
	v_add_nc_u32_e32 v15, v15, v13
	ds_load_b64 v[13:14], v15 offset:528
.LBB110_132:                            ;   Parent Loop BB110_86 Depth=1
                                        ;     Parent Loop BB110_120 Depth=2
                                        ; =>    This Inner Loop Header: Depth=3
	s_waitcnt lgkmcnt(0)
	v_add_f64 v[16:17], v[13:14], v[10:11]
	ds_cmpstore_rtn_b64 v[16:17], v15, v[16:17], v[13:14] offset:528
	s_waitcnt lgkmcnt(0)
	v_cmp_eq_u64_e32 vcc_lo, v[16:17], v[13:14]
	v_dual_mov_b32 v13, v16 :: v_dual_mov_b32 v14, v17
	s_or_b32 s22, vcc_lo, s22
	s_delay_alu instid0(SALU_CYCLE_1)
	s_and_not1_b32 exec_lo, exec_lo, s22
	s_cbranch_execnz .LBB110_132
; %bb.133:                              ;   in Loop: Header=BB110_120 Depth=2
	s_or_b32 exec_lo, exec_lo, s22
	s_delay_alu instid0(SALU_CYCLE_1)
	s_and_not1_b32 s21, s21, exec_lo
	s_branch .LBB110_119
.LBB110_134:                            ;   in Loop: Header=BB110_86 Depth=1
	s_or_b32 exec_lo, exec_lo, s15
	v_mul_f64 v[8:9], v[1:2], v[8:9]
	s_mov_b32 s15, 0
	s_branch .LBB110_136
.LBB110_135:                            ;   in Loop: Header=BB110_136 Depth=2
	s_or_b32 exec_lo, exec_lo, s20
	s_xor_b32 s20, s21, -1
	s_delay_alu instid0(SALU_CYCLE_1) | instskip(NEXT) | instid1(SALU_CYCLE_1)
	s_and_b32 s20, exec_lo, s20
	s_or_b32 s15, s20, s15
	s_delay_alu instid0(SALU_CYCLE_1)
	s_and_not1_b32 exec_lo, exec_lo, s15
	s_cbranch_execz .LBB110_85
.LBB110_136:                            ;   Parent Loop BB110_86 Depth=1
                                        ; =>  This Loop Header: Depth=2
                                        ;       Child Loop BB110_142 Depth 3
                                        ;       Child Loop BB110_148 Depth 3
	v_lshl_add_u32 v12, v7, 3, 0
	s_mov_b32 s20, exec_lo
                                        ; implicit-def: $sgpr21
	ds_load_b64 v[10:11], v12
	s_waitcnt lgkmcnt(0)
	v_cmpx_ne_u64_e64 v[10:11], v[5:6]
	s_xor_b32 s20, exec_lo, s20
	s_cbranch_execz .LBB110_146
; %bb.137:                              ;   in Loop: Header=BB110_136 Depth=2
	s_mov_b32 s22, exec_lo
                                        ; implicit-def: $sgpr21
	v_cmpx_ne_u64_e64 s[18:19], v[10:11]
	s_xor_b32 s22, exec_lo, s22
; %bb.138:                              ;   in Loop: Header=BB110_136 Depth=2
	v_add_nc_u32_e32 v7, 1, v7
	s_mov_b32 s21, -1
                                        ; implicit-def: $vgpr12
	s_delay_alu instid0(VALU_DEP_1)
	v_and_b32_e32 v7, 63, v7
; %bb.139:                              ;   in Loop: Header=BB110_136 Depth=2
	s_and_not1_saveexec_b32 s22, s22
	s_cbranch_execz .LBB110_145
; %bb.140:                              ;   in Loop: Header=BB110_136 Depth=2
	v_dual_mov_b32 v10, s18 :: v_dual_mov_b32 v11, s19
	s_mov_b32 s25, -1
	s_mov_b32 s23, exec_lo
	ds_cmpstore_rtn_b64 v[10:11], v12, v[5:6], v[10:11]
	s_waitcnt lgkmcnt(0)
	v_cmpx_eq_u64_e64 s[18:19], v[10:11]
	s_cbranch_execz .LBB110_144
; %bb.141:                              ;   in Loop: Header=BB110_136 Depth=2
	v_mul_lo_u32 v10, v7, 24
	s_mov_b32 s25, 0
	s_delay_alu instid0(VALU_DEP_1)
	v_add_nc_u32_e32 v12, v12, v10
	ds_load_b64 v[10:11], v12 offset:536
.LBB110_142:                            ;   Parent Loop BB110_86 Depth=1
                                        ;     Parent Loop BB110_136 Depth=2
                                        ; =>    This Inner Loop Header: Depth=3
	s_waitcnt lgkmcnt(0)
	v_add_f64 v[13:14], v[10:11], v[8:9]
	ds_cmpstore_rtn_b64 v[13:14], v12, v[13:14], v[10:11] offset:536
	s_waitcnt lgkmcnt(0)
	v_cmp_eq_u64_e32 vcc_lo, v[13:14], v[10:11]
	v_dual_mov_b32 v10, v13 :: v_dual_mov_b32 v11, v14
	s_or_b32 s25, vcc_lo, s25
	s_delay_alu instid0(SALU_CYCLE_1)
	s_and_not1_b32 exec_lo, exec_lo, s25
	s_cbranch_execnz .LBB110_142
; %bb.143:                              ;   in Loop: Header=BB110_136 Depth=2
	s_or_b32 exec_lo, exec_lo, s25
	s_delay_alu instid0(SALU_CYCLE_1)
	s_xor_b32 s25, exec_lo, -1
.LBB110_144:                            ;   in Loop: Header=BB110_136 Depth=2
	s_or_b32 exec_lo, exec_lo, s23
	s_delay_alu instid0(SALU_CYCLE_1) | instskip(SKIP_1) | instid1(SALU_CYCLE_1)
	s_and_not1_b32 s21, s21, exec_lo
	s_and_b32 s23, s25, exec_lo
	s_or_b32 s21, s21, s23
.LBB110_145:                            ;   in Loop: Header=BB110_136 Depth=2
	s_or_b32 exec_lo, exec_lo, s22
	s_delay_alu instid0(SALU_CYCLE_1)
	s_and_b32 s21, s21, exec_lo
                                        ; implicit-def: $vgpr12
.LBB110_146:                            ;   in Loop: Header=BB110_136 Depth=2
	s_and_not1_saveexec_b32 s20, s20
	s_cbranch_execz .LBB110_135
; %bb.147:                              ;   in Loop: Header=BB110_136 Depth=2
	v_mul_lo_u32 v10, v7, 24
	s_mov_b32 s22, 0
	s_delay_alu instid0(VALU_DEP_1)
	v_add_nc_u32_e32 v12, v12, v10
	ds_load_b64 v[10:11], v12 offset:536
.LBB110_148:                            ;   Parent Loop BB110_86 Depth=1
                                        ;     Parent Loop BB110_136 Depth=2
                                        ; =>    This Inner Loop Header: Depth=3
	s_waitcnt lgkmcnt(0)
	v_add_f64 v[13:14], v[10:11], v[8:9]
	ds_cmpstore_rtn_b64 v[13:14], v12, v[13:14], v[10:11] offset:536
	s_waitcnt lgkmcnt(0)
	v_cmp_eq_u64_e32 vcc_lo, v[13:14], v[10:11]
	v_dual_mov_b32 v10, v13 :: v_dual_mov_b32 v11, v14
	s_or_b32 s22, vcc_lo, s22
	s_delay_alu instid0(SALU_CYCLE_1)
	s_and_not1_b32 exec_lo, exec_lo, s22
	s_cbranch_execnz .LBB110_148
; %bb.149:                              ;   in Loop: Header=BB110_136 Depth=2
	s_or_b32 exec_lo, exec_lo, s22
	s_delay_alu instid0(SALU_CYCLE_1)
	s_and_not1_b32 s21, s21, exec_lo
	s_branch .LBB110_135
.LBB110_150:
	s_or_b32 exec_lo, exec_lo, s10
.LBB110_151:
	s_barrier
	buffer_gl0_inv
	s_and_saveexec_b32 s3, s2
	s_cbranch_execz .LBB110_154
; %bb.152:
	ds_load_b64 v[1:2], v35
	s_waitcnt lgkmcnt(0)
	v_cmp_gt_i64_e32 vcc_lo, s[18:19], v[1:2]
	s_and_b32 exec_lo, exec_lo, vcc_lo
	s_cbranch_execz .LBB110_154
; %bb.153:
	s_load_b128 s[4:7], s[0:1], 0x80
	v_mov_b32_e32 v3, 0
	s_lshl_b64 s[2:3], s[16:17], 3
	s_load_b64 s[0:1], s[0:1], 0x90
	ds_load_2addr_b64 v[4:7], v3 offset1:1
	s_waitcnt lgkmcnt(0)
	s_add_u32 s2, s4, s2
	s_addc_u32 s3, s5, s3
	s_load_b64 s[2:3], s[2:3], 0x0
	ds_load_2addr_b64 v[8:11], v3 offset0:2 offset1:3
	ds_load_2addr_b64 v[12:15], v3 offset0:4 offset1:5
	;; [unrolled: 1-line block ×11, first 2 shown]
	v_cmp_gt_i64_e32 vcc_lo, v[1:2], v[4:5]
	v_cndmask_b32_e64 v4, 0, 1, vcc_lo
	v_cmp_gt_i64_e32 vcc_lo, v[1:2], v[6:7]
	v_cndmask_b32_e64 v5, 0, 1, vcc_lo
	s_waitcnt lgkmcnt(0)
	v_cmp_gt_i64_e32 vcc_lo, v[1:2], v[8:9]
	s_sub_u32 s2, s2, s14
	s_subb_u32 s3, s3, 0
	v_add_co_u32 v4, s2, s2, v4
	s_delay_alu instid0(VALU_DEP_1) | instskip(SKIP_1) | instid1(VALU_DEP_3)
	v_add_co_ci_u32_e64 v6, null, s3, 0, s2
	v_cndmask_b32_e64 v7, 0, 1, vcc_lo
	v_add_co_u32 v4, vcc_lo, v4, v5
	s_delay_alu instid0(VALU_DEP_3)
	v_add_co_ci_u32_e32 v5, vcc_lo, 0, v6, vcc_lo
	v_cmp_gt_i64_e32 vcc_lo, v[1:2], v[10:11]
	s_cmp_eq_u32 s24, 0
	s_cselect_b32 s2, 1, 2
	s_cselect_b32 s3, 2, 1
	v_cndmask_b32_e64 v6, 0, 1, vcc_lo
	v_add_co_u32 v4, vcc_lo, v4, v7
	v_add_co_ci_u32_e32 v5, vcc_lo, 0, v5, vcc_lo
	v_cmp_gt_i64_e32 vcc_lo, v[1:2], v[12:13]
	v_cndmask_b32_e64 v7, 0, 1, vcc_lo
	s_delay_alu instid0(VALU_DEP_4) | instskip(NEXT) | instid1(VALU_DEP_4)
	v_add_co_u32 v4, vcc_lo, v4, v6
	v_add_co_ci_u32_e32 v5, vcc_lo, 0, v5, vcc_lo
	v_cmp_gt_i64_e32 vcc_lo, v[1:2], v[14:15]
	v_cndmask_b32_e64 v6, 0, 1, vcc_lo
	s_delay_alu instid0(VALU_DEP_4) | instskip(NEXT) | instid1(VALU_DEP_4)
	;; [unrolled: 5-line block ×17, first 2 shown]
	v_add_co_u32 v9, vcc_lo, v4, v6
	v_add_co_ci_u32_e32 v10, vcc_lo, 0, v5, vcc_lo
	v_cmp_gt_i64_e32 vcc_lo, v[1:2], v[46:47]
	ds_load_2addr_b64 v[4:7], v3 offset0:24 offset1:25
	v_cndmask_b32_e64 v11, 0, 1, vcc_lo
	v_add_co_u32 v8, vcc_lo, v9, v8
	v_add_co_ci_u32_e32 v9, vcc_lo, 0, v10, vcc_lo
	s_delay_alu instid0(VALU_DEP_2) | instskip(NEXT) | instid1(VALU_DEP_2)
	v_add_co_u32 v12, vcc_lo, v8, v11
	v_add_co_ci_u32_e32 v13, vcc_lo, 0, v9, vcc_lo
	ds_load_2addr_b64 v[8:11], v3 offset0:26 offset1:27
	v_cmp_gt_i64_e32 vcc_lo, v[1:2], v[48:49]
	v_cndmask_b32_e64 v14, 0, 1, vcc_lo
	v_cmp_gt_i64_e32 vcc_lo, v[1:2], v[50:51]
	v_cndmask_b32_e64 v15, 0, 1, vcc_lo
	s_delay_alu instid0(VALU_DEP_3) | instskip(SKIP_1) | instid1(VALU_DEP_2)
	v_add_co_u32 v12, vcc_lo, v12, v14
	v_add_co_ci_u32_e32 v13, vcc_lo, 0, v13, vcc_lo
	v_add_co_u32 v12, vcc_lo, v12, v15
	s_delay_alu instid0(VALU_DEP_2)
	v_add_co_ci_u32_e32 v13, vcc_lo, 0, v13, vcc_lo
	s_waitcnt lgkmcnt(1)
	v_cmp_gt_i64_e32 vcc_lo, v[1:2], v[4:5]
	v_cndmask_b32_e64 v14, 0, 1, vcc_lo
	v_cmp_gt_i64_e32 vcc_lo, v[1:2], v[6:7]
	ds_load_2addr_b64 v[4:7], v3 offset0:28 offset1:29
	v_cndmask_b32_e64 v15, 0, 1, vcc_lo
	v_add_co_u32 v12, vcc_lo, v12, v14
	v_add_co_ci_u32_e32 v13, vcc_lo, 0, v13, vcc_lo
	s_waitcnt lgkmcnt(1)
	v_cmp_gt_i64_e32 vcc_lo, v[1:2], v[8:9]
	v_cndmask_b32_e64 v8, 0, 1, vcc_lo
	v_add_co_u32 v9, vcc_lo, v12, v15
	v_add_co_ci_u32_e32 v12, vcc_lo, 0, v13, vcc_lo
	v_cmp_gt_i64_e32 vcc_lo, v[1:2], v[10:11]
	v_cndmask_b32_e64 v13, 0, 1, vcc_lo
	s_delay_alu instid0(VALU_DEP_4) | instskip(SKIP_3) | instid1(VALU_DEP_2)
	v_add_co_u32 v14, vcc_lo, v9, v8
	ds_load_2addr_b64 v[8:11], v3 offset0:30 offset1:31
	v_add_co_ci_u32_e32 v12, vcc_lo, 0, v12, vcc_lo
	v_add_co_u32 v16, vcc_lo, v14, v13
	v_add_co_ci_u32_e32 v17, vcc_lo, 0, v12, vcc_lo
	s_waitcnt lgkmcnt(1)
	v_cmp_gt_i64_e32 vcc_lo, v[1:2], v[4:5]
	ds_load_2addr_b64 v[12:15], v3 offset0:32 offset1:33
	v_cndmask_b32_e64 v4, 0, 1, vcc_lo
	v_cmp_gt_i64_e32 vcc_lo, v[1:2], v[6:7]
	v_cndmask_b32_e64 v5, 0, 1, vcc_lo
	s_delay_alu instid0(VALU_DEP_3) | instskip(SKIP_1) | instid1(VALU_DEP_2)
	v_add_co_u32 v4, vcc_lo, v16, v4
	v_add_co_ci_u32_e32 v6, vcc_lo, 0, v17, vcc_lo
	v_add_co_u32 v16, vcc_lo, v4, v5
	s_delay_alu instid0(VALU_DEP_2)
	v_add_co_ci_u32_e32 v17, vcc_lo, 0, v6, vcc_lo
	ds_load_2addr_b64 v[4:7], v3 offset0:34 offset1:35
	s_waitcnt lgkmcnt(2)
	v_cmp_gt_i64_e32 vcc_lo, v[1:2], v[8:9]
	v_cndmask_b32_e64 v8, 0, 1, vcc_lo
	v_cmp_gt_i64_e32 vcc_lo, v[1:2], v[10:11]
	v_cndmask_b32_e64 v9, 0, 1, vcc_lo
	s_delay_alu instid0(VALU_DEP_3)
	v_add_co_u32 v8, vcc_lo, v16, v8
	v_add_co_ci_u32_e32 v10, vcc_lo, 0, v17, vcc_lo
	s_waitcnt lgkmcnt(1)
	v_cmp_gt_i64_e32 vcc_lo, v[1:2], v[12:13]
	v_cndmask_b32_e64 v11, 0, 1, vcc_lo
	v_add_co_u32 v8, vcc_lo, v8, v9
	v_add_co_ci_u32_e32 v9, vcc_lo, 0, v10, vcc_lo
	v_cmp_gt_i64_e32 vcc_lo, v[1:2], v[14:15]
	v_cndmask_b32_e64 v12, 0, 1, vcc_lo
	s_delay_alu instid0(VALU_DEP_4) | instskip(NEXT) | instid1(VALU_DEP_4)
	v_add_co_u32 v13, vcc_lo, v8, v11
	v_add_co_ci_u32_e32 v14, vcc_lo, 0, v9, vcc_lo
	ds_load_2addr_b64 v[8:11], v3 offset0:36 offset1:37
	v_add_co_u32 v16, vcc_lo, v13, v12
	v_add_co_ci_u32_e32 v17, vcc_lo, 0, v14, vcc_lo
	ds_load_2addr_b64 v[12:15], v3 offset0:38 offset1:39
	s_waitcnt lgkmcnt(2)
	v_cmp_gt_i64_e32 vcc_lo, v[1:2], v[4:5]
	v_cndmask_b32_e64 v4, 0, 1, vcc_lo
	v_cmp_gt_i64_e32 vcc_lo, v[1:2], v[6:7]
	v_cndmask_b32_e64 v5, 0, 1, vcc_lo
	s_delay_alu instid0(VALU_DEP_3) | instskip(SKIP_1) | instid1(VALU_DEP_2)
	v_add_co_u32 v4, vcc_lo, v16, v4
	v_add_co_ci_u32_e32 v6, vcc_lo, 0, v17, vcc_lo
	v_add_co_u32 v16, vcc_lo, v4, v5
	s_delay_alu instid0(VALU_DEP_2)
	v_add_co_ci_u32_e32 v17, vcc_lo, 0, v6, vcc_lo
	s_waitcnt lgkmcnt(1)
	v_cmp_gt_i64_e32 vcc_lo, v[1:2], v[8:9]
	ds_load_2addr_b64 v[4:7], v3 offset0:40 offset1:41
	v_cndmask_b32_e64 v8, 0, 1, vcc_lo
	v_cmp_gt_i64_e32 vcc_lo, v[1:2], v[10:11]
	v_cndmask_b32_e64 v9, 0, 1, vcc_lo
	s_delay_alu instid0(VALU_DEP_3)
	v_add_co_u32 v8, vcc_lo, v16, v8
	v_add_co_ci_u32_e32 v10, vcc_lo, 0, v17, vcc_lo
	s_waitcnt lgkmcnt(1)
	v_cmp_gt_i64_e32 vcc_lo, v[1:2], v[12:13]
	v_cndmask_b32_e64 v11, 0, 1, vcc_lo
	v_add_co_u32 v8, vcc_lo, v8, v9
	v_add_co_ci_u32_e32 v9, vcc_lo, 0, v10, vcc_lo
	v_cmp_gt_i64_e32 vcc_lo, v[1:2], v[14:15]
	v_cndmask_b32_e64 v12, 0, 1, vcc_lo
	s_delay_alu instid0(VALU_DEP_4) | instskip(NEXT) | instid1(VALU_DEP_4)
	v_add_co_u32 v13, vcc_lo, v8, v11
	v_add_co_ci_u32_e32 v14, vcc_lo, 0, v9, vcc_lo
	ds_load_2addr_b64 v[8:11], v3 offset0:42 offset1:43
	v_add_co_u32 v16, vcc_lo, v13, v12
	v_add_co_ci_u32_e32 v17, vcc_lo, 0, v14, vcc_lo
	s_waitcnt lgkmcnt(1)
	v_cmp_gt_i64_e32 vcc_lo, v[1:2], v[4:5]
	ds_load_2addr_b64 v[12:15], v3 offset0:44 offset1:45
	v_cndmask_b32_e64 v4, 0, 1, vcc_lo
	v_cmp_gt_i64_e32 vcc_lo, v[1:2], v[6:7]
	v_cndmask_b32_e64 v5, 0, 1, vcc_lo
	s_delay_alu instid0(VALU_DEP_3) | instskip(SKIP_1) | instid1(VALU_DEP_2)
	v_add_co_u32 v4, vcc_lo, v16, v4
	v_add_co_ci_u32_e32 v6, vcc_lo, 0, v17, vcc_lo
	v_add_co_u32 v16, vcc_lo, v4, v5
	s_delay_alu instid0(VALU_DEP_2)
	v_add_co_ci_u32_e32 v17, vcc_lo, 0, v6, vcc_lo
	ds_load_2addr_b64 v[4:7], v3 offset0:46 offset1:47
	s_waitcnt lgkmcnt(2)
	v_cmp_gt_i64_e32 vcc_lo, v[1:2], v[8:9]
	v_cndmask_b32_e64 v8, 0, 1, vcc_lo
	v_cmp_gt_i64_e32 vcc_lo, v[1:2], v[10:11]
	v_cndmask_b32_e64 v9, 0, 1, vcc_lo
	s_delay_alu instid0(VALU_DEP_3)
	v_add_co_u32 v8, vcc_lo, v16, v8
	v_add_co_ci_u32_e32 v10, vcc_lo, 0, v17, vcc_lo
	s_waitcnt lgkmcnt(1)
	v_cmp_gt_i64_e32 vcc_lo, v[1:2], v[12:13]
	v_cndmask_b32_e64 v11, 0, 1, vcc_lo
	v_add_co_u32 v8, vcc_lo, v8, v9
	v_add_co_ci_u32_e32 v9, vcc_lo, 0, v10, vcc_lo
	v_cmp_gt_i64_e32 vcc_lo, v[1:2], v[14:15]
	v_cndmask_b32_e64 v12, 0, 1, vcc_lo
	s_delay_alu instid0(VALU_DEP_4) | instskip(NEXT) | instid1(VALU_DEP_4)
	v_add_co_u32 v13, vcc_lo, v8, v11
	v_add_co_ci_u32_e32 v14, vcc_lo, 0, v9, vcc_lo
	ds_load_2addr_b64 v[8:11], v3 offset0:48 offset1:49
	v_add_co_u32 v16, vcc_lo, v13, v12
	v_add_co_ci_u32_e32 v17, vcc_lo, 0, v14, vcc_lo
	ds_load_2addr_b64 v[12:15], v3 offset0:50 offset1:51
	s_waitcnt lgkmcnt(2)
	v_cmp_gt_i64_e32 vcc_lo, v[1:2], v[4:5]
	v_cndmask_b32_e64 v4, 0, 1, vcc_lo
	v_cmp_gt_i64_e32 vcc_lo, v[1:2], v[6:7]
	v_cndmask_b32_e64 v5, 0, 1, vcc_lo
	s_delay_alu instid0(VALU_DEP_3) | instskip(SKIP_1) | instid1(VALU_DEP_2)
	v_add_co_u32 v4, vcc_lo, v16, v4
	v_add_co_ci_u32_e32 v6, vcc_lo, 0, v17, vcc_lo
	v_add_co_u32 v16, vcc_lo, v4, v5
	s_delay_alu instid0(VALU_DEP_2)
	v_add_co_ci_u32_e32 v17, vcc_lo, 0, v6, vcc_lo
	s_waitcnt lgkmcnt(1)
	v_cmp_gt_i64_e32 vcc_lo, v[1:2], v[8:9]
	ds_load_2addr_b64 v[4:7], v3 offset0:52 offset1:53
	v_cndmask_b32_e64 v8, 0, 1, vcc_lo
	v_cmp_gt_i64_e32 vcc_lo, v[1:2], v[10:11]
	v_cndmask_b32_e64 v9, 0, 1, vcc_lo
	s_delay_alu instid0(VALU_DEP_3)
	v_add_co_u32 v8, vcc_lo, v16, v8
	v_add_co_ci_u32_e32 v10, vcc_lo, 0, v17, vcc_lo
	s_waitcnt lgkmcnt(1)
	v_cmp_gt_i64_e32 vcc_lo, v[1:2], v[12:13]
	v_cndmask_b32_e64 v11, 0, 1, vcc_lo
	v_add_co_u32 v8, vcc_lo, v8, v9
	v_add_co_ci_u32_e32 v9, vcc_lo, 0, v10, vcc_lo
	v_cmp_gt_i64_e32 vcc_lo, v[1:2], v[14:15]
	v_cndmask_b32_e64 v12, 0, 1, vcc_lo
	s_delay_alu instid0(VALU_DEP_4) | instskip(NEXT) | instid1(VALU_DEP_4)
	v_add_co_u32 v13, vcc_lo, v8, v11
	v_add_co_ci_u32_e32 v14, vcc_lo, 0, v9, vcc_lo
	ds_load_2addr_b64 v[8:11], v3 offset0:54 offset1:55
	v_add_co_u32 v16, vcc_lo, v13, v12
	v_add_co_ci_u32_e32 v17, vcc_lo, 0, v14, vcc_lo
	s_waitcnt lgkmcnt(1)
	v_cmp_gt_i64_e32 vcc_lo, v[1:2], v[4:5]
	ds_load_2addr_b64 v[12:15], v3 offset0:56 offset1:57
	v_cndmask_b32_e64 v4, 0, 1, vcc_lo
	v_cmp_gt_i64_e32 vcc_lo, v[1:2], v[6:7]
	v_cndmask_b32_e64 v5, 0, 1, vcc_lo
	s_delay_alu instid0(VALU_DEP_3) | instskip(SKIP_1) | instid1(VALU_DEP_2)
	v_add_co_u32 v4, vcc_lo, v16, v4
	v_add_co_ci_u32_e32 v6, vcc_lo, 0, v17, vcc_lo
	v_add_co_u32 v16, vcc_lo, v4, v5
	s_delay_alu instid0(VALU_DEP_2)
	v_add_co_ci_u32_e32 v17, vcc_lo, 0, v6, vcc_lo
	ds_load_2addr_b64 v[4:7], v3 offset0:58 offset1:59
	s_waitcnt lgkmcnt(2)
	v_cmp_gt_i64_e32 vcc_lo, v[1:2], v[8:9]
	v_cndmask_b32_e64 v8, 0, 1, vcc_lo
	v_cmp_gt_i64_e32 vcc_lo, v[1:2], v[10:11]
	v_cndmask_b32_e64 v9, 0, 1, vcc_lo
	s_delay_alu instid0(VALU_DEP_3)
	v_add_co_u32 v8, vcc_lo, v16, v8
	v_add_co_ci_u32_e32 v10, vcc_lo, 0, v17, vcc_lo
	s_waitcnt lgkmcnt(1)
	v_cmp_gt_i64_e32 vcc_lo, v[1:2], v[12:13]
	v_cndmask_b32_e64 v12, 0, 1, vcc_lo
	v_add_co_u32 v13, vcc_lo, v8, v9
	v_add_co_ci_u32_e32 v16, vcc_lo, 0, v10, vcc_lo
	ds_load_2addr_b64 v[8:11], v3 offset0:60 offset1:61
	v_add_co_u32 v17, vcc_lo, v13, v12
	v_add_co_ci_u32_e32 v16, vcc_lo, 0, v16, vcc_lo
	v_cmp_gt_i64_e32 vcc_lo, v[1:2], v[14:15]
	ds_load_2addr_b64 v[12:15], v3 offset0:62 offset1:63
	v_cndmask_b32_e64 v18, 0, 1, vcc_lo
	s_waitcnt lgkmcnt(2)
	v_cmp_gt_i64_e32 vcc_lo, v[1:2], v[4:5]
	v_cndmask_b32_e64 v4, 0, 1, vcc_lo
	s_delay_alu instid0(VALU_DEP_3) | instskip(SKIP_3) | instid1(VALU_DEP_4)
	v_add_co_u32 v3, vcc_lo, v17, v18
	v_add_co_ci_u32_e32 v5, vcc_lo, 0, v16, vcc_lo
	v_cmp_gt_i64_e32 vcc_lo, v[1:2], v[6:7]
	v_cndmask_b32_e64 v6, 0, 1, vcc_lo
	v_add_co_u32 v3, vcc_lo, v3, v4
	s_delay_alu instid0(VALU_DEP_4)
	v_add_co_ci_u32_e32 v4, vcc_lo, 0, v5, vcc_lo
	s_waitcnt lgkmcnt(1)
	v_cmp_gt_i64_e32 vcc_lo, v[1:2], v[8:9]
	v_cndmask_b32_e64 v5, 0, 1, vcc_lo
	v_add_co_u32 v3, vcc_lo, v3, v6
	v_add_co_ci_u32_e32 v4, vcc_lo, 0, v4, vcc_lo
	v_cmp_gt_i64_e32 vcc_lo, v[1:2], v[10:11]
	v_cndmask_b32_e64 v6, 0, 1, vcc_lo
	s_delay_alu instid0(VALU_DEP_4) | instskip(NEXT) | instid1(VALU_DEP_4)
	v_add_co_u32 v3, vcc_lo, v3, v5
	v_add_co_ci_u32_e32 v4, vcc_lo, 0, v4, vcc_lo
	s_waitcnt lgkmcnt(0)
	v_cmp_gt_i64_e32 vcc_lo, v[1:2], v[12:13]
	v_cndmask_b32_e64 v5, 0, 1, vcc_lo
	v_add_co_u32 v3, vcc_lo, v3, v6
	v_add_co_ci_u32_e32 v4, vcc_lo, 0, v4, vcc_lo
	v_lshlrev_b32_e32 v6, 2, v0
	s_delay_alu instid0(VALU_DEP_3) | instskip(NEXT) | instid1(VALU_DEP_3)
	v_add_co_u32 v3, vcc_lo, v3, v5
	v_add_co_ci_u32_e32 v4, vcc_lo, 0, v4, vcc_lo
	v_cmp_gt_i64_e32 vcc_lo, v[1:2], v[14:15]
	v_lshlrev_b32_e32 v0, 5, v0
	v_or_b32_e32 v5, s2, v6
	v_or_b32_e32 v6, s3, v6
	v_cndmask_b32_e64 v7, 0, 1, vcc_lo
	s_delay_alu instid0(VALU_DEP_4) | instskip(NEXT) | instid1(VALU_DEP_3)
	v_add_nc_u32_e32 v8, 0, v0
	v_lshl_add_u32 v6, v6, 3, 0
	v_lshl_add_u32 v5, v5, 3, 0
	v_add3_u32 v0, 0, 0x200, v0
	v_add_co_u32 v11, vcc_lo, v3, v7
	v_add_co_ci_u32_e32 v12, vcc_lo, 0, v4, vcc_lo
	ds_load_b64 v[3:4], v8 offset:512
	ds_load_b64 v[7:8], v6 offset:512
	;; [unrolled: 1-line block ×4, first 2 shown]
	v_add_co_u32 v0, vcc_lo, v1, s14
	v_lshlrev_b64 v[13:14], 3, v[11:12]
	v_lshlrev_b64 v[11:12], 5, v[11:12]
	v_add_co_ci_u32_e32 v1, vcc_lo, 0, v2, vcc_lo
	s_delay_alu instid0(VALU_DEP_3) | instskip(NEXT) | instid1(VALU_DEP_4)
	v_add_co_u32 v13, vcc_lo, s6, v13
	v_add_co_ci_u32_e32 v14, vcc_lo, s7, v14, vcc_lo
	s_delay_alu instid0(VALU_DEP_4)
	v_add_co_u32 v11, vcc_lo, s0, v11
	v_add_co_ci_u32_e32 v12, vcc_lo, s1, v12, vcc_lo
	global_store_b64 v[13:14], v[0:1], off
	s_waitcnt lgkmcnt(1)
	global_store_b128 v[11:12], v[3:6], off
	s_waitcnt lgkmcnt(0)
	global_store_b128 v[11:12], v[7:10], off offset:16
.LBB110_154:
	s_nop 0
	s_sendmsg sendmsg(MSG_DEALLOC_VGPRS)
	s_endpgm
	.section	.rodata,"a",@progbits
	.p2align	6, 0x0
	.amdhsa_kernel _ZN9rocsparseL30bsrgemm_fill_block_per_row_2x2ILj256ELj16ELj64ELj137ElldEEv20rocsparse_direction_T4_S2_PKS2_S4_NS_24const_host_device_scalarIT5_EEPKT3_S4_PKS6_SA_S4_SC_S7_SA_S4_SC_SA_PS2_PS6_21rocsparse_index_base_SF_SF_SF_bbb
		.amdhsa_group_segment_fixed_size 0
		.amdhsa_private_segment_fixed_size 0
		.amdhsa_kernarg_size 172
		.amdhsa_user_sgpr_count 15
		.amdhsa_user_sgpr_dispatch_ptr 0
		.amdhsa_user_sgpr_queue_ptr 0
		.amdhsa_user_sgpr_kernarg_segment_ptr 1
		.amdhsa_user_sgpr_dispatch_id 0
		.amdhsa_user_sgpr_private_segment_size 0
		.amdhsa_wavefront_size32 1
		.amdhsa_uses_dynamic_stack 0
		.amdhsa_enable_private_segment 0
		.amdhsa_system_sgpr_workgroup_id_x 1
		.amdhsa_system_sgpr_workgroup_id_y 0
		.amdhsa_system_sgpr_workgroup_id_z 0
		.amdhsa_system_sgpr_workgroup_info 0
		.amdhsa_system_vgpr_workitem_id 0
		.amdhsa_next_free_vgpr 52
		.amdhsa_next_free_sgpr 38
		.amdhsa_reserve_vcc 1
		.amdhsa_float_round_mode_32 0
		.amdhsa_float_round_mode_16_64 0
		.amdhsa_float_denorm_mode_32 3
		.amdhsa_float_denorm_mode_16_64 3
		.amdhsa_dx10_clamp 1
		.amdhsa_ieee_mode 1
		.amdhsa_fp16_overflow 0
		.amdhsa_workgroup_processor_mode 1
		.amdhsa_memory_ordered 1
		.amdhsa_forward_progress 0
		.amdhsa_shared_vgpr_count 0
		.amdhsa_exception_fp_ieee_invalid_op 0
		.amdhsa_exception_fp_denorm_src 0
		.amdhsa_exception_fp_ieee_div_zero 0
		.amdhsa_exception_fp_ieee_overflow 0
		.amdhsa_exception_fp_ieee_underflow 0
		.amdhsa_exception_fp_ieee_inexact 0
		.amdhsa_exception_int_div_zero 0
	.end_amdhsa_kernel
	.section	.text._ZN9rocsparseL30bsrgemm_fill_block_per_row_2x2ILj256ELj16ELj64ELj137ElldEEv20rocsparse_direction_T4_S2_PKS2_S4_NS_24const_host_device_scalarIT5_EEPKT3_S4_PKS6_SA_S4_SC_S7_SA_S4_SC_SA_PS2_PS6_21rocsparse_index_base_SF_SF_SF_bbb,"axG",@progbits,_ZN9rocsparseL30bsrgemm_fill_block_per_row_2x2ILj256ELj16ELj64ELj137ElldEEv20rocsparse_direction_T4_S2_PKS2_S4_NS_24const_host_device_scalarIT5_EEPKT3_S4_PKS6_SA_S4_SC_S7_SA_S4_SC_SA_PS2_PS6_21rocsparse_index_base_SF_SF_SF_bbb,comdat
.Lfunc_end110:
	.size	_ZN9rocsparseL30bsrgemm_fill_block_per_row_2x2ILj256ELj16ELj64ELj137ElldEEv20rocsparse_direction_T4_S2_PKS2_S4_NS_24const_host_device_scalarIT5_EEPKT3_S4_PKS6_SA_S4_SC_S7_SA_S4_SC_SA_PS2_PS6_21rocsparse_index_base_SF_SF_SF_bbb, .Lfunc_end110-_ZN9rocsparseL30bsrgemm_fill_block_per_row_2x2ILj256ELj16ELj64ELj137ElldEEv20rocsparse_direction_T4_S2_PKS2_S4_NS_24const_host_device_scalarIT5_EEPKT3_S4_PKS6_SA_S4_SC_S7_SA_S4_SC_SA_PS2_PS6_21rocsparse_index_base_SF_SF_SF_bbb
                                        ; -- End function
	.section	.AMDGPU.csdata,"",@progbits
; Kernel info:
; codeLenInByte = 7272
; NumSgprs: 40
; NumVgprs: 52
; ScratchSize: 0
; MemoryBound: 0
; FloatMode: 240
; IeeeMode: 1
; LDSByteSize: 0 bytes/workgroup (compile time only)
; SGPRBlocks: 4
; VGPRBlocks: 6
; NumSGPRsForWavesPerEU: 40
; NumVGPRsForWavesPerEU: 52
; Occupancy: 16
; WaveLimiterHint : 1
; COMPUTE_PGM_RSRC2:SCRATCH_EN: 0
; COMPUTE_PGM_RSRC2:USER_SGPR: 15
; COMPUTE_PGM_RSRC2:TRAP_HANDLER: 0
; COMPUTE_PGM_RSRC2:TGID_X_EN: 1
; COMPUTE_PGM_RSRC2:TGID_Y_EN: 0
; COMPUTE_PGM_RSRC2:TGID_Z_EN: 0
; COMPUTE_PGM_RSRC2:TIDIG_COMP_CNT: 0
	.section	.text._ZN9rocsparseL30bsrgemm_fill_block_per_row_2x2ILj256ELj16ELj128ELj137ElldEEv20rocsparse_direction_T4_S2_PKS2_S4_NS_24const_host_device_scalarIT5_EEPKT3_S4_PKS6_SA_S4_SC_S7_SA_S4_SC_SA_PS2_PS6_21rocsparse_index_base_SF_SF_SF_bbb,"axG",@progbits,_ZN9rocsparseL30bsrgemm_fill_block_per_row_2x2ILj256ELj16ELj128ELj137ElldEEv20rocsparse_direction_T4_S2_PKS2_S4_NS_24const_host_device_scalarIT5_EEPKT3_S4_PKS6_SA_S4_SC_S7_SA_S4_SC_SA_PS2_PS6_21rocsparse_index_base_SF_SF_SF_bbb,comdat
	.globl	_ZN9rocsparseL30bsrgemm_fill_block_per_row_2x2ILj256ELj16ELj128ELj137ElldEEv20rocsparse_direction_T4_S2_PKS2_S4_NS_24const_host_device_scalarIT5_EEPKT3_S4_PKS6_SA_S4_SC_S7_SA_S4_SC_SA_PS2_PS6_21rocsparse_index_base_SF_SF_SF_bbb ; -- Begin function _ZN9rocsparseL30bsrgemm_fill_block_per_row_2x2ILj256ELj16ELj128ELj137ElldEEv20rocsparse_direction_T4_S2_PKS2_S4_NS_24const_host_device_scalarIT5_EEPKT3_S4_PKS6_SA_S4_SC_S7_SA_S4_SC_SA_PS2_PS6_21rocsparse_index_base_SF_SF_SF_bbb
	.p2align	8
	.type	_ZN9rocsparseL30bsrgemm_fill_block_per_row_2x2ILj256ELj16ELj128ELj137ElldEEv20rocsparse_direction_T4_S2_PKS2_S4_NS_24const_host_device_scalarIT5_EEPKT3_S4_PKS6_SA_S4_SC_S7_SA_S4_SC_SA_PS2_PS6_21rocsparse_index_base_SF_SF_SF_bbb,@function
_ZN9rocsparseL30bsrgemm_fill_block_per_row_2x2ILj256ELj16ELj128ELj137ElldEEv20rocsparse_direction_T4_S2_PKS2_S4_NS_24const_host_device_scalarIT5_EEPKT3_S4_PKS6_SA_S4_SC_S7_SA_S4_SC_SA_PS2_PS6_21rocsparse_index_base_SF_SF_SF_bbb: ; @_ZN9rocsparseL30bsrgemm_fill_block_per_row_2x2ILj256ELj16ELj128ELj137ElldEEv20rocsparse_direction_T4_S2_PKS2_S4_NS_24const_host_device_scalarIT5_EEPKT3_S4_PKS6_SA_S4_SC_S7_SA_S4_SC_SA_PS2_PS6_21rocsparse_index_base_SF_SF_SF_bbb
; %bb.0:
	s_clause 0x2
	s_load_b32 s6, s[0:1], 0xa8
	s_load_b64 s[4:5], s[0:1], 0x28
	s_load_b64 s[2:3], s[0:1], 0x60
	s_mov_b32 s34, s15
	s_waitcnt lgkmcnt(0)
	s_and_b32 s8, 1, s6
	s_bitcmp1_b32 s6, 16
	s_cselect_b32 s7, -1, 0
	s_cmp_eq_u32 s8, 1
	s_cselect_b32 s42, -1, 0
	s_delay_alu instid0(SALU_CYCLE_1)
	s_and_b32 s8, s42, exec_lo
	s_cselect_b32 s9, s5, 0
	s_cselect_b32 s8, s4, 0
	s_xor_b32 s10, s42, -1
	v_dual_mov_b32 v3, s8 :: v_dual_mov_b32 v4, s9
	s_or_b32 s10, s10, s7
	s_delay_alu instid0(SALU_CYCLE_1)
	s_and_b32 vcc_lo, exec_lo, s10
	s_cbranch_vccnz .LBB111_2
; %bb.1:
	v_dual_mov_b32 v1, s4 :: v_dual_mov_b32 v2, s5
	flat_load_b64 v[3:4], v[1:2]
.LBB111_2:
	s_bitcmp1_b32 s6, 8
	s_cselect_b32 s33, -1, 0
	s_delay_alu instid0(SALU_CYCLE_1)
	s_and_b32 s4, s33, exec_lo
	s_cselect_b32 s5, s3, 0
	s_cselect_b32 s4, s2, 0
	s_xor_b32 s6, s33, -1
	v_dual_mov_b32 v1, s4 :: v_dual_mov_b32 v2, s5
	s_or_b32 s6, s6, s7
	s_delay_alu instid0(SALU_CYCLE_1)
	s_and_b32 vcc_lo, exec_lo, s6
	s_cbranch_vccnz .LBB111_4
; %bb.3:
	v_dual_mov_b32 v1, s2 :: v_dual_mov_b32 v2, s3
	flat_load_b64 v[1:2], v[1:2]
.LBB111_4:
	s_clause 0x1
	s_load_b128 s[20:23], s[0:1], 0x98
	s_load_b64 s[40:41], s[0:1], 0x10
	v_cmp_gt_u32_e64 s2, 0x80, v0
	v_lshl_add_u32 v35, v0, 3, 0
	s_delay_alu instid0(VALU_DEP_2)
	s_and_saveexec_b32 s3, s2
	s_cbranch_execz .LBB111_6
; %bb.5:
	s_waitcnt lgkmcnt(0)
	v_dual_mov_b32 v5, s40 :: v_dual_mov_b32 v6, s41
	ds_store_b64 v35, v[5:6]
.LBB111_6:
	s_or_b32 exec_lo, exec_lo, s3
	s_clause 0x4
	s_load_b128 s[24:27], s[0:1], 0x88
	s_load_b256 s[4:11], s[0:1], 0x68
	s_load_b128 s[28:31], s[0:1], 0x50
	s_load_b128 s[36:39], s[0:1], 0x18
	s_load_b256 s[12:19], s[0:1], 0x30
	s_mov_b32 s3, exec_lo
	v_cmpx_gt_u32_e32 0x200, v0
	s_cbranch_execz .LBB111_9
; %bb.7:
	v_dual_mov_b32 v5, 0 :: v_dual_lshlrev_b32 v6, 3, v0
	v_or_b32_e32 v7, 0xffffff00, v0
	s_mov_b32 s35, 0
	s_delay_alu instid0(VALU_DEP_2) | instskip(NEXT) | instid1(VALU_DEP_3)
	v_add3_u32 v8, v6, 0, 0x400
	v_mov_b32_e32 v6, v5
.LBB111_8:                              ; =>This Inner Loop Header: Depth=1
	s_delay_alu instid0(VALU_DEP_3) | instskip(NEXT) | instid1(VALU_DEP_1)
	v_add_co_u32 v7, s43, 0x100, v7
	s_xor_b32 s43, s43, -1
	ds_store_b64 v8, v[5:6]
	v_add_nc_u32_e32 v8, 0x800, v8
	s_and_b32 s43, exec_lo, s43
	s_delay_alu instid0(SALU_CYCLE_1) | instskip(NEXT) | instid1(SALU_CYCLE_1)
	s_or_b32 s35, s43, s35
	s_and_not1_b32 exec_lo, exec_lo, s35
	s_cbranch_execnz .LBB111_8
.LBB111_9:
	s_or_b32 exec_lo, exec_lo, s3
	s_waitcnt lgkmcnt(0)
	s_cmp_lg_u64 s[38:39], 0
	s_mov_b32 s35, 0
	s_waitcnt vmcnt(0)
	s_barrier
	buffer_gl0_inv
	s_cbranch_scc0 .LBB111_11
; %bb.10:
	s_load_b64 s[36:37], s[36:37], 0x0
	s_waitcnt lgkmcnt(0)
	s_lshl_b64 s[36:37], s[36:37], 3
	s_delay_alu instid0(SALU_CYCLE_1) | instskip(SKIP_2) | instid1(SALU_CYCLE_1)
	s_add_u32 s3, s38, s36
	s_addc_u32 s36, s39, s37
	s_lshl_b64 s[34:35], s[34:35], 3
	s_add_u32 s34, s3, s34
	s_addc_u32 s35, s36, s35
	s_load_b64 s[34:35], s[34:35], 0x0
.LBB111_11:
	s_load_b32 s3, s[0:1], 0x0
	s_and_not1_b32 vcc_lo, exec_lo, s42
	s_cbranch_vccnz .LBB111_83
; %bb.12:
	s_waitcnt lgkmcnt(0)
	s_lshl_b64 s[0:1], s[34:35], 3
	v_lshrrev_b32_e32 v5, 4, v0
	s_add_u32 s0, s12, s0
	s_addc_u32 s1, s13, s1
	s_mov_b32 s13, 0
	s_load_b128 s[36:39], s[0:1], 0x0
	v_sub_co_u32 v5, s0, v5, s20
	s_delay_alu instid0(VALU_DEP_1) | instskip(SKIP_2) | instid1(VALU_DEP_2)
	v_sub_co_ci_u32_e64 v6, null, 0, 0, s0
	s_mov_b32 s12, exec_lo
	s_waitcnt lgkmcnt(0)
	v_add_co_u32 v5, vcc_lo, s36, v5
	s_delay_alu instid0(VALU_DEP_2)
	v_add_co_ci_u32_e32 v6, vcc_lo, s37, v6, vcc_lo
	s_sub_u32 s0, s38, s20
	s_subb_u32 s1, s39, 0
	s_delay_alu instid0(VALU_DEP_1) | instid1(SALU_CYCLE_1)
	v_cmpx_gt_i64_e64 s[0:1], v[5:6]
	s_cbranch_execz .LBB111_82
; %bb.13:
	v_and_b32_e32 v7, 15, v0
	s_cmp_eq_u32 s3, 0
	s_cselect_b32 s37, 2, 1
	s_delay_alu instid0(VALU_DEP_1) | instskip(NEXT) | instid1(VALU_DEP_1)
	v_sub_co_u32 v36, s36, v7, s21
	v_sub_co_ci_u32_e64 v37, null, 0, 0, s36
	s_cselect_b32 s36, 1, 2
	s_branch .LBB111_15
.LBB111_14:                             ;   in Loop: Header=BB111_15 Depth=1
	s_or_b32 exec_lo, exec_lo, s38
	v_add_co_u32 v5, vcc_lo, v5, 16
	v_add_co_ci_u32_e32 v6, vcc_lo, 0, v6, vcc_lo
	s_delay_alu instid0(VALU_DEP_1) | instskip(SKIP_1) | instid1(SALU_CYCLE_1)
	v_cmp_le_i64_e32 vcc_lo, s[0:1], v[5:6]
	s_or_b32 s13, vcc_lo, s13
	s_and_not1_b32 exec_lo, exec_lo, s13
	s_cbranch_execz .LBB111_82
.LBB111_15:                             ; =>This Loop Header: Depth=1
                                        ;     Child Loop BB111_18 Depth 2
                                        ;       Child Loop BB111_20 Depth 3
                                        ;         Child Loop BB111_26 Depth 4
                                        ;         Child Loop BB111_32 Depth 4
                                        ;       Child Loop BB111_36 Depth 3
                                        ;         Child Loop BB111_42 Depth 4
                                        ;         Child Loop BB111_48 Depth 4
                                        ;       Child Loop BB111_52 Depth 3
                                        ;         Child Loop BB111_58 Depth 4
                                        ;         Child Loop BB111_64 Depth 4
                                        ;       Child Loop BB111_68 Depth 3
                                        ;         Child Loop BB111_74 Depth 4
                                        ;         Child Loop BB111_80 Depth 4
	v_lshlrev_b64 v[7:8], 3, v[5:6]
	s_mov_b32 s38, exec_lo
	s_delay_alu instid0(VALU_DEP_1) | instskip(NEXT) | instid1(VALU_DEP_2)
	v_add_co_u32 v7, vcc_lo, s14, v7
	v_add_co_ci_u32_e32 v8, vcc_lo, s15, v8, vcc_lo
	global_load_b64 v[7:8], v[7:8], off
	s_waitcnt vmcnt(0)
	v_sub_co_u32 v7, vcc_lo, v7, s20
	v_subrev_co_ci_u32_e32 v8, vcc_lo, 0, v8, vcc_lo
	s_delay_alu instid0(VALU_DEP_1) | instskip(NEXT) | instid1(VALU_DEP_1)
	v_lshlrev_b64 v[7:8], 3, v[7:8]
	v_add_co_u32 v7, vcc_lo, s18, v7
	s_delay_alu instid0(VALU_DEP_2)
	v_add_co_ci_u32_e32 v8, vcc_lo, s19, v8, vcc_lo
	global_load_b128 v[9:12], v[7:8], off
	s_waitcnt vmcnt(0)
	v_sub_co_u32 v7, vcc_lo, v11, s21
	v_subrev_co_ci_u32_e32 v8, vcc_lo, 0, v12, vcc_lo
	v_add_co_u32 v9, vcc_lo, v9, v36
	v_add_co_ci_u32_e32 v10, vcc_lo, v10, v37, vcc_lo
	s_delay_alu instid0(VALU_DEP_1)
	v_cmpx_lt_i64_e64 v[9:10], v[7:8]
	s_cbranch_execz .LBB111_14
; %bb.16:                               ;   in Loop: Header=BB111_15 Depth=1
	v_lshlrev_b64 v[11:12], 2, v[5:6]
	v_lshlrev_b64 v[15:16], 5, v[5:6]
	s_mov_b32 s39, 0
	s_delay_alu instid0(VALU_DEP_2) | instskip(NEXT) | instid1(VALU_DEP_3)
	v_or_b32_e32 v14, 0, v12
	v_or_b32_e32 v13, s37, v11
	;; [unrolled: 1-line block ×4, first 2 shown]
	v_add_co_u32 v15, vcc_lo, s16, v15
	s_delay_alu instid0(VALU_DEP_4) | instskip(SKIP_1) | instid1(VALU_DEP_4)
	v_lshlrev_b64 v[13:14], 3, v[13:14]
	v_add_co_ci_u32_e32 v16, vcc_lo, s17, v16, vcc_lo
	v_lshlrev_b64 v[11:12], 3, v[11:12]
	s_delay_alu instid0(VALU_DEP_3) | instskip(NEXT) | instid1(VALU_DEP_4)
	v_add_co_u32 v13, vcc_lo, s16, v13
	v_add_co_ci_u32_e32 v14, vcc_lo, s17, v14, vcc_lo
	s_delay_alu instid0(VALU_DEP_3) | instskip(NEXT) | instid1(VALU_DEP_4)
	v_add_co_u32 v11, vcc_lo, s16, v11
	v_add_co_ci_u32_e32 v12, vcc_lo, s17, v12, vcc_lo
	s_clause 0x3
	global_load_b64 v[17:18], v[15:16], off offset:24
	global_load_b64 v[13:14], v[13:14], off
	global_load_b64 v[19:20], v[11:12], off
	;; [unrolled: 1-line block ×3, first 2 shown]
	s_waitcnt vmcnt(3)
	v_mul_f64 v[11:12], v[3:4], v[17:18]
	s_waitcnt vmcnt(2)
	v_mul_f64 v[13:14], v[3:4], v[13:14]
	;; [unrolled: 2-line block ×4, first 2 shown]
	s_branch .LBB111_18
.LBB111_17:                             ;   in Loop: Header=BB111_18 Depth=2
	s_or_b32 exec_lo, exec_lo, s42
	v_add_co_u32 v9, vcc_lo, v9, 16
	v_add_co_ci_u32_e32 v10, vcc_lo, 0, v10, vcc_lo
	s_delay_alu instid0(VALU_DEP_1) | instskip(SKIP_1) | instid1(SALU_CYCLE_1)
	v_cmp_ge_i64_e32 vcc_lo, v[9:10], v[7:8]
	s_or_b32 s39, vcc_lo, s39
	s_and_not1_b32 exec_lo, exec_lo, s39
	s_cbranch_execz .LBB111_14
.LBB111_18:                             ;   Parent Loop BB111_15 Depth=1
                                        ; =>  This Loop Header: Depth=2
                                        ;       Child Loop BB111_20 Depth 3
                                        ;         Child Loop BB111_26 Depth 4
                                        ;         Child Loop BB111_32 Depth 4
                                        ;       Child Loop BB111_36 Depth 3
                                        ;         Child Loop BB111_42 Depth 4
                                        ;         Child Loop BB111_48 Depth 4
	;; [unrolled: 3-line block ×4, first 2 shown]
	v_lshlrev_b64 v[19:20], 2, v[9:10]
	s_mov_b32 s42, 0
	s_delay_alu instid0(VALU_DEP_1) | instskip(NEXT) | instid1(VALU_DEP_2)
	v_or_b32_e32 v22, 0, v20
	v_or_b32_e32 v21, s37, v19
	;; [unrolled: 1-line block ×4, first 2 shown]
	s_delay_alu instid0(VALU_DEP_3) | instskip(NEXT) | instid1(VALU_DEP_2)
	v_lshlrev_b64 v[21:22], 3, v[21:22]
	v_lshlrev_b64 v[19:20], 3, v[19:20]
	s_delay_alu instid0(VALU_DEP_2) | instskip(NEXT) | instid1(VALU_DEP_3)
	v_add_co_u32 v21, vcc_lo, s30, v21
	v_add_co_ci_u32_e32 v22, vcc_lo, s31, v22, vcc_lo
	global_load_b64 v[26:27], v[21:22], off
	v_lshlrev_b64 v[21:22], 5, v[9:10]
	s_delay_alu instid0(VALU_DEP_1) | instskip(NEXT) | instid1(VALU_DEP_2)
	v_add_co_u32 v24, vcc_lo, s30, v21
	v_add_co_ci_u32_e32 v25, vcc_lo, s31, v22, vcc_lo
	v_lshlrev_b64 v[21:22], 3, v[9:10]
	global_load_b64 v[28:29], v[24:25], off
	v_add_co_u32 v21, vcc_lo, s28, v21
	v_add_co_ci_u32_e32 v22, vcc_lo, s29, v22, vcc_lo
	v_add_co_u32 v19, vcc_lo, s30, v19
	v_add_co_ci_u32_e32 v20, vcc_lo, s31, v20, vcc_lo
	global_load_b64 v[32:33], v[21:22], off
	s_clause 0x1
	global_load_b64 v[22:23], v[19:20], off
	global_load_b64 v[24:25], v[24:25], off offset:24
	s_waitcnt vmcnt(4)
	v_mul_f64 v[19:20], v[15:16], v[26:27]
	s_waitcnt vmcnt(3)
	s_delay_alu instid0(VALU_DEP_1) | instskip(SKIP_3) | instid1(VALU_DEP_2)
	v_fma_f64 v[30:31], v[17:18], v[28:29], v[19:20]
	s_waitcnt vmcnt(2)
	v_sub_co_u32 v19, vcc_lo, v32, s21
	v_subrev_co_ci_u32_e32 v20, vcc_lo, 0, v33, vcc_lo
	v_lshl_add_u32 v21, v19, 3, v19
	s_delay_alu instid0(VALU_DEP_1) | instskip(SKIP_1) | instid1(VALU_DEP_1)
	v_and_b32_e32 v21, 0x7f, v21
	s_waitcnt vmcnt(1)
	v_dual_mov_b32 v33, v22 :: v_dual_mov_b32 v32, v21
	s_branch .LBB111_20
.LBB111_19:                             ;   in Loop: Header=BB111_20 Depth=3
	s_or_b32 exec_lo, exec_lo, s43
	s_xor_b32 s43, s44, -1
	s_delay_alu instid0(SALU_CYCLE_1) | instskip(NEXT) | instid1(SALU_CYCLE_1)
	s_and_b32 s43, exec_lo, s43
	s_or_b32 s42, s43, s42
	s_delay_alu instid0(SALU_CYCLE_1)
	s_and_not1_b32 exec_lo, exec_lo, s42
	s_cbranch_execz .LBB111_34
.LBB111_20:                             ;   Parent Loop BB111_15 Depth=1
                                        ;     Parent Loop BB111_18 Depth=2
                                        ; =>    This Loop Header: Depth=3
                                        ;         Child Loop BB111_26 Depth 4
                                        ;         Child Loop BB111_32 Depth 4
	s_delay_alu instid0(VALU_DEP_1)
	v_lshl_add_u32 v38, v32, 3, 0
	s_mov_b32 s43, exec_lo
                                        ; implicit-def: $sgpr44
	ds_load_b64 v[33:34], v38
	s_waitcnt lgkmcnt(0)
	v_cmpx_ne_u64_e64 v[33:34], v[19:20]
	s_xor_b32 s43, exec_lo, s43
	s_cbranch_execz .LBB111_30
; %bb.21:                               ;   in Loop: Header=BB111_20 Depth=3
	s_mov_b32 s45, exec_lo
                                        ; implicit-def: $sgpr44
	v_cmpx_ne_u64_e64 s[40:41], v[33:34]
	s_xor_b32 s45, exec_lo, s45
; %bb.22:                               ;   in Loop: Header=BB111_20 Depth=3
	v_add_nc_u32_e32 v32, 1, v32
	s_mov_b32 s44, -1
                                        ; implicit-def: $vgpr38
	s_delay_alu instid0(VALU_DEP_1)
	v_and_b32_e32 v32, 0x7f, v32
; %bb.23:                               ;   in Loop: Header=BB111_20 Depth=3
	s_and_not1_saveexec_b32 s45, s45
	s_cbranch_execz .LBB111_29
; %bb.24:                               ;   in Loop: Header=BB111_20 Depth=3
	v_dual_mov_b32 v33, s40 :: v_dual_mov_b32 v34, s41
	s_mov_b32 s47, -1
	s_mov_b32 s46, exec_lo
	ds_cmpstore_rtn_b64 v[33:34], v38, v[19:20], v[33:34]
	s_waitcnt lgkmcnt(0)
	v_cmpx_eq_u64_e64 s[40:41], v[33:34]
	s_cbranch_execz .LBB111_28
; %bb.25:                               ;   in Loop: Header=BB111_20 Depth=3
	v_mul_lo_u32 v33, v32, 24
	s_mov_b32 s47, 0
	s_delay_alu instid0(VALU_DEP_1)
	v_add_nc_u32_e32 v38, v38, v33
	ds_load_b64 v[33:34], v38 offset:1024
.LBB111_26:                             ;   Parent Loop BB111_15 Depth=1
                                        ;     Parent Loop BB111_18 Depth=2
                                        ;       Parent Loop BB111_20 Depth=3
                                        ; =>      This Inner Loop Header: Depth=4
	s_waitcnt lgkmcnt(0)
	v_add_f64 v[39:40], v[33:34], v[30:31]
	ds_cmpstore_rtn_b64 v[39:40], v38, v[39:40], v[33:34] offset:1024
	s_waitcnt lgkmcnt(0)
	v_cmp_eq_u64_e32 vcc_lo, v[39:40], v[33:34]
	v_dual_mov_b32 v33, v39 :: v_dual_mov_b32 v34, v40
	s_or_b32 s47, vcc_lo, s47
	s_delay_alu instid0(SALU_CYCLE_1)
	s_and_not1_b32 exec_lo, exec_lo, s47
	s_cbranch_execnz .LBB111_26
; %bb.27:                               ;   in Loop: Header=BB111_20 Depth=3
	s_or_b32 exec_lo, exec_lo, s47
	s_delay_alu instid0(SALU_CYCLE_1)
	s_xor_b32 s47, exec_lo, -1
.LBB111_28:                             ;   in Loop: Header=BB111_20 Depth=3
	s_or_b32 exec_lo, exec_lo, s46
	s_delay_alu instid0(SALU_CYCLE_1) | instskip(SKIP_1) | instid1(SALU_CYCLE_1)
	s_and_not1_b32 s44, s44, exec_lo
	s_and_b32 s46, s47, exec_lo
	s_or_b32 s44, s44, s46
.LBB111_29:                             ;   in Loop: Header=BB111_20 Depth=3
	s_or_b32 exec_lo, exec_lo, s45
	s_delay_alu instid0(SALU_CYCLE_1)
	s_and_b32 s44, s44, exec_lo
                                        ; implicit-def: $vgpr38
.LBB111_30:                             ;   in Loop: Header=BB111_20 Depth=3
	s_and_not1_saveexec_b32 s43, s43
	s_cbranch_execz .LBB111_19
; %bb.31:                               ;   in Loop: Header=BB111_20 Depth=3
	v_mul_lo_u32 v33, v32, 24
	s_mov_b32 s45, 0
	s_delay_alu instid0(VALU_DEP_1)
	v_add_nc_u32_e32 v38, v38, v33
	ds_load_b64 v[33:34], v38 offset:1024
.LBB111_32:                             ;   Parent Loop BB111_15 Depth=1
                                        ;     Parent Loop BB111_18 Depth=2
                                        ;       Parent Loop BB111_20 Depth=3
                                        ; =>      This Inner Loop Header: Depth=4
	s_waitcnt lgkmcnt(0)
	v_add_f64 v[39:40], v[33:34], v[30:31]
	ds_cmpstore_rtn_b64 v[39:40], v38, v[39:40], v[33:34] offset:1024
	s_waitcnt lgkmcnt(0)
	v_cmp_eq_u64_e32 vcc_lo, v[39:40], v[33:34]
	v_dual_mov_b32 v33, v39 :: v_dual_mov_b32 v34, v40
	s_or_b32 s45, vcc_lo, s45
	s_delay_alu instid0(SALU_CYCLE_1)
	s_and_not1_b32 exec_lo, exec_lo, s45
	s_cbranch_execnz .LBB111_32
; %bb.33:                               ;   in Loop: Header=BB111_20 Depth=3
	s_or_b32 exec_lo, exec_lo, s45
	s_delay_alu instid0(SALU_CYCLE_1)
	s_and_not1_b32 s44, s44, exec_lo
	s_branch .LBB111_19
.LBB111_34:                             ;   in Loop: Header=BB111_18 Depth=2
	s_or_b32 exec_lo, exec_lo, s42
	s_waitcnt vmcnt(0)
	v_mul_f64 v[30:31], v[15:16], v[24:25]
	v_dual_mov_b32 v33, v22 :: v_dual_mov_b32 v32, v21
	s_mov_b32 s42, 0
	s_delay_alu instid0(VALU_DEP_2)
	v_fma_f64 v[30:31], v[17:18], v[22:23], v[30:31]
	s_branch .LBB111_36
.LBB111_35:                             ;   in Loop: Header=BB111_36 Depth=3
	s_or_b32 exec_lo, exec_lo, s43
	s_xor_b32 s43, s44, -1
	s_delay_alu instid0(SALU_CYCLE_1) | instskip(NEXT) | instid1(SALU_CYCLE_1)
	s_and_b32 s43, exec_lo, s43
	s_or_b32 s42, s43, s42
	s_delay_alu instid0(SALU_CYCLE_1)
	s_and_not1_b32 exec_lo, exec_lo, s42
	s_cbranch_execz .LBB111_50
.LBB111_36:                             ;   Parent Loop BB111_15 Depth=1
                                        ;     Parent Loop BB111_18 Depth=2
                                        ; =>    This Loop Header: Depth=3
                                        ;         Child Loop BB111_42 Depth 4
                                        ;         Child Loop BB111_48 Depth 4
	s_delay_alu instid0(VALU_DEP_2)
	v_lshl_add_u32 v38, v32, 3, 0
	s_mov_b32 s43, exec_lo
                                        ; implicit-def: $sgpr44
	ds_load_b64 v[33:34], v38
	s_waitcnt lgkmcnt(0)
	v_cmpx_ne_u64_e64 v[33:34], v[19:20]
	s_xor_b32 s43, exec_lo, s43
	s_cbranch_execz .LBB111_46
; %bb.37:                               ;   in Loop: Header=BB111_36 Depth=3
	s_mov_b32 s45, exec_lo
                                        ; implicit-def: $sgpr44
	v_cmpx_ne_u64_e64 s[40:41], v[33:34]
	s_xor_b32 s45, exec_lo, s45
; %bb.38:                               ;   in Loop: Header=BB111_36 Depth=3
	v_add_nc_u32_e32 v32, 1, v32
	s_mov_b32 s44, -1
                                        ; implicit-def: $vgpr38
	s_delay_alu instid0(VALU_DEP_1)
	v_and_b32_e32 v32, 0x7f, v32
; %bb.39:                               ;   in Loop: Header=BB111_36 Depth=3
	s_and_not1_saveexec_b32 s45, s45
	s_cbranch_execz .LBB111_45
; %bb.40:                               ;   in Loop: Header=BB111_36 Depth=3
	v_dual_mov_b32 v33, s40 :: v_dual_mov_b32 v34, s41
	s_mov_b32 s47, -1
	s_mov_b32 s46, exec_lo
	ds_cmpstore_rtn_b64 v[33:34], v38, v[19:20], v[33:34]
	s_waitcnt lgkmcnt(0)
	v_cmpx_eq_u64_e64 s[40:41], v[33:34]
	s_cbranch_execz .LBB111_44
; %bb.41:                               ;   in Loop: Header=BB111_36 Depth=3
	v_mul_lo_u32 v33, v32, 24
	s_mov_b32 s47, 0
	s_delay_alu instid0(VALU_DEP_1)
	v_add_nc_u32_e32 v38, v38, v33
	ds_load_b64 v[33:34], v38 offset:1032
.LBB111_42:                             ;   Parent Loop BB111_15 Depth=1
                                        ;     Parent Loop BB111_18 Depth=2
                                        ;       Parent Loop BB111_36 Depth=3
                                        ; =>      This Inner Loop Header: Depth=4
	s_waitcnt lgkmcnt(0)
	v_add_f64 v[39:40], v[33:34], v[30:31]
	ds_cmpstore_rtn_b64 v[39:40], v38, v[39:40], v[33:34] offset:1032
	s_waitcnt lgkmcnt(0)
	v_cmp_eq_u64_e32 vcc_lo, v[39:40], v[33:34]
	v_dual_mov_b32 v33, v39 :: v_dual_mov_b32 v34, v40
	s_or_b32 s47, vcc_lo, s47
	s_delay_alu instid0(SALU_CYCLE_1)
	s_and_not1_b32 exec_lo, exec_lo, s47
	s_cbranch_execnz .LBB111_42
; %bb.43:                               ;   in Loop: Header=BB111_36 Depth=3
	s_or_b32 exec_lo, exec_lo, s47
	s_delay_alu instid0(SALU_CYCLE_1)
	s_xor_b32 s47, exec_lo, -1
.LBB111_44:                             ;   in Loop: Header=BB111_36 Depth=3
	s_or_b32 exec_lo, exec_lo, s46
	s_delay_alu instid0(SALU_CYCLE_1) | instskip(SKIP_1) | instid1(SALU_CYCLE_1)
	s_and_not1_b32 s44, s44, exec_lo
	s_and_b32 s46, s47, exec_lo
	s_or_b32 s44, s44, s46
.LBB111_45:                             ;   in Loop: Header=BB111_36 Depth=3
	s_or_b32 exec_lo, exec_lo, s45
	s_delay_alu instid0(SALU_CYCLE_1)
	s_and_b32 s44, s44, exec_lo
                                        ; implicit-def: $vgpr38
.LBB111_46:                             ;   in Loop: Header=BB111_36 Depth=3
	s_and_not1_saveexec_b32 s43, s43
	s_cbranch_execz .LBB111_35
; %bb.47:                               ;   in Loop: Header=BB111_36 Depth=3
	v_mul_lo_u32 v33, v32, 24
	s_mov_b32 s45, 0
	s_delay_alu instid0(VALU_DEP_1)
	v_add_nc_u32_e32 v38, v38, v33
	ds_load_b64 v[33:34], v38 offset:1032
.LBB111_48:                             ;   Parent Loop BB111_15 Depth=1
                                        ;     Parent Loop BB111_18 Depth=2
                                        ;       Parent Loop BB111_36 Depth=3
                                        ; =>      This Inner Loop Header: Depth=4
	s_waitcnt lgkmcnt(0)
	v_add_f64 v[39:40], v[33:34], v[30:31]
	ds_cmpstore_rtn_b64 v[39:40], v38, v[39:40], v[33:34] offset:1032
	s_waitcnt lgkmcnt(0)
	v_cmp_eq_u64_e32 vcc_lo, v[39:40], v[33:34]
	v_dual_mov_b32 v33, v39 :: v_dual_mov_b32 v34, v40
	s_or_b32 s45, vcc_lo, s45
	s_delay_alu instid0(SALU_CYCLE_1)
	s_and_not1_b32 exec_lo, exec_lo, s45
	s_cbranch_execnz .LBB111_48
; %bb.49:                               ;   in Loop: Header=BB111_36 Depth=3
	s_or_b32 exec_lo, exec_lo, s45
	s_delay_alu instid0(SALU_CYCLE_1)
	s_and_not1_b32 s44, s44, exec_lo
	s_branch .LBB111_35
.LBB111_50:                             ;   in Loop: Header=BB111_18 Depth=2
	s_or_b32 exec_lo, exec_lo, s42
	v_mul_f64 v[26:27], v[11:12], v[26:27]
	s_mov_b32 s42, 0
	s_delay_alu instid0(VALU_DEP_1)
	v_fma_f64 v[26:27], v[13:14], v[28:29], v[26:27]
	v_dual_mov_b32 v29, v22 :: v_dual_mov_b32 v28, v21
	s_branch .LBB111_52
.LBB111_51:                             ;   in Loop: Header=BB111_52 Depth=3
	s_or_b32 exec_lo, exec_lo, s43
	s_xor_b32 s43, s44, -1
	s_delay_alu instid0(SALU_CYCLE_1) | instskip(NEXT) | instid1(SALU_CYCLE_1)
	s_and_b32 s43, exec_lo, s43
	s_or_b32 s42, s43, s42
	s_delay_alu instid0(SALU_CYCLE_1)
	s_and_not1_b32 exec_lo, exec_lo, s42
	s_cbranch_execz .LBB111_66
.LBB111_52:                             ;   Parent Loop BB111_15 Depth=1
                                        ;     Parent Loop BB111_18 Depth=2
                                        ; =>    This Loop Header: Depth=3
                                        ;         Child Loop BB111_58 Depth 4
                                        ;         Child Loop BB111_64 Depth 4
	s_delay_alu instid0(VALU_DEP_1)
	v_lshl_add_u32 v31, v28, 3, 0
	s_mov_b32 s43, exec_lo
                                        ; implicit-def: $sgpr44
	ds_load_b64 v[29:30], v31
	s_waitcnt lgkmcnt(0)
	v_cmpx_ne_u64_e64 v[29:30], v[19:20]
	s_xor_b32 s43, exec_lo, s43
	s_cbranch_execz .LBB111_62
; %bb.53:                               ;   in Loop: Header=BB111_52 Depth=3
	s_mov_b32 s45, exec_lo
                                        ; implicit-def: $sgpr44
	v_cmpx_ne_u64_e64 s[40:41], v[29:30]
	s_xor_b32 s45, exec_lo, s45
; %bb.54:                               ;   in Loop: Header=BB111_52 Depth=3
	v_add_nc_u32_e32 v28, 1, v28
	s_mov_b32 s44, -1
                                        ; implicit-def: $vgpr31
	s_delay_alu instid0(VALU_DEP_1)
	v_and_b32_e32 v28, 0x7f, v28
; %bb.55:                               ;   in Loop: Header=BB111_52 Depth=3
	s_and_not1_saveexec_b32 s45, s45
	s_cbranch_execz .LBB111_61
; %bb.56:                               ;   in Loop: Header=BB111_52 Depth=3
	v_dual_mov_b32 v29, s40 :: v_dual_mov_b32 v30, s41
	s_mov_b32 s47, -1
	s_mov_b32 s46, exec_lo
	ds_cmpstore_rtn_b64 v[29:30], v31, v[19:20], v[29:30]
	s_waitcnt lgkmcnt(0)
	v_cmpx_eq_u64_e64 s[40:41], v[29:30]
	s_cbranch_execz .LBB111_60
; %bb.57:                               ;   in Loop: Header=BB111_52 Depth=3
	v_mul_lo_u32 v29, v28, 24
	s_mov_b32 s47, 0
	s_delay_alu instid0(VALU_DEP_1)
	v_add_nc_u32_e32 v31, v31, v29
	ds_load_b64 v[29:30], v31 offset:1040
.LBB111_58:                             ;   Parent Loop BB111_15 Depth=1
                                        ;     Parent Loop BB111_18 Depth=2
                                        ;       Parent Loop BB111_52 Depth=3
                                        ; =>      This Inner Loop Header: Depth=4
	s_waitcnt lgkmcnt(0)
	v_add_f64 v[32:33], v[29:30], v[26:27]
	ds_cmpstore_rtn_b64 v[32:33], v31, v[32:33], v[29:30] offset:1040
	s_waitcnt lgkmcnt(0)
	v_cmp_eq_u64_e32 vcc_lo, v[32:33], v[29:30]
	v_dual_mov_b32 v29, v32 :: v_dual_mov_b32 v30, v33
	s_or_b32 s47, vcc_lo, s47
	s_delay_alu instid0(SALU_CYCLE_1)
	s_and_not1_b32 exec_lo, exec_lo, s47
	s_cbranch_execnz .LBB111_58
; %bb.59:                               ;   in Loop: Header=BB111_52 Depth=3
	s_or_b32 exec_lo, exec_lo, s47
	s_delay_alu instid0(SALU_CYCLE_1)
	s_xor_b32 s47, exec_lo, -1
.LBB111_60:                             ;   in Loop: Header=BB111_52 Depth=3
	s_or_b32 exec_lo, exec_lo, s46
	s_delay_alu instid0(SALU_CYCLE_1) | instskip(SKIP_1) | instid1(SALU_CYCLE_1)
	s_and_not1_b32 s44, s44, exec_lo
	s_and_b32 s46, s47, exec_lo
	s_or_b32 s44, s44, s46
.LBB111_61:                             ;   in Loop: Header=BB111_52 Depth=3
	s_or_b32 exec_lo, exec_lo, s45
	s_delay_alu instid0(SALU_CYCLE_1)
	s_and_b32 s44, s44, exec_lo
                                        ; implicit-def: $vgpr31
.LBB111_62:                             ;   in Loop: Header=BB111_52 Depth=3
	s_and_not1_saveexec_b32 s43, s43
	s_cbranch_execz .LBB111_51
; %bb.63:                               ;   in Loop: Header=BB111_52 Depth=3
	v_mul_lo_u32 v29, v28, 24
	s_mov_b32 s45, 0
	s_delay_alu instid0(VALU_DEP_1)
	v_add_nc_u32_e32 v31, v31, v29
	ds_load_b64 v[29:30], v31 offset:1040
.LBB111_64:                             ;   Parent Loop BB111_15 Depth=1
                                        ;     Parent Loop BB111_18 Depth=2
                                        ;       Parent Loop BB111_52 Depth=3
                                        ; =>      This Inner Loop Header: Depth=4
	s_waitcnt lgkmcnt(0)
	v_add_f64 v[32:33], v[29:30], v[26:27]
	ds_cmpstore_rtn_b64 v[32:33], v31, v[32:33], v[29:30] offset:1040
	s_waitcnt lgkmcnt(0)
	v_cmp_eq_u64_e32 vcc_lo, v[32:33], v[29:30]
	v_dual_mov_b32 v29, v32 :: v_dual_mov_b32 v30, v33
	s_or_b32 s45, vcc_lo, s45
	s_delay_alu instid0(SALU_CYCLE_1)
	s_and_not1_b32 exec_lo, exec_lo, s45
	s_cbranch_execnz .LBB111_64
; %bb.65:                               ;   in Loop: Header=BB111_52 Depth=3
	s_or_b32 exec_lo, exec_lo, s45
	s_delay_alu instid0(SALU_CYCLE_1)
	s_and_not1_b32 s44, s44, exec_lo
	s_branch .LBB111_51
.LBB111_66:                             ;   in Loop: Header=BB111_18 Depth=2
	s_or_b32 exec_lo, exec_lo, s42
	v_mul_f64 v[24:25], v[11:12], v[24:25]
	s_mov_b32 s42, 0
	s_delay_alu instid0(VALU_DEP_1)
	v_fma_f64 v[22:23], v[13:14], v[22:23], v[24:25]
	s_branch .LBB111_68
.LBB111_67:                             ;   in Loop: Header=BB111_68 Depth=3
	s_or_b32 exec_lo, exec_lo, s43
	s_xor_b32 s43, s44, -1
	s_delay_alu instid0(SALU_CYCLE_1) | instskip(NEXT) | instid1(SALU_CYCLE_1)
	s_and_b32 s43, exec_lo, s43
	s_or_b32 s42, s43, s42
	s_delay_alu instid0(SALU_CYCLE_1)
	s_and_not1_b32 exec_lo, exec_lo, s42
	s_cbranch_execz .LBB111_17
.LBB111_68:                             ;   Parent Loop BB111_15 Depth=1
                                        ;     Parent Loop BB111_18 Depth=2
                                        ; =>    This Loop Header: Depth=3
                                        ;         Child Loop BB111_74 Depth 4
                                        ;         Child Loop BB111_80 Depth 4
	v_lshl_add_u32 v26, v21, 3, 0
	s_mov_b32 s43, exec_lo
                                        ; implicit-def: $sgpr44
	ds_load_b64 v[24:25], v26
	s_waitcnt lgkmcnt(0)
	v_cmpx_ne_u64_e64 v[24:25], v[19:20]
	s_xor_b32 s43, exec_lo, s43
	s_cbranch_execz .LBB111_78
; %bb.69:                               ;   in Loop: Header=BB111_68 Depth=3
	s_mov_b32 s45, exec_lo
                                        ; implicit-def: $sgpr44
	v_cmpx_ne_u64_e64 s[40:41], v[24:25]
	s_xor_b32 s45, exec_lo, s45
; %bb.70:                               ;   in Loop: Header=BB111_68 Depth=3
	v_add_nc_u32_e32 v21, 1, v21
	s_mov_b32 s44, -1
                                        ; implicit-def: $vgpr26
	s_delay_alu instid0(VALU_DEP_1)
	v_and_b32_e32 v21, 0x7f, v21
; %bb.71:                               ;   in Loop: Header=BB111_68 Depth=3
	s_and_not1_saveexec_b32 s45, s45
	s_cbranch_execz .LBB111_77
; %bb.72:                               ;   in Loop: Header=BB111_68 Depth=3
	v_dual_mov_b32 v24, s40 :: v_dual_mov_b32 v25, s41
	s_mov_b32 s47, -1
	s_mov_b32 s46, exec_lo
	ds_cmpstore_rtn_b64 v[24:25], v26, v[19:20], v[24:25]
	s_waitcnt lgkmcnt(0)
	v_cmpx_eq_u64_e64 s[40:41], v[24:25]
	s_cbranch_execz .LBB111_76
; %bb.73:                               ;   in Loop: Header=BB111_68 Depth=3
	v_mul_lo_u32 v24, v21, 24
	s_mov_b32 s47, 0
	s_delay_alu instid0(VALU_DEP_1)
	v_add_nc_u32_e32 v26, v26, v24
	ds_load_b64 v[24:25], v26 offset:1048
.LBB111_74:                             ;   Parent Loop BB111_15 Depth=1
                                        ;     Parent Loop BB111_18 Depth=2
                                        ;       Parent Loop BB111_68 Depth=3
                                        ; =>      This Inner Loop Header: Depth=4
	s_waitcnt lgkmcnt(0)
	v_add_f64 v[27:28], v[24:25], v[22:23]
	ds_cmpstore_rtn_b64 v[27:28], v26, v[27:28], v[24:25] offset:1048
	s_waitcnt lgkmcnt(0)
	v_cmp_eq_u64_e32 vcc_lo, v[27:28], v[24:25]
	v_dual_mov_b32 v24, v27 :: v_dual_mov_b32 v25, v28
	s_or_b32 s47, vcc_lo, s47
	s_delay_alu instid0(SALU_CYCLE_1)
	s_and_not1_b32 exec_lo, exec_lo, s47
	s_cbranch_execnz .LBB111_74
; %bb.75:                               ;   in Loop: Header=BB111_68 Depth=3
	s_or_b32 exec_lo, exec_lo, s47
	s_delay_alu instid0(SALU_CYCLE_1)
	s_xor_b32 s47, exec_lo, -1
.LBB111_76:                             ;   in Loop: Header=BB111_68 Depth=3
	s_or_b32 exec_lo, exec_lo, s46
	s_delay_alu instid0(SALU_CYCLE_1) | instskip(SKIP_1) | instid1(SALU_CYCLE_1)
	s_and_not1_b32 s44, s44, exec_lo
	s_and_b32 s46, s47, exec_lo
	s_or_b32 s44, s44, s46
.LBB111_77:                             ;   in Loop: Header=BB111_68 Depth=3
	s_or_b32 exec_lo, exec_lo, s45
	s_delay_alu instid0(SALU_CYCLE_1)
	s_and_b32 s44, s44, exec_lo
                                        ; implicit-def: $vgpr26
.LBB111_78:                             ;   in Loop: Header=BB111_68 Depth=3
	s_and_not1_saveexec_b32 s43, s43
	s_cbranch_execz .LBB111_67
; %bb.79:                               ;   in Loop: Header=BB111_68 Depth=3
	v_mul_lo_u32 v24, v21, 24
	s_mov_b32 s45, 0
	s_delay_alu instid0(VALU_DEP_1)
	v_add_nc_u32_e32 v26, v26, v24
	ds_load_b64 v[24:25], v26 offset:1048
.LBB111_80:                             ;   Parent Loop BB111_15 Depth=1
                                        ;     Parent Loop BB111_18 Depth=2
                                        ;       Parent Loop BB111_68 Depth=3
                                        ; =>      This Inner Loop Header: Depth=4
	s_waitcnt lgkmcnt(0)
	v_add_f64 v[27:28], v[24:25], v[22:23]
	ds_cmpstore_rtn_b64 v[27:28], v26, v[27:28], v[24:25] offset:1048
	s_waitcnt lgkmcnt(0)
	v_cmp_eq_u64_e32 vcc_lo, v[27:28], v[24:25]
	v_dual_mov_b32 v24, v27 :: v_dual_mov_b32 v25, v28
	s_or_b32 s45, vcc_lo, s45
	s_delay_alu instid0(SALU_CYCLE_1)
	s_and_not1_b32 exec_lo, exec_lo, s45
	s_cbranch_execnz .LBB111_80
; %bb.81:                               ;   in Loop: Header=BB111_68 Depth=3
	s_or_b32 exec_lo, exec_lo, s45
	s_delay_alu instid0(SALU_CYCLE_1)
	s_and_not1_b32 s44, s44, exec_lo
	s_branch .LBB111_67
.LBB111_82:
	s_or_b32 exec_lo, exec_lo, s12
.LBB111_83:
	s_delay_alu instid0(SALU_CYCLE_1)
	s_and_not1_b32 vcc_lo, exec_lo, s33
	s_waitcnt lgkmcnt(0)
	s_barrier
	buffer_gl0_inv
	s_cbranch_vccnz .LBB111_152
; %bb.84:
	s_lshl_b64 s[0:1], s[34:35], 3
	s_delay_alu instid0(SALU_CYCLE_1) | instskip(SKIP_4) | instid1(VALU_DEP_1)
	s_add_u32 s0, s4, s0
	s_addc_u32 s1, s5, s1
	s_mov_b32 s4, 0
	s_load_b128 s[12:15], s[0:1], 0x0
	v_sub_co_u32 v3, s0, v0, s23
	v_sub_co_ci_u32_e64 v4, null, 0, 0, s0
	s_mov_b32 s5, exec_lo
	s_waitcnt lgkmcnt(0)
	s_delay_alu instid0(VALU_DEP_2) | instskip(NEXT) | instid1(VALU_DEP_2)
	v_add_co_u32 v3, vcc_lo, s12, v3
	v_add_co_ci_u32_e32 v4, vcc_lo, s13, v4, vcc_lo
	s_sub_u32 s0, s14, s23
	s_subb_u32 s1, s15, 0
	s_delay_alu instid0(VALU_DEP_1) | instid1(SALU_CYCLE_1)
	v_cmpx_gt_i64_e64 s[0:1], v[3:4]
	s_cbranch_execz .LBB111_151
; %bb.85:
	s_cmp_eq_u32 s3, 0
	s_mov_b32 s12, s23
	s_cselect_b32 s13, 1, 2
	s_cselect_b32 s14, 2, 1
	s_branch .LBB111_87
.LBB111_86:                             ;   in Loop: Header=BB111_87 Depth=1
	s_or_b32 exec_lo, exec_lo, s15
	v_add_co_u32 v3, vcc_lo, 0x100, v3
	v_add_co_ci_u32_e32 v4, vcc_lo, 0, v4, vcc_lo
	s_delay_alu instid0(VALU_DEP_1) | instskip(SKIP_1) | instid1(SALU_CYCLE_1)
	v_cmp_le_i64_e32 vcc_lo, s[0:1], v[3:4]
	s_or_b32 s4, vcc_lo, s4
	s_and_not1_b32 exec_lo, exec_lo, s4
	s_cbranch_execz .LBB111_151
.LBB111_87:                             ; =>This Loop Header: Depth=1
                                        ;     Child Loop BB111_89 Depth 2
                                        ;       Child Loop BB111_95 Depth 3
                                        ;       Child Loop BB111_101 Depth 3
                                        ;     Child Loop BB111_105 Depth 2
                                        ;       Child Loop BB111_111 Depth 3
                                        ;       Child Loop BB111_117 Depth 3
	;; [unrolled: 3-line block ×4, first 2 shown]
	v_lshlrev_b64 v[5:6], 5, v[3:4]
	v_lshlrev_b64 v[7:8], 3, v[3:4]
	;; [unrolled: 1-line block ×3, first 2 shown]
	s_mov_b32 s15, 0
	s_delay_alu instid0(VALU_DEP_3) | instskip(NEXT) | instid1(VALU_DEP_4)
	v_add_co_u32 v5, vcc_lo, s8, v5
	v_add_co_ci_u32_e32 v6, vcc_lo, s9, v6, vcc_lo
	s_delay_alu instid0(VALU_DEP_4)
	v_add_co_u32 v7, vcc_lo, s6, v7
	v_add_co_ci_u32_e32 v8, vcc_lo, s7, v8, vcc_lo
	global_load_b64 v[14:15], v[5:6], off
	v_or_b32_e32 v12, 0, v10
	v_or_b32_e32 v11, s14, v9
	;; [unrolled: 1-line block ×4, first 2 shown]
	global_load_b64 v[16:17], v[7:8], off
	v_lshlrev_b64 v[7:8], 3, v[11:12]
	v_lshlrev_b64 v[9:10], 3, v[9:10]
	s_delay_alu instid0(VALU_DEP_2) | instskip(NEXT) | instid1(VALU_DEP_3)
	v_add_co_u32 v7, vcc_lo, s8, v7
	v_add_co_ci_u32_e32 v8, vcc_lo, s9, v8, vcc_lo
	s_delay_alu instid0(VALU_DEP_3) | instskip(NEXT) | instid1(VALU_DEP_4)
	v_add_co_u32 v12, vcc_lo, s8, v9
	v_add_co_ci_u32_e32 v13, vcc_lo, s9, v10, vcc_lo
	s_clause 0x2
	global_load_b64 v[10:11], v[7:8], off
	global_load_b64 v[12:13], v[12:13], off
	global_load_b64 v[8:9], v[5:6], off offset:24
	s_waitcnt vmcnt(4)
	v_mul_f64 v[14:15], v[1:2], v[14:15]
	s_waitcnt vmcnt(3)
	v_sub_co_u32 v5, vcc_lo, v16, s12
	v_subrev_co_ci_u32_e32 v6, vcc_lo, 0, v17, vcc_lo
	s_delay_alu instid0(VALU_DEP_2) | instskip(NEXT) | instid1(VALU_DEP_1)
	v_lshl_add_u32 v7, v5, 3, v5
	v_and_b32_e32 v7, 0x7f, v7
	s_waitcnt vmcnt(0)
	s_delay_alu instid0(VALU_DEP_1)
	v_dual_mov_b32 v17, v8 :: v_dual_mov_b32 v16, v7
	s_branch .LBB111_89
.LBB111_88:                             ;   in Loop: Header=BB111_89 Depth=2
	s_or_b32 exec_lo, exec_lo, s16
	s_xor_b32 s16, s17, -1
	s_delay_alu instid0(SALU_CYCLE_1) | instskip(NEXT) | instid1(SALU_CYCLE_1)
	s_and_b32 s16, exec_lo, s16
	s_or_b32 s15, s16, s15
	s_delay_alu instid0(SALU_CYCLE_1)
	s_and_not1_b32 exec_lo, exec_lo, s15
	s_cbranch_execz .LBB111_103
.LBB111_89:                             ;   Parent Loop BB111_87 Depth=1
                                        ; =>  This Loop Header: Depth=2
                                        ;       Child Loop BB111_95 Depth 3
                                        ;       Child Loop BB111_101 Depth 3
	s_delay_alu instid0(VALU_DEP_1)
	v_lshl_add_u32 v19, v16, 3, 0
	s_mov_b32 s16, exec_lo
                                        ; implicit-def: $sgpr17
	ds_load_b64 v[17:18], v19
	s_waitcnt lgkmcnt(0)
	v_cmpx_ne_u64_e64 v[17:18], v[5:6]
	s_xor_b32 s16, exec_lo, s16
	s_cbranch_execz .LBB111_99
; %bb.90:                               ;   in Loop: Header=BB111_89 Depth=2
	s_mov_b32 s18, exec_lo
                                        ; implicit-def: $sgpr17
	v_cmpx_ne_u64_e64 s[40:41], v[17:18]
	s_xor_b32 s18, exec_lo, s18
; %bb.91:                               ;   in Loop: Header=BB111_89 Depth=2
	v_add_nc_u32_e32 v16, 1, v16
	s_mov_b32 s17, -1
                                        ; implicit-def: $vgpr19
	s_delay_alu instid0(VALU_DEP_1)
	v_and_b32_e32 v16, 0x7f, v16
; %bb.92:                               ;   in Loop: Header=BB111_89 Depth=2
	s_and_not1_saveexec_b32 s18, s18
	s_cbranch_execz .LBB111_98
; %bb.93:                               ;   in Loop: Header=BB111_89 Depth=2
	v_dual_mov_b32 v17, s40 :: v_dual_mov_b32 v18, s41
	s_mov_b32 s20, -1
	s_mov_b32 s19, exec_lo
	ds_cmpstore_rtn_b64 v[17:18], v19, v[5:6], v[17:18]
	s_waitcnt lgkmcnt(0)
	v_cmpx_eq_u64_e64 s[40:41], v[17:18]
	s_cbranch_execz .LBB111_97
; %bb.94:                               ;   in Loop: Header=BB111_89 Depth=2
	v_mul_lo_u32 v17, v16, 24
	s_mov_b32 s20, 0
	s_delay_alu instid0(VALU_DEP_1)
	v_add_nc_u32_e32 v19, v19, v17
	ds_load_b64 v[17:18], v19 offset:1024
.LBB111_95:                             ;   Parent Loop BB111_87 Depth=1
                                        ;     Parent Loop BB111_89 Depth=2
                                        ; =>    This Inner Loop Header: Depth=3
	s_waitcnt lgkmcnt(0)
	v_add_f64 v[20:21], v[17:18], v[14:15]
	ds_cmpstore_rtn_b64 v[20:21], v19, v[20:21], v[17:18] offset:1024
	s_waitcnt lgkmcnt(0)
	v_cmp_eq_u64_e32 vcc_lo, v[20:21], v[17:18]
	v_dual_mov_b32 v17, v20 :: v_dual_mov_b32 v18, v21
	s_or_b32 s20, vcc_lo, s20
	s_delay_alu instid0(SALU_CYCLE_1)
	s_and_not1_b32 exec_lo, exec_lo, s20
	s_cbranch_execnz .LBB111_95
; %bb.96:                               ;   in Loop: Header=BB111_89 Depth=2
	s_or_b32 exec_lo, exec_lo, s20
	s_delay_alu instid0(SALU_CYCLE_1)
	s_xor_b32 s20, exec_lo, -1
.LBB111_97:                             ;   in Loop: Header=BB111_89 Depth=2
	s_or_b32 exec_lo, exec_lo, s19
	s_delay_alu instid0(SALU_CYCLE_1) | instskip(SKIP_1) | instid1(SALU_CYCLE_1)
	s_and_not1_b32 s17, s17, exec_lo
	s_and_b32 s19, s20, exec_lo
	s_or_b32 s17, s17, s19
.LBB111_98:                             ;   in Loop: Header=BB111_89 Depth=2
	s_or_b32 exec_lo, exec_lo, s18
	s_delay_alu instid0(SALU_CYCLE_1)
	s_and_b32 s17, s17, exec_lo
                                        ; implicit-def: $vgpr19
.LBB111_99:                             ;   in Loop: Header=BB111_89 Depth=2
	s_and_not1_saveexec_b32 s16, s16
	s_cbranch_execz .LBB111_88
; %bb.100:                              ;   in Loop: Header=BB111_89 Depth=2
	v_mul_lo_u32 v17, v16, 24
	s_mov_b32 s18, 0
	s_delay_alu instid0(VALU_DEP_1)
	v_add_nc_u32_e32 v19, v19, v17
	ds_load_b64 v[17:18], v19 offset:1024
.LBB111_101:                            ;   Parent Loop BB111_87 Depth=1
                                        ;     Parent Loop BB111_89 Depth=2
                                        ; =>    This Inner Loop Header: Depth=3
	s_waitcnt lgkmcnt(0)
	v_add_f64 v[20:21], v[17:18], v[14:15]
	ds_cmpstore_rtn_b64 v[20:21], v19, v[20:21], v[17:18] offset:1024
	s_waitcnt lgkmcnt(0)
	v_cmp_eq_u64_e32 vcc_lo, v[20:21], v[17:18]
	v_dual_mov_b32 v17, v20 :: v_dual_mov_b32 v18, v21
	s_or_b32 s18, vcc_lo, s18
	s_delay_alu instid0(SALU_CYCLE_1)
	s_and_not1_b32 exec_lo, exec_lo, s18
	s_cbranch_execnz .LBB111_101
; %bb.102:                              ;   in Loop: Header=BB111_89 Depth=2
	s_or_b32 exec_lo, exec_lo, s18
	s_delay_alu instid0(SALU_CYCLE_1)
	s_and_not1_b32 s17, s17, exec_lo
	s_branch .LBB111_88
.LBB111_103:                            ;   in Loop: Header=BB111_87 Depth=1
	s_or_b32 exec_lo, exec_lo, s15
	v_mul_f64 v[12:13], v[1:2], v[12:13]
	v_dual_mov_b32 v15, v8 :: v_dual_mov_b32 v14, v7
	s_mov_b32 s15, 0
	s_branch .LBB111_105
.LBB111_104:                            ;   in Loop: Header=BB111_105 Depth=2
	s_or_b32 exec_lo, exec_lo, s16
	s_xor_b32 s16, s17, -1
	s_delay_alu instid0(SALU_CYCLE_1) | instskip(NEXT) | instid1(SALU_CYCLE_1)
	s_and_b32 s16, exec_lo, s16
	s_or_b32 s15, s16, s15
	s_delay_alu instid0(SALU_CYCLE_1)
	s_and_not1_b32 exec_lo, exec_lo, s15
	s_cbranch_execz .LBB111_119
.LBB111_105:                            ;   Parent Loop BB111_87 Depth=1
                                        ; =>  This Loop Header: Depth=2
                                        ;       Child Loop BB111_111 Depth 3
                                        ;       Child Loop BB111_117 Depth 3
	s_delay_alu instid0(VALU_DEP_1)
	v_lshl_add_u32 v17, v14, 3, 0
	s_mov_b32 s16, exec_lo
                                        ; implicit-def: $sgpr17
	ds_load_b64 v[15:16], v17
	s_waitcnt lgkmcnt(0)
	v_cmpx_ne_u64_e64 v[15:16], v[5:6]
	s_xor_b32 s16, exec_lo, s16
	s_cbranch_execz .LBB111_115
; %bb.106:                              ;   in Loop: Header=BB111_105 Depth=2
	s_mov_b32 s18, exec_lo
                                        ; implicit-def: $sgpr17
	v_cmpx_ne_u64_e64 s[40:41], v[15:16]
	s_xor_b32 s18, exec_lo, s18
; %bb.107:                              ;   in Loop: Header=BB111_105 Depth=2
	v_add_nc_u32_e32 v14, 1, v14
	s_mov_b32 s17, -1
                                        ; implicit-def: $vgpr17
	s_delay_alu instid0(VALU_DEP_1)
	v_and_b32_e32 v14, 0x7f, v14
; %bb.108:                              ;   in Loop: Header=BB111_105 Depth=2
	s_and_not1_saveexec_b32 s18, s18
	s_cbranch_execz .LBB111_114
; %bb.109:                              ;   in Loop: Header=BB111_105 Depth=2
	v_dual_mov_b32 v15, s40 :: v_dual_mov_b32 v16, s41
	s_mov_b32 s20, -1
	s_mov_b32 s19, exec_lo
	ds_cmpstore_rtn_b64 v[15:16], v17, v[5:6], v[15:16]
	s_waitcnt lgkmcnt(0)
	v_cmpx_eq_u64_e64 s[40:41], v[15:16]
	s_cbranch_execz .LBB111_113
; %bb.110:                              ;   in Loop: Header=BB111_105 Depth=2
	v_mul_lo_u32 v15, v14, 24
	s_mov_b32 s20, 0
	s_delay_alu instid0(VALU_DEP_1)
	v_add_nc_u32_e32 v17, v17, v15
	ds_load_b64 v[15:16], v17 offset:1032
.LBB111_111:                            ;   Parent Loop BB111_87 Depth=1
                                        ;     Parent Loop BB111_105 Depth=2
                                        ; =>    This Inner Loop Header: Depth=3
	s_waitcnt lgkmcnt(0)
	v_add_f64 v[18:19], v[15:16], v[12:13]
	ds_cmpstore_rtn_b64 v[18:19], v17, v[18:19], v[15:16] offset:1032
	s_waitcnt lgkmcnt(0)
	v_cmp_eq_u64_e32 vcc_lo, v[18:19], v[15:16]
	v_dual_mov_b32 v15, v18 :: v_dual_mov_b32 v16, v19
	s_or_b32 s20, vcc_lo, s20
	s_delay_alu instid0(SALU_CYCLE_1)
	s_and_not1_b32 exec_lo, exec_lo, s20
	s_cbranch_execnz .LBB111_111
; %bb.112:                              ;   in Loop: Header=BB111_105 Depth=2
	s_or_b32 exec_lo, exec_lo, s20
	s_delay_alu instid0(SALU_CYCLE_1)
	s_xor_b32 s20, exec_lo, -1
.LBB111_113:                            ;   in Loop: Header=BB111_105 Depth=2
	s_or_b32 exec_lo, exec_lo, s19
	s_delay_alu instid0(SALU_CYCLE_1) | instskip(SKIP_1) | instid1(SALU_CYCLE_1)
	s_and_not1_b32 s17, s17, exec_lo
	s_and_b32 s19, s20, exec_lo
	s_or_b32 s17, s17, s19
.LBB111_114:                            ;   in Loop: Header=BB111_105 Depth=2
	s_or_b32 exec_lo, exec_lo, s18
	s_delay_alu instid0(SALU_CYCLE_1)
	s_and_b32 s17, s17, exec_lo
                                        ; implicit-def: $vgpr17
.LBB111_115:                            ;   in Loop: Header=BB111_105 Depth=2
	s_and_not1_saveexec_b32 s16, s16
	s_cbranch_execz .LBB111_104
; %bb.116:                              ;   in Loop: Header=BB111_105 Depth=2
	v_mul_lo_u32 v15, v14, 24
	s_mov_b32 s18, 0
	s_delay_alu instid0(VALU_DEP_1)
	v_add_nc_u32_e32 v17, v17, v15
	ds_load_b64 v[15:16], v17 offset:1032
.LBB111_117:                            ;   Parent Loop BB111_87 Depth=1
                                        ;     Parent Loop BB111_105 Depth=2
                                        ; =>    This Inner Loop Header: Depth=3
	s_waitcnt lgkmcnt(0)
	v_add_f64 v[18:19], v[15:16], v[12:13]
	ds_cmpstore_rtn_b64 v[18:19], v17, v[18:19], v[15:16] offset:1032
	s_waitcnt lgkmcnt(0)
	v_cmp_eq_u64_e32 vcc_lo, v[18:19], v[15:16]
	v_dual_mov_b32 v15, v18 :: v_dual_mov_b32 v16, v19
	s_or_b32 s18, vcc_lo, s18
	s_delay_alu instid0(SALU_CYCLE_1)
	s_and_not1_b32 exec_lo, exec_lo, s18
	s_cbranch_execnz .LBB111_117
; %bb.118:                              ;   in Loop: Header=BB111_105 Depth=2
	s_or_b32 exec_lo, exec_lo, s18
	s_delay_alu instid0(SALU_CYCLE_1)
	s_and_not1_b32 s17, s17, exec_lo
	s_branch .LBB111_104
.LBB111_119:                            ;   in Loop: Header=BB111_87 Depth=1
	s_or_b32 exec_lo, exec_lo, s15
	v_mul_f64 v[10:11], v[1:2], v[10:11]
	v_dual_mov_b32 v13, v8 :: v_dual_mov_b32 v12, v7
	s_mov_b32 s15, 0
	s_branch .LBB111_121
.LBB111_120:                            ;   in Loop: Header=BB111_121 Depth=2
	s_or_b32 exec_lo, exec_lo, s16
	s_xor_b32 s16, s17, -1
	s_delay_alu instid0(SALU_CYCLE_1) | instskip(NEXT) | instid1(SALU_CYCLE_1)
	s_and_b32 s16, exec_lo, s16
	s_or_b32 s15, s16, s15
	s_delay_alu instid0(SALU_CYCLE_1)
	s_and_not1_b32 exec_lo, exec_lo, s15
	s_cbranch_execz .LBB111_135
.LBB111_121:                            ;   Parent Loop BB111_87 Depth=1
                                        ; =>  This Loop Header: Depth=2
                                        ;       Child Loop BB111_127 Depth 3
                                        ;       Child Loop BB111_133 Depth 3
	s_delay_alu instid0(VALU_DEP_1)
	v_lshl_add_u32 v15, v12, 3, 0
	s_mov_b32 s16, exec_lo
                                        ; implicit-def: $sgpr17
	ds_load_b64 v[13:14], v15
	s_waitcnt lgkmcnt(0)
	v_cmpx_ne_u64_e64 v[13:14], v[5:6]
	s_xor_b32 s16, exec_lo, s16
	s_cbranch_execz .LBB111_131
; %bb.122:                              ;   in Loop: Header=BB111_121 Depth=2
	s_mov_b32 s18, exec_lo
                                        ; implicit-def: $sgpr17
	v_cmpx_ne_u64_e64 s[40:41], v[13:14]
	s_xor_b32 s18, exec_lo, s18
; %bb.123:                              ;   in Loop: Header=BB111_121 Depth=2
	v_add_nc_u32_e32 v12, 1, v12
	s_mov_b32 s17, -1
                                        ; implicit-def: $vgpr15
	s_delay_alu instid0(VALU_DEP_1)
	v_and_b32_e32 v12, 0x7f, v12
; %bb.124:                              ;   in Loop: Header=BB111_121 Depth=2
	s_and_not1_saveexec_b32 s18, s18
	s_cbranch_execz .LBB111_130
; %bb.125:                              ;   in Loop: Header=BB111_121 Depth=2
	v_dual_mov_b32 v13, s40 :: v_dual_mov_b32 v14, s41
	s_mov_b32 s20, -1
	s_mov_b32 s19, exec_lo
	ds_cmpstore_rtn_b64 v[13:14], v15, v[5:6], v[13:14]
	s_waitcnt lgkmcnt(0)
	v_cmpx_eq_u64_e64 s[40:41], v[13:14]
	s_cbranch_execz .LBB111_129
; %bb.126:                              ;   in Loop: Header=BB111_121 Depth=2
	v_mul_lo_u32 v13, v12, 24
	s_mov_b32 s20, 0
	s_delay_alu instid0(VALU_DEP_1)
	v_add_nc_u32_e32 v15, v15, v13
	ds_load_b64 v[13:14], v15 offset:1040
.LBB111_127:                            ;   Parent Loop BB111_87 Depth=1
                                        ;     Parent Loop BB111_121 Depth=2
                                        ; =>    This Inner Loop Header: Depth=3
	s_waitcnt lgkmcnt(0)
	v_add_f64 v[16:17], v[13:14], v[10:11]
	ds_cmpstore_rtn_b64 v[16:17], v15, v[16:17], v[13:14] offset:1040
	s_waitcnt lgkmcnt(0)
	v_cmp_eq_u64_e32 vcc_lo, v[16:17], v[13:14]
	v_dual_mov_b32 v13, v16 :: v_dual_mov_b32 v14, v17
	s_or_b32 s20, vcc_lo, s20
	s_delay_alu instid0(SALU_CYCLE_1)
	s_and_not1_b32 exec_lo, exec_lo, s20
	s_cbranch_execnz .LBB111_127
; %bb.128:                              ;   in Loop: Header=BB111_121 Depth=2
	s_or_b32 exec_lo, exec_lo, s20
	s_delay_alu instid0(SALU_CYCLE_1)
	s_xor_b32 s20, exec_lo, -1
.LBB111_129:                            ;   in Loop: Header=BB111_121 Depth=2
	s_or_b32 exec_lo, exec_lo, s19
	s_delay_alu instid0(SALU_CYCLE_1) | instskip(SKIP_1) | instid1(SALU_CYCLE_1)
	s_and_not1_b32 s17, s17, exec_lo
	s_and_b32 s19, s20, exec_lo
	s_or_b32 s17, s17, s19
.LBB111_130:                            ;   in Loop: Header=BB111_121 Depth=2
	s_or_b32 exec_lo, exec_lo, s18
	s_delay_alu instid0(SALU_CYCLE_1)
	s_and_b32 s17, s17, exec_lo
                                        ; implicit-def: $vgpr15
.LBB111_131:                            ;   in Loop: Header=BB111_121 Depth=2
	s_and_not1_saveexec_b32 s16, s16
	s_cbranch_execz .LBB111_120
; %bb.132:                              ;   in Loop: Header=BB111_121 Depth=2
	v_mul_lo_u32 v13, v12, 24
	s_mov_b32 s18, 0
	s_delay_alu instid0(VALU_DEP_1)
	v_add_nc_u32_e32 v15, v15, v13
	ds_load_b64 v[13:14], v15 offset:1040
.LBB111_133:                            ;   Parent Loop BB111_87 Depth=1
                                        ;     Parent Loop BB111_121 Depth=2
                                        ; =>    This Inner Loop Header: Depth=3
	s_waitcnt lgkmcnt(0)
	v_add_f64 v[16:17], v[13:14], v[10:11]
	ds_cmpstore_rtn_b64 v[16:17], v15, v[16:17], v[13:14] offset:1040
	s_waitcnt lgkmcnt(0)
	v_cmp_eq_u64_e32 vcc_lo, v[16:17], v[13:14]
	v_dual_mov_b32 v13, v16 :: v_dual_mov_b32 v14, v17
	s_or_b32 s18, vcc_lo, s18
	s_delay_alu instid0(SALU_CYCLE_1)
	s_and_not1_b32 exec_lo, exec_lo, s18
	s_cbranch_execnz .LBB111_133
; %bb.134:                              ;   in Loop: Header=BB111_121 Depth=2
	s_or_b32 exec_lo, exec_lo, s18
	s_delay_alu instid0(SALU_CYCLE_1)
	s_and_not1_b32 s17, s17, exec_lo
	s_branch .LBB111_120
.LBB111_135:                            ;   in Loop: Header=BB111_87 Depth=1
	s_or_b32 exec_lo, exec_lo, s15
	v_mul_f64 v[8:9], v[1:2], v[8:9]
	s_mov_b32 s15, 0
	s_branch .LBB111_137
.LBB111_136:                            ;   in Loop: Header=BB111_137 Depth=2
	s_or_b32 exec_lo, exec_lo, s16
	s_xor_b32 s16, s17, -1
	s_delay_alu instid0(SALU_CYCLE_1) | instskip(NEXT) | instid1(SALU_CYCLE_1)
	s_and_b32 s16, exec_lo, s16
	s_or_b32 s15, s16, s15
	s_delay_alu instid0(SALU_CYCLE_1)
	s_and_not1_b32 exec_lo, exec_lo, s15
	s_cbranch_execz .LBB111_86
.LBB111_137:                            ;   Parent Loop BB111_87 Depth=1
                                        ; =>  This Loop Header: Depth=2
                                        ;       Child Loop BB111_143 Depth 3
                                        ;       Child Loop BB111_149 Depth 3
	v_lshl_add_u32 v12, v7, 3, 0
	s_mov_b32 s16, exec_lo
                                        ; implicit-def: $sgpr17
	ds_load_b64 v[10:11], v12
	s_waitcnt lgkmcnt(0)
	v_cmpx_ne_u64_e64 v[10:11], v[5:6]
	s_xor_b32 s16, exec_lo, s16
	s_cbranch_execz .LBB111_147
; %bb.138:                              ;   in Loop: Header=BB111_137 Depth=2
	s_mov_b32 s18, exec_lo
                                        ; implicit-def: $sgpr17
	v_cmpx_ne_u64_e64 s[40:41], v[10:11]
	s_xor_b32 s18, exec_lo, s18
; %bb.139:                              ;   in Loop: Header=BB111_137 Depth=2
	v_add_nc_u32_e32 v7, 1, v7
	s_mov_b32 s17, -1
                                        ; implicit-def: $vgpr12
	s_delay_alu instid0(VALU_DEP_1)
	v_and_b32_e32 v7, 0x7f, v7
; %bb.140:                              ;   in Loop: Header=BB111_137 Depth=2
	s_and_not1_saveexec_b32 s18, s18
	s_cbranch_execz .LBB111_146
; %bb.141:                              ;   in Loop: Header=BB111_137 Depth=2
	v_dual_mov_b32 v10, s40 :: v_dual_mov_b32 v11, s41
	s_mov_b32 s20, -1
	s_mov_b32 s19, exec_lo
	ds_cmpstore_rtn_b64 v[10:11], v12, v[5:6], v[10:11]
	s_waitcnt lgkmcnt(0)
	v_cmpx_eq_u64_e64 s[40:41], v[10:11]
	s_cbranch_execz .LBB111_145
; %bb.142:                              ;   in Loop: Header=BB111_137 Depth=2
	v_mul_lo_u32 v10, v7, 24
	s_mov_b32 s20, 0
	s_delay_alu instid0(VALU_DEP_1)
	v_add_nc_u32_e32 v12, v12, v10
	ds_load_b64 v[10:11], v12 offset:1048
.LBB111_143:                            ;   Parent Loop BB111_87 Depth=1
                                        ;     Parent Loop BB111_137 Depth=2
                                        ; =>    This Inner Loop Header: Depth=3
	s_waitcnt lgkmcnt(0)
	v_add_f64 v[13:14], v[10:11], v[8:9]
	ds_cmpstore_rtn_b64 v[13:14], v12, v[13:14], v[10:11] offset:1048
	s_waitcnt lgkmcnt(0)
	v_cmp_eq_u64_e32 vcc_lo, v[13:14], v[10:11]
	v_dual_mov_b32 v10, v13 :: v_dual_mov_b32 v11, v14
	s_or_b32 s20, vcc_lo, s20
	s_delay_alu instid0(SALU_CYCLE_1)
	s_and_not1_b32 exec_lo, exec_lo, s20
	s_cbranch_execnz .LBB111_143
; %bb.144:                              ;   in Loop: Header=BB111_137 Depth=2
	s_or_b32 exec_lo, exec_lo, s20
	s_delay_alu instid0(SALU_CYCLE_1)
	s_xor_b32 s20, exec_lo, -1
.LBB111_145:                            ;   in Loop: Header=BB111_137 Depth=2
	s_or_b32 exec_lo, exec_lo, s19
	s_delay_alu instid0(SALU_CYCLE_1) | instskip(SKIP_1) | instid1(SALU_CYCLE_1)
	s_and_not1_b32 s17, s17, exec_lo
	s_and_b32 s19, s20, exec_lo
	s_or_b32 s17, s17, s19
.LBB111_146:                            ;   in Loop: Header=BB111_137 Depth=2
	s_or_b32 exec_lo, exec_lo, s18
	s_delay_alu instid0(SALU_CYCLE_1)
	s_and_b32 s17, s17, exec_lo
                                        ; implicit-def: $vgpr12
.LBB111_147:                            ;   in Loop: Header=BB111_137 Depth=2
	s_and_not1_saveexec_b32 s16, s16
	s_cbranch_execz .LBB111_136
; %bb.148:                              ;   in Loop: Header=BB111_137 Depth=2
	v_mul_lo_u32 v10, v7, 24
	s_mov_b32 s18, 0
	s_delay_alu instid0(VALU_DEP_1)
	v_add_nc_u32_e32 v12, v12, v10
	ds_load_b64 v[10:11], v12 offset:1048
.LBB111_149:                            ;   Parent Loop BB111_87 Depth=1
                                        ;     Parent Loop BB111_137 Depth=2
                                        ; =>    This Inner Loop Header: Depth=3
	s_waitcnt lgkmcnt(0)
	v_add_f64 v[13:14], v[10:11], v[8:9]
	ds_cmpstore_rtn_b64 v[13:14], v12, v[13:14], v[10:11] offset:1048
	s_waitcnt lgkmcnt(0)
	v_cmp_eq_u64_e32 vcc_lo, v[13:14], v[10:11]
	v_dual_mov_b32 v10, v13 :: v_dual_mov_b32 v11, v14
	s_or_b32 s18, vcc_lo, s18
	s_delay_alu instid0(SALU_CYCLE_1)
	s_and_not1_b32 exec_lo, exec_lo, s18
	s_cbranch_execnz .LBB111_149
; %bb.150:                              ;   in Loop: Header=BB111_137 Depth=2
	s_or_b32 exec_lo, exec_lo, s18
	s_delay_alu instid0(SALU_CYCLE_1)
	s_and_not1_b32 s17, s17, exec_lo
	s_branch .LBB111_136
.LBB111_151:
	s_or_b32 exec_lo, exec_lo, s5
.LBB111_152:
	s_barrier
	buffer_gl0_inv
	s_and_saveexec_b32 s0, s2
	s_cbranch_execz .LBB111_157
; %bb.153:
	ds_load_b64 v[1:2], v35
	s_mov_b32 s1, 0
	s_waitcnt lgkmcnt(0)
	v_cmp_gt_i64_e32 vcc_lo, s[40:41], v[1:2]
	s_and_b32 exec_lo, exec_lo, vcc_lo
	s_cbranch_execz .LBB111_157
; %bb.154:
	s_lshl_b64 s[4:5], s[34:35], 3
	s_delay_alu instid0(SALU_CYCLE_1)
	s_add_u32 s4, s10, s4
	s_addc_u32 s5, s11, s5
	s_load_b64 s[4:5], s[4:5], 0x0
	s_waitcnt lgkmcnt(0)
	s_sub_u32 s4, s4, s22
	s_subb_u32 s5, s5, 0
	s_delay_alu instid0(SALU_CYCLE_1)
	v_dual_mov_b32 v3, s4 :: v_dual_mov_b32 v4, s5
.LBB111_155:                            ; =>This Inner Loop Header: Depth=1
	s_add_i32 s0, s1, 0
	s_addk_i32 s1, 0x80
	v_mov_b32_e32 v33, s0
	s_cmpk_lg_i32 s1, 0x400
	ds_load_2addr_b64 v[5:8], v33 offset1:1
	ds_load_2addr_b64 v[9:12], v33 offset0:2 offset1:3
	ds_load_2addr_b64 v[13:16], v33 offset0:4 offset1:5
	;; [unrolled: 1-line block ×7, first 2 shown]
	s_waitcnt lgkmcnt(7)
	v_cmp_gt_i64_e32 vcc_lo, v[1:2], v[5:6]
	v_cndmask_b32_e64 v5, 0, 1, vcc_lo
	v_cmp_gt_i64_e32 vcc_lo, v[1:2], v[7:8]
	v_cndmask_b32_e64 v6, 0, 1, vcc_lo
	s_waitcnt lgkmcnt(6)
	v_cmp_gt_i64_e32 vcc_lo, v[1:2], v[9:10]
	v_cndmask_b32_e64 v7, 0, 1, vcc_lo
	v_cmp_gt_i64_e32 vcc_lo, v[1:2], v[11:12]
	v_cndmask_b32_e64 v8, 0, 1, vcc_lo
	;; [unrolled: 5-line block ×4, first 2 shown]
	s_waitcnt lgkmcnt(3)
	v_cmp_gt_i64_e32 vcc_lo, v[1:2], v[21:22]
	v_cndmask_b32_e64 v13, 0, 1, vcc_lo
	v_add_co_u32 v3, vcc_lo, v3, v5
	v_add_co_ci_u32_e32 v4, vcc_lo, 0, v4, vcc_lo
	v_cmp_gt_i64_e32 vcc_lo, v[1:2], v[23:24]
	s_delay_alu instid0(VALU_DEP_3) | instskip(NEXT) | instid1(VALU_DEP_1)
	v_add_co_u32 v3, s0, v3, v6
	v_add_co_ci_u32_e64 v4, s0, 0, v4, s0
	v_cndmask_b32_e64 v5, 0, 1, vcc_lo
	s_delay_alu instid0(VALU_DEP_3) | instskip(NEXT) | instid1(VALU_DEP_3)
	v_add_co_u32 v3, vcc_lo, v3, v7
	v_add_co_ci_u32_e32 v4, vcc_lo, 0, v4, vcc_lo
	s_waitcnt lgkmcnt(2)
	v_cmp_gt_i64_e32 vcc_lo, v[1:2], v[25:26]
	s_delay_alu instid0(VALU_DEP_3) | instskip(NEXT) | instid1(VALU_DEP_1)
	v_add_co_u32 v3, s0, v3, v8
	v_add_co_ci_u32_e64 v4, s0, 0, v4, s0
	v_cndmask_b32_e64 v6, 0, 1, vcc_lo
	s_delay_alu instid0(VALU_DEP_3) | instskip(NEXT) | instid1(VALU_DEP_3)
	v_add_co_u32 v3, vcc_lo, v3, v9
	v_add_co_ci_u32_e32 v4, vcc_lo, 0, v4, vcc_lo
	v_cmp_gt_i64_e32 vcc_lo, v[1:2], v[27:28]
	s_delay_alu instid0(VALU_DEP_3) | instskip(NEXT) | instid1(VALU_DEP_1)
	v_add_co_u32 v3, s0, v3, v10
	v_add_co_ci_u32_e64 v4, s0, 0, v4, s0
	v_cndmask_b32_e64 v7, 0, 1, vcc_lo
	s_delay_alu instid0(VALU_DEP_3) | instskip(NEXT) | instid1(VALU_DEP_3)
	v_add_co_u32 v3, vcc_lo, v3, v11
	v_add_co_ci_u32_e32 v4, vcc_lo, 0, v4, vcc_lo
	s_waitcnt lgkmcnt(1)
	v_cmp_gt_i64_e32 vcc_lo, v[1:2], v[29:30]
	s_delay_alu instid0(VALU_DEP_3) | instskip(NEXT) | instid1(VALU_DEP_1)
	v_add_co_u32 v3, s0, v3, v12
	v_add_co_ci_u32_e64 v4, s0, 0, v4, s0
	v_cndmask_b32_e64 v8, 0, 1, vcc_lo
	s_delay_alu instid0(VALU_DEP_3) | instskip(NEXT) | instid1(VALU_DEP_3)
	;; [unrolled: 17-line block ×3, first 2 shown]
	v_add_co_u32 v3, vcc_lo, v3, v8
	v_add_co_ci_u32_e32 v4, vcc_lo, 0, v4, vcc_lo
	v_cmp_gt_i64_e32 vcc_lo, v[1:2], v[35:36]
	s_delay_alu instid0(VALU_DEP_3) | instskip(NEXT) | instid1(VALU_DEP_1)
	v_add_co_u32 v3, s0, v3, v5
	v_add_co_ci_u32_e64 v4, s0, 0, v4, s0
	v_cndmask_b32_e64 v5, 0, 1, vcc_lo
	s_delay_alu instid0(VALU_DEP_3) | instskip(NEXT) | instid1(VALU_DEP_3)
	v_add_co_u32 v3, vcc_lo, v3, v6
	v_add_co_ci_u32_e32 v4, vcc_lo, 0, v4, vcc_lo
	s_delay_alu instid0(VALU_DEP_2) | instskip(NEXT) | instid1(VALU_DEP_2)
	v_add_co_u32 v3, vcc_lo, v3, v5
	v_add_co_ci_u32_e32 v4, vcc_lo, 0, v4, vcc_lo
	s_cbranch_scc1 .LBB111_155
; %bb.156:
	v_lshlrev_b32_e32 v5, 2, v0
	s_cmp_eq_u32 s3, 0
	v_lshlrev_b32_e32 v0, 5, v0
	s_cselect_b32 s0, 2, 1
	s_cselect_b32 s1, 1, 2
	v_or_b32_e32 v6, s0, v5
	v_or_b32_e32 v5, s1, v5
	v_add_nc_u32_e32 v7, 0, v0
	v_add3_u32 v0, 0, 0x400, v0
	v_lshlrev_b64 v[13:14], 3, v[3:4]
	v_lshl_add_u32 v8, v6, 3, 0
	v_lshl_add_u32 v11, v5, 3, 0
	ds_load_b64 v[5:6], v7 offset:1024
	ds_load_b64 v[9:10], v8 offset:1024
	;; [unrolled: 1-line block ×4, first 2 shown]
	v_add_co_u32 v0, vcc_lo, v1, s22
	v_add_co_ci_u32_e32 v1, vcc_lo, 0, v2, vcc_lo
	v_lshlrev_b64 v[2:3], 5, v[3:4]
	v_add_co_u32 v13, vcc_lo, s24, v13
	v_add_co_ci_u32_e32 v14, vcc_lo, s25, v14, vcc_lo
	s_delay_alu instid0(VALU_DEP_3) | instskip(NEXT) | instid1(VALU_DEP_4)
	v_add_co_u32 v2, vcc_lo, s26, v2
	v_add_co_ci_u32_e32 v3, vcc_lo, s27, v3, vcc_lo
	global_store_b64 v[13:14], v[0:1], off
	s_waitcnt lgkmcnt(1)
	global_store_b128 v[2:3], v[5:8], off
	s_waitcnt lgkmcnt(0)
	global_store_b128 v[2:3], v[9:12], off offset:16
.LBB111_157:
	s_nop 0
	s_sendmsg sendmsg(MSG_DEALLOC_VGPRS)
	s_endpgm
	.section	.rodata,"a",@progbits
	.p2align	6, 0x0
	.amdhsa_kernel _ZN9rocsparseL30bsrgemm_fill_block_per_row_2x2ILj256ELj16ELj128ELj137ElldEEv20rocsparse_direction_T4_S2_PKS2_S4_NS_24const_host_device_scalarIT5_EEPKT3_S4_PKS6_SA_S4_SC_S7_SA_S4_SC_SA_PS2_PS6_21rocsparse_index_base_SF_SF_SF_bbb
		.amdhsa_group_segment_fixed_size 0
		.amdhsa_private_segment_fixed_size 0
		.amdhsa_kernarg_size 172
		.amdhsa_user_sgpr_count 15
		.amdhsa_user_sgpr_dispatch_ptr 0
		.amdhsa_user_sgpr_queue_ptr 0
		.amdhsa_user_sgpr_kernarg_segment_ptr 1
		.amdhsa_user_sgpr_dispatch_id 0
		.amdhsa_user_sgpr_private_segment_size 0
		.amdhsa_wavefront_size32 1
		.amdhsa_uses_dynamic_stack 0
		.amdhsa_enable_private_segment 0
		.amdhsa_system_sgpr_workgroup_id_x 1
		.amdhsa_system_sgpr_workgroup_id_y 0
		.amdhsa_system_sgpr_workgroup_id_z 0
		.amdhsa_system_sgpr_workgroup_info 0
		.amdhsa_system_vgpr_workitem_id 0
		.amdhsa_next_free_vgpr 41
		.amdhsa_next_free_sgpr 48
		.amdhsa_reserve_vcc 1
		.amdhsa_float_round_mode_32 0
		.amdhsa_float_round_mode_16_64 0
		.amdhsa_float_denorm_mode_32 3
		.amdhsa_float_denorm_mode_16_64 3
		.amdhsa_dx10_clamp 1
		.amdhsa_ieee_mode 1
		.amdhsa_fp16_overflow 0
		.amdhsa_workgroup_processor_mode 1
		.amdhsa_memory_ordered 1
		.amdhsa_forward_progress 0
		.amdhsa_shared_vgpr_count 0
		.amdhsa_exception_fp_ieee_invalid_op 0
		.amdhsa_exception_fp_denorm_src 0
		.amdhsa_exception_fp_ieee_div_zero 0
		.amdhsa_exception_fp_ieee_overflow 0
		.amdhsa_exception_fp_ieee_underflow 0
		.amdhsa_exception_fp_ieee_inexact 0
		.amdhsa_exception_int_div_zero 0
	.end_amdhsa_kernel
	.section	.text._ZN9rocsparseL30bsrgemm_fill_block_per_row_2x2ILj256ELj16ELj128ELj137ElldEEv20rocsparse_direction_T4_S2_PKS2_S4_NS_24const_host_device_scalarIT5_EEPKT3_S4_PKS6_SA_S4_SC_S7_SA_S4_SC_SA_PS2_PS6_21rocsparse_index_base_SF_SF_SF_bbb,"axG",@progbits,_ZN9rocsparseL30bsrgemm_fill_block_per_row_2x2ILj256ELj16ELj128ELj137ElldEEv20rocsparse_direction_T4_S2_PKS2_S4_NS_24const_host_device_scalarIT5_EEPKT3_S4_PKS6_SA_S4_SC_S7_SA_S4_SC_SA_PS2_PS6_21rocsparse_index_base_SF_SF_SF_bbb,comdat
.Lfunc_end111:
	.size	_ZN9rocsparseL30bsrgemm_fill_block_per_row_2x2ILj256ELj16ELj128ELj137ElldEEv20rocsparse_direction_T4_S2_PKS2_S4_NS_24const_host_device_scalarIT5_EEPKT3_S4_PKS6_SA_S4_SC_S7_SA_S4_SC_SA_PS2_PS6_21rocsparse_index_base_SF_SF_SF_bbb, .Lfunc_end111-_ZN9rocsparseL30bsrgemm_fill_block_per_row_2x2ILj256ELj16ELj128ELj137ElldEEv20rocsparse_direction_T4_S2_PKS2_S4_NS_24const_host_device_scalarIT5_EEPKT3_S4_PKS6_SA_S4_SC_S7_SA_S4_SC_SA_PS2_PS6_21rocsparse_index_base_SF_SF_SF_bbb
                                        ; -- End function
	.section	.AMDGPU.csdata,"",@progbits
; Kernel info:
; codeLenInByte = 5888
; NumSgprs: 50
; NumVgprs: 41
; ScratchSize: 0
; MemoryBound: 0
; FloatMode: 240
; IeeeMode: 1
; LDSByteSize: 0 bytes/workgroup (compile time only)
; SGPRBlocks: 6
; VGPRBlocks: 5
; NumSGPRsForWavesPerEU: 50
; NumVGPRsForWavesPerEU: 41
; Occupancy: 16
; WaveLimiterHint : 1
; COMPUTE_PGM_RSRC2:SCRATCH_EN: 0
; COMPUTE_PGM_RSRC2:USER_SGPR: 15
; COMPUTE_PGM_RSRC2:TRAP_HANDLER: 0
; COMPUTE_PGM_RSRC2:TGID_X_EN: 1
; COMPUTE_PGM_RSRC2:TGID_Y_EN: 0
; COMPUTE_PGM_RSRC2:TGID_Z_EN: 0
; COMPUTE_PGM_RSRC2:TIDIG_COMP_CNT: 0
	.section	.text._ZN9rocsparseL30bsrgemm_fill_block_per_row_2x2ILj256ELj16ELj256ELj137ElldEEv20rocsparse_direction_T4_S2_PKS2_S4_NS_24const_host_device_scalarIT5_EEPKT3_S4_PKS6_SA_S4_SC_S7_SA_S4_SC_SA_PS2_PS6_21rocsparse_index_base_SF_SF_SF_bbb,"axG",@progbits,_ZN9rocsparseL30bsrgemm_fill_block_per_row_2x2ILj256ELj16ELj256ELj137ElldEEv20rocsparse_direction_T4_S2_PKS2_S4_NS_24const_host_device_scalarIT5_EEPKT3_S4_PKS6_SA_S4_SC_S7_SA_S4_SC_SA_PS2_PS6_21rocsparse_index_base_SF_SF_SF_bbb,comdat
	.globl	_ZN9rocsparseL30bsrgemm_fill_block_per_row_2x2ILj256ELj16ELj256ELj137ElldEEv20rocsparse_direction_T4_S2_PKS2_S4_NS_24const_host_device_scalarIT5_EEPKT3_S4_PKS6_SA_S4_SC_S7_SA_S4_SC_SA_PS2_PS6_21rocsparse_index_base_SF_SF_SF_bbb ; -- Begin function _ZN9rocsparseL30bsrgemm_fill_block_per_row_2x2ILj256ELj16ELj256ELj137ElldEEv20rocsparse_direction_T4_S2_PKS2_S4_NS_24const_host_device_scalarIT5_EEPKT3_S4_PKS6_SA_S4_SC_S7_SA_S4_SC_SA_PS2_PS6_21rocsparse_index_base_SF_SF_SF_bbb
	.p2align	8
	.type	_ZN9rocsparseL30bsrgemm_fill_block_per_row_2x2ILj256ELj16ELj256ELj137ElldEEv20rocsparse_direction_T4_S2_PKS2_S4_NS_24const_host_device_scalarIT5_EEPKT3_S4_PKS6_SA_S4_SC_S7_SA_S4_SC_SA_PS2_PS6_21rocsparse_index_base_SF_SF_SF_bbb,@function
_ZN9rocsparseL30bsrgemm_fill_block_per_row_2x2ILj256ELj16ELj256ELj137ElldEEv20rocsparse_direction_T4_S2_PKS2_S4_NS_24const_host_device_scalarIT5_EEPKT3_S4_PKS6_SA_S4_SC_S7_SA_S4_SC_SA_PS2_PS6_21rocsparse_index_base_SF_SF_SF_bbb: ; @_ZN9rocsparseL30bsrgemm_fill_block_per_row_2x2ILj256ELj16ELj256ELj137ElldEEv20rocsparse_direction_T4_S2_PKS2_S4_NS_24const_host_device_scalarIT5_EEPKT3_S4_PKS6_SA_S4_SC_S7_SA_S4_SC_SA_PS2_PS6_21rocsparse_index_base_SF_SF_SF_bbb
; %bb.0:
	s_clause 0x2
	s_load_b32 s6, s[0:1], 0xa8
	s_load_b64 s[4:5], s[0:1], 0x28
	s_load_b64 s[2:3], s[0:1], 0x60
	s_mov_b32 s34, s15
	s_waitcnt lgkmcnt(0)
	s_and_b32 s8, 1, s6
	s_bitcmp1_b32 s6, 16
	s_cselect_b32 s7, -1, 0
	s_cmp_eq_u32 s8, 1
	s_cselect_b32 s42, -1, 0
	s_delay_alu instid0(SALU_CYCLE_1)
	s_and_b32 s8, s42, exec_lo
	s_cselect_b32 s9, s5, 0
	s_cselect_b32 s8, s4, 0
	s_xor_b32 s10, s42, -1
	v_dual_mov_b32 v3, s8 :: v_dual_mov_b32 v4, s9
	s_or_b32 s10, s10, s7
	s_delay_alu instid0(SALU_CYCLE_1)
	s_and_b32 vcc_lo, exec_lo, s10
	s_cbranch_vccnz .LBB112_2
; %bb.1:
	v_dual_mov_b32 v1, s4 :: v_dual_mov_b32 v2, s5
	flat_load_b64 v[3:4], v[1:2]
.LBB112_2:
	s_load_b128 s[20:23], s[0:1], 0x98
	s_bitcmp1_b32 s6, 8
	s_cselect_b32 s33, -1, 0
	s_delay_alu instid0(SALU_CYCLE_1)
	s_and_b32 s4, s33, exec_lo
	s_cselect_b32 s5, s3, 0
	s_cselect_b32 s4, s2, 0
	s_xor_b32 s6, s33, -1
	v_dual_mov_b32 v1, s4 :: v_dual_mov_b32 v2, s5
	s_or_b32 s6, s6, s7
	s_delay_alu instid0(SALU_CYCLE_1)
	s_and_b32 vcc_lo, exec_lo, s6
	s_cbranch_vccnz .LBB112_4
; %bb.3:
	v_dual_mov_b32 v1, s2 :: v_dual_mov_b32 v2, s3
	flat_load_b64 v[1:2], v[1:2]
.LBB112_4:
	s_clause 0x5
	s_load_b128 s[24:27], s[0:1], 0x88
	s_load_b256 s[4:11], s[0:1], 0x68
	s_load_b128 s[36:39], s[0:1], 0x50
	s_load_b128 s[28:31], s[0:1], 0x10
	s_load_b64 s[40:41], s[0:1], 0x20
	s_load_b256 s[12:19], s[0:1], 0x30
	v_cmp_gt_u32_e64 s2, 0x100, v0
	v_lshl_add_u32 v35, v0, 3, 0
	s_delay_alu instid0(VALU_DEP_2)
	s_and_saveexec_b32 s3, s2
	s_cbranch_execz .LBB112_6
; %bb.5:
	s_waitcnt lgkmcnt(0)
	v_dual_mov_b32 v5, s28 :: v_dual_mov_b32 v6, s29
	ds_store_b64 v35, v[5:6]
.LBB112_6:
	s_or_b32 exec_lo, exec_lo, s3
	v_dual_mov_b32 v5, 0 :: v_dual_lshlrev_b32 v6, 3, v0
	v_or_b32_e32 v7, 0xffffff00, v0
	s_mov_b32 s3, 0
	s_delay_alu instid0(VALU_DEP_2) | instskip(NEXT) | instid1(VALU_DEP_3)
	v_add3_u32 v8, v6, 0, 0x800
	v_mov_b32_e32 v6, v5
.LBB112_7:                              ; =>This Inner Loop Header: Depth=1
	s_delay_alu instid0(VALU_DEP_3) | instskip(SKIP_4) | instid1(SALU_CYCLE_1)
	v_add_nc_u32_e32 v7, 0x100, v7
	ds_store_b64 v8, v[5:6]
	v_add_nc_u32_e32 v8, 0x800, v8
	v_cmp_lt_u32_e32 vcc_lo, 0x2ff, v7
	s_or_b32 s3, vcc_lo, s3
	s_and_not1_b32 exec_lo, exec_lo, s3
	s_cbranch_execnz .LBB112_7
; %bb.8:
	s_or_b32 exec_lo, exec_lo, s3
	s_waitcnt lgkmcnt(0)
	s_cmp_lg_u64 s[40:41], 0
	s_mov_b32 s35, 0
	s_waitcnt vmcnt(0)
	s_barrier
	buffer_gl0_inv
	s_cbranch_scc0 .LBB112_10
; %bb.9:
	s_load_b64 s[30:31], s[30:31], 0x0
	s_waitcnt lgkmcnt(0)
	s_lshl_b64 s[30:31], s[30:31], 3
	s_delay_alu instid0(SALU_CYCLE_1) | instskip(SKIP_2) | instid1(SALU_CYCLE_1)
	s_add_u32 s3, s40, s30
	s_addc_u32 s40, s41, s31
	s_lshl_b64 s[30:31], s[34:35], 3
	s_add_u32 s30, s3, s30
	s_addc_u32 s31, s40, s31
	s_load_b64 s[34:35], s[30:31], 0x0
.LBB112_10:
	s_load_b32 s3, s[0:1], 0x0
	s_and_not1_b32 vcc_lo, exec_lo, s42
	s_cbranch_vccnz .LBB112_82
; %bb.11:
	s_waitcnt lgkmcnt(0)
	s_lshl_b64 s[0:1], s[34:35], 3
	v_lshrrev_b32_e32 v5, 4, v0
	s_add_u32 s0, s12, s0
	s_addc_u32 s1, s13, s1
	s_mov_b32 s13, 0
	s_load_b128 s[40:43], s[0:1], 0x0
	v_sub_co_u32 v5, s0, v5, s20
	s_delay_alu instid0(VALU_DEP_1) | instskip(SKIP_2) | instid1(VALU_DEP_2)
	v_sub_co_ci_u32_e64 v6, null, 0, 0, s0
	s_mov_b32 s12, exec_lo
	s_waitcnt lgkmcnt(0)
	v_add_co_u32 v5, vcc_lo, s40, v5
	s_delay_alu instid0(VALU_DEP_2)
	v_add_co_ci_u32_e32 v6, vcc_lo, s41, v6, vcc_lo
	s_sub_u32 s0, s42, s20
	s_subb_u32 s1, s43, 0
	s_delay_alu instid0(VALU_DEP_1) | instid1(SALU_CYCLE_1)
	v_cmpx_gt_i64_e64 s[0:1], v[5:6]
	s_cbranch_execz .LBB112_81
; %bb.12:
	v_and_b32_e32 v7, 15, v0
	s_cmp_eq_u32 s3, 0
	s_cselect_b32 s31, 2, 1
	s_delay_alu instid0(VALU_DEP_1) | instskip(NEXT) | instid1(VALU_DEP_1)
	v_sub_co_u32 v36, s30, v7, s21
	v_sub_co_ci_u32_e64 v37, null, 0, 0, s30
	s_cselect_b32 s30, 1, 2
	s_branch .LBB112_14
.LBB112_13:                             ;   in Loop: Header=BB112_14 Depth=1
	s_or_b32 exec_lo, exec_lo, s40
	v_add_co_u32 v5, vcc_lo, v5, 16
	v_add_co_ci_u32_e32 v6, vcc_lo, 0, v6, vcc_lo
	s_delay_alu instid0(VALU_DEP_1) | instskip(SKIP_1) | instid1(SALU_CYCLE_1)
	v_cmp_le_i64_e32 vcc_lo, s[0:1], v[5:6]
	s_or_b32 s13, vcc_lo, s13
	s_and_not1_b32 exec_lo, exec_lo, s13
	s_cbranch_execz .LBB112_81
.LBB112_14:                             ; =>This Loop Header: Depth=1
                                        ;     Child Loop BB112_17 Depth 2
                                        ;       Child Loop BB112_19 Depth 3
                                        ;         Child Loop BB112_25 Depth 4
                                        ;         Child Loop BB112_31 Depth 4
                                        ;       Child Loop BB112_35 Depth 3
                                        ;         Child Loop BB112_41 Depth 4
                                        ;         Child Loop BB112_47 Depth 4
                                        ;       Child Loop BB112_51 Depth 3
                                        ;         Child Loop BB112_57 Depth 4
                                        ;         Child Loop BB112_63 Depth 4
                                        ;       Child Loop BB112_67 Depth 3
                                        ;         Child Loop BB112_73 Depth 4
                                        ;         Child Loop BB112_79 Depth 4
	v_lshlrev_b64 v[7:8], 3, v[5:6]
	s_mov_b32 s40, exec_lo
	s_delay_alu instid0(VALU_DEP_1) | instskip(NEXT) | instid1(VALU_DEP_2)
	v_add_co_u32 v7, vcc_lo, s14, v7
	v_add_co_ci_u32_e32 v8, vcc_lo, s15, v8, vcc_lo
	global_load_b64 v[7:8], v[7:8], off
	s_waitcnt vmcnt(0)
	v_sub_co_u32 v7, vcc_lo, v7, s20
	v_subrev_co_ci_u32_e32 v8, vcc_lo, 0, v8, vcc_lo
	s_delay_alu instid0(VALU_DEP_1) | instskip(NEXT) | instid1(VALU_DEP_1)
	v_lshlrev_b64 v[7:8], 3, v[7:8]
	v_add_co_u32 v7, vcc_lo, s18, v7
	s_delay_alu instid0(VALU_DEP_2)
	v_add_co_ci_u32_e32 v8, vcc_lo, s19, v8, vcc_lo
	global_load_b128 v[9:12], v[7:8], off
	s_waitcnt vmcnt(0)
	v_sub_co_u32 v7, vcc_lo, v11, s21
	v_subrev_co_ci_u32_e32 v8, vcc_lo, 0, v12, vcc_lo
	v_add_co_u32 v9, vcc_lo, v9, v36
	v_add_co_ci_u32_e32 v10, vcc_lo, v10, v37, vcc_lo
	s_delay_alu instid0(VALU_DEP_1)
	v_cmpx_lt_i64_e64 v[9:10], v[7:8]
	s_cbranch_execz .LBB112_13
; %bb.15:                               ;   in Loop: Header=BB112_14 Depth=1
	v_lshlrev_b64 v[11:12], 2, v[5:6]
	v_lshlrev_b64 v[15:16], 5, v[5:6]
	s_mov_b32 s41, 0
	s_delay_alu instid0(VALU_DEP_2) | instskip(NEXT) | instid1(VALU_DEP_3)
	v_or_b32_e32 v14, 0, v12
	v_or_b32_e32 v13, s31, v11
	;; [unrolled: 1-line block ×4, first 2 shown]
	v_add_co_u32 v15, vcc_lo, s16, v15
	s_delay_alu instid0(VALU_DEP_4) | instskip(SKIP_1) | instid1(VALU_DEP_4)
	v_lshlrev_b64 v[13:14], 3, v[13:14]
	v_add_co_ci_u32_e32 v16, vcc_lo, s17, v16, vcc_lo
	v_lshlrev_b64 v[11:12], 3, v[11:12]
	s_delay_alu instid0(VALU_DEP_3) | instskip(NEXT) | instid1(VALU_DEP_4)
	v_add_co_u32 v13, vcc_lo, s16, v13
	v_add_co_ci_u32_e32 v14, vcc_lo, s17, v14, vcc_lo
	s_delay_alu instid0(VALU_DEP_3) | instskip(NEXT) | instid1(VALU_DEP_4)
	v_add_co_u32 v11, vcc_lo, s16, v11
	v_add_co_ci_u32_e32 v12, vcc_lo, s17, v12, vcc_lo
	s_clause 0x3
	global_load_b64 v[17:18], v[15:16], off offset:24
	global_load_b64 v[13:14], v[13:14], off
	global_load_b64 v[19:20], v[11:12], off
	global_load_b64 v[21:22], v[15:16], off
	s_waitcnt vmcnt(3)
	v_mul_f64 v[11:12], v[3:4], v[17:18]
	s_waitcnt vmcnt(2)
	v_mul_f64 v[13:14], v[3:4], v[13:14]
	;; [unrolled: 2-line block ×4, first 2 shown]
	s_branch .LBB112_17
.LBB112_16:                             ;   in Loop: Header=BB112_17 Depth=2
	s_or_b32 exec_lo, exec_lo, s42
	v_add_co_u32 v9, vcc_lo, v9, 16
	v_add_co_ci_u32_e32 v10, vcc_lo, 0, v10, vcc_lo
	s_delay_alu instid0(VALU_DEP_1) | instskip(SKIP_1) | instid1(SALU_CYCLE_1)
	v_cmp_ge_i64_e32 vcc_lo, v[9:10], v[7:8]
	s_or_b32 s41, vcc_lo, s41
	s_and_not1_b32 exec_lo, exec_lo, s41
	s_cbranch_execz .LBB112_13
.LBB112_17:                             ;   Parent Loop BB112_14 Depth=1
                                        ; =>  This Loop Header: Depth=2
                                        ;       Child Loop BB112_19 Depth 3
                                        ;         Child Loop BB112_25 Depth 4
                                        ;         Child Loop BB112_31 Depth 4
                                        ;       Child Loop BB112_35 Depth 3
                                        ;         Child Loop BB112_41 Depth 4
                                        ;         Child Loop BB112_47 Depth 4
	;; [unrolled: 3-line block ×4, first 2 shown]
	v_lshlrev_b64 v[19:20], 2, v[9:10]
	s_mov_b32 s42, 0
	s_delay_alu instid0(VALU_DEP_1) | instskip(NEXT) | instid1(VALU_DEP_2)
	v_or_b32_e32 v22, 0, v20
	v_or_b32_e32 v21, s31, v19
	;; [unrolled: 1-line block ×4, first 2 shown]
	s_delay_alu instid0(VALU_DEP_3) | instskip(NEXT) | instid1(VALU_DEP_2)
	v_lshlrev_b64 v[21:22], 3, v[21:22]
	v_lshlrev_b64 v[19:20], 3, v[19:20]
	s_delay_alu instid0(VALU_DEP_2) | instskip(NEXT) | instid1(VALU_DEP_3)
	v_add_co_u32 v21, vcc_lo, s38, v21
	v_add_co_ci_u32_e32 v22, vcc_lo, s39, v22, vcc_lo
	global_load_b64 v[26:27], v[21:22], off
	v_lshlrev_b64 v[21:22], 5, v[9:10]
	s_delay_alu instid0(VALU_DEP_1) | instskip(NEXT) | instid1(VALU_DEP_2)
	v_add_co_u32 v24, vcc_lo, s38, v21
	v_add_co_ci_u32_e32 v25, vcc_lo, s39, v22, vcc_lo
	v_lshlrev_b64 v[21:22], 3, v[9:10]
	global_load_b64 v[28:29], v[24:25], off
	v_add_co_u32 v21, vcc_lo, s36, v21
	v_add_co_ci_u32_e32 v22, vcc_lo, s37, v22, vcc_lo
	v_add_co_u32 v19, vcc_lo, s38, v19
	v_add_co_ci_u32_e32 v20, vcc_lo, s39, v20, vcc_lo
	global_load_b64 v[32:33], v[21:22], off
	s_clause 0x1
	global_load_b64 v[22:23], v[19:20], off
	global_load_b64 v[24:25], v[24:25], off offset:24
	s_waitcnt vmcnt(4)
	v_mul_f64 v[19:20], v[15:16], v[26:27]
	s_waitcnt vmcnt(3)
	s_delay_alu instid0(VALU_DEP_1) | instskip(SKIP_3) | instid1(VALU_DEP_2)
	v_fma_f64 v[30:31], v[17:18], v[28:29], v[19:20]
	s_waitcnt vmcnt(2)
	v_sub_co_u32 v19, vcc_lo, v32, s21
	v_subrev_co_ci_u32_e32 v20, vcc_lo, 0, v33, vcc_lo
	v_mul_lo_u32 v21, 0x89, v19
	s_delay_alu instid0(VALU_DEP_1) | instskip(SKIP_1) | instid1(VALU_DEP_1)
	v_and_b32_e32 v21, 0xff, v21
	s_waitcnt vmcnt(1)
	v_dual_mov_b32 v33, v22 :: v_dual_mov_b32 v32, v21
	s_branch .LBB112_19
.LBB112_18:                             ;   in Loop: Header=BB112_19 Depth=3
	s_or_b32 exec_lo, exec_lo, s43
	s_xor_b32 s43, s44, -1
	s_delay_alu instid0(SALU_CYCLE_1) | instskip(NEXT) | instid1(SALU_CYCLE_1)
	s_and_b32 s43, exec_lo, s43
	s_or_b32 s42, s43, s42
	s_delay_alu instid0(SALU_CYCLE_1)
	s_and_not1_b32 exec_lo, exec_lo, s42
	s_cbranch_execz .LBB112_33
.LBB112_19:                             ;   Parent Loop BB112_14 Depth=1
                                        ;     Parent Loop BB112_17 Depth=2
                                        ; =>    This Loop Header: Depth=3
                                        ;         Child Loop BB112_25 Depth 4
                                        ;         Child Loop BB112_31 Depth 4
	s_delay_alu instid0(VALU_DEP_1)
	v_lshl_add_u32 v38, v32, 3, 0
	s_mov_b32 s43, exec_lo
                                        ; implicit-def: $sgpr44
	ds_load_b64 v[33:34], v38
	s_waitcnt lgkmcnt(0)
	v_cmpx_ne_u64_e64 v[33:34], v[19:20]
	s_xor_b32 s43, exec_lo, s43
	s_cbranch_execz .LBB112_29
; %bb.20:                               ;   in Loop: Header=BB112_19 Depth=3
	s_mov_b32 s45, exec_lo
                                        ; implicit-def: $sgpr44
	v_cmpx_ne_u64_e64 s[28:29], v[33:34]
	s_xor_b32 s45, exec_lo, s45
; %bb.21:                               ;   in Loop: Header=BB112_19 Depth=3
	v_add_nc_u32_e32 v32, 1, v32
	s_mov_b32 s44, -1
                                        ; implicit-def: $vgpr38
	s_delay_alu instid0(VALU_DEP_1)
	v_and_b32_e32 v32, 0xff, v32
; %bb.22:                               ;   in Loop: Header=BB112_19 Depth=3
	s_and_not1_saveexec_b32 s45, s45
	s_cbranch_execz .LBB112_28
; %bb.23:                               ;   in Loop: Header=BB112_19 Depth=3
	v_dual_mov_b32 v34, s29 :: v_dual_mov_b32 v33, s28
	s_mov_b32 s47, -1
	s_mov_b32 s46, exec_lo
	ds_cmpstore_rtn_b64 v[33:34], v38, v[19:20], v[33:34]
	s_waitcnt lgkmcnt(0)
	v_cmpx_eq_u64_e64 s[28:29], v[33:34]
	s_cbranch_execz .LBB112_27
; %bb.24:                               ;   in Loop: Header=BB112_19 Depth=3
	v_mul_lo_u32 v33, v32, 24
	s_mov_b32 s47, 0
	s_delay_alu instid0(VALU_DEP_1)
	v_add_nc_u32_e32 v38, v38, v33
	ds_load_b64 v[33:34], v38 offset:2048
.LBB112_25:                             ;   Parent Loop BB112_14 Depth=1
                                        ;     Parent Loop BB112_17 Depth=2
                                        ;       Parent Loop BB112_19 Depth=3
                                        ; =>      This Inner Loop Header: Depth=4
	s_waitcnt lgkmcnt(0)
	v_add_f64 v[39:40], v[33:34], v[30:31]
	ds_cmpstore_rtn_b64 v[39:40], v38, v[39:40], v[33:34] offset:2048
	s_waitcnt lgkmcnt(0)
	v_cmp_eq_u64_e32 vcc_lo, v[39:40], v[33:34]
	v_dual_mov_b32 v33, v39 :: v_dual_mov_b32 v34, v40
	s_or_b32 s47, vcc_lo, s47
	s_delay_alu instid0(SALU_CYCLE_1)
	s_and_not1_b32 exec_lo, exec_lo, s47
	s_cbranch_execnz .LBB112_25
; %bb.26:                               ;   in Loop: Header=BB112_19 Depth=3
	s_or_b32 exec_lo, exec_lo, s47
	s_delay_alu instid0(SALU_CYCLE_1)
	s_xor_b32 s47, exec_lo, -1
.LBB112_27:                             ;   in Loop: Header=BB112_19 Depth=3
	s_or_b32 exec_lo, exec_lo, s46
	s_delay_alu instid0(SALU_CYCLE_1) | instskip(SKIP_1) | instid1(SALU_CYCLE_1)
	s_and_not1_b32 s44, s44, exec_lo
	s_and_b32 s46, s47, exec_lo
	s_or_b32 s44, s44, s46
.LBB112_28:                             ;   in Loop: Header=BB112_19 Depth=3
	s_or_b32 exec_lo, exec_lo, s45
	s_delay_alu instid0(SALU_CYCLE_1)
	s_and_b32 s44, s44, exec_lo
                                        ; implicit-def: $vgpr38
.LBB112_29:                             ;   in Loop: Header=BB112_19 Depth=3
	s_and_not1_saveexec_b32 s43, s43
	s_cbranch_execz .LBB112_18
; %bb.30:                               ;   in Loop: Header=BB112_19 Depth=3
	v_mul_lo_u32 v33, v32, 24
	s_mov_b32 s45, 0
	s_delay_alu instid0(VALU_DEP_1)
	v_add_nc_u32_e32 v38, v38, v33
	ds_load_b64 v[33:34], v38 offset:2048
.LBB112_31:                             ;   Parent Loop BB112_14 Depth=1
                                        ;     Parent Loop BB112_17 Depth=2
                                        ;       Parent Loop BB112_19 Depth=3
                                        ; =>      This Inner Loop Header: Depth=4
	s_waitcnt lgkmcnt(0)
	v_add_f64 v[39:40], v[33:34], v[30:31]
	ds_cmpstore_rtn_b64 v[39:40], v38, v[39:40], v[33:34] offset:2048
	s_waitcnt lgkmcnt(0)
	v_cmp_eq_u64_e32 vcc_lo, v[39:40], v[33:34]
	v_dual_mov_b32 v33, v39 :: v_dual_mov_b32 v34, v40
	s_or_b32 s45, vcc_lo, s45
	s_delay_alu instid0(SALU_CYCLE_1)
	s_and_not1_b32 exec_lo, exec_lo, s45
	s_cbranch_execnz .LBB112_31
; %bb.32:                               ;   in Loop: Header=BB112_19 Depth=3
	s_or_b32 exec_lo, exec_lo, s45
	s_delay_alu instid0(SALU_CYCLE_1)
	s_and_not1_b32 s44, s44, exec_lo
	s_branch .LBB112_18
.LBB112_33:                             ;   in Loop: Header=BB112_17 Depth=2
	s_or_b32 exec_lo, exec_lo, s42
	s_waitcnt vmcnt(0)
	v_mul_f64 v[30:31], v[15:16], v[24:25]
	v_dual_mov_b32 v33, v22 :: v_dual_mov_b32 v32, v21
	s_mov_b32 s42, 0
	s_delay_alu instid0(VALU_DEP_2)
	v_fma_f64 v[30:31], v[17:18], v[22:23], v[30:31]
	s_branch .LBB112_35
.LBB112_34:                             ;   in Loop: Header=BB112_35 Depth=3
	s_or_b32 exec_lo, exec_lo, s43
	s_xor_b32 s43, s44, -1
	s_delay_alu instid0(SALU_CYCLE_1) | instskip(NEXT) | instid1(SALU_CYCLE_1)
	s_and_b32 s43, exec_lo, s43
	s_or_b32 s42, s43, s42
	s_delay_alu instid0(SALU_CYCLE_1)
	s_and_not1_b32 exec_lo, exec_lo, s42
	s_cbranch_execz .LBB112_49
.LBB112_35:                             ;   Parent Loop BB112_14 Depth=1
                                        ;     Parent Loop BB112_17 Depth=2
                                        ; =>    This Loop Header: Depth=3
                                        ;         Child Loop BB112_41 Depth 4
                                        ;         Child Loop BB112_47 Depth 4
	s_delay_alu instid0(VALU_DEP_2)
	v_lshl_add_u32 v38, v32, 3, 0
	s_mov_b32 s43, exec_lo
                                        ; implicit-def: $sgpr44
	ds_load_b64 v[33:34], v38
	s_waitcnt lgkmcnt(0)
	v_cmpx_ne_u64_e64 v[33:34], v[19:20]
	s_xor_b32 s43, exec_lo, s43
	s_cbranch_execz .LBB112_45
; %bb.36:                               ;   in Loop: Header=BB112_35 Depth=3
	s_mov_b32 s45, exec_lo
                                        ; implicit-def: $sgpr44
	v_cmpx_ne_u64_e64 s[28:29], v[33:34]
	s_xor_b32 s45, exec_lo, s45
; %bb.37:                               ;   in Loop: Header=BB112_35 Depth=3
	v_add_nc_u32_e32 v32, 1, v32
	s_mov_b32 s44, -1
                                        ; implicit-def: $vgpr38
	s_delay_alu instid0(VALU_DEP_1)
	v_and_b32_e32 v32, 0xff, v32
; %bb.38:                               ;   in Loop: Header=BB112_35 Depth=3
	s_and_not1_saveexec_b32 s45, s45
	s_cbranch_execz .LBB112_44
; %bb.39:                               ;   in Loop: Header=BB112_35 Depth=3
	v_dual_mov_b32 v34, s29 :: v_dual_mov_b32 v33, s28
	s_mov_b32 s47, -1
	s_mov_b32 s46, exec_lo
	ds_cmpstore_rtn_b64 v[33:34], v38, v[19:20], v[33:34]
	s_waitcnt lgkmcnt(0)
	v_cmpx_eq_u64_e64 s[28:29], v[33:34]
	s_cbranch_execz .LBB112_43
; %bb.40:                               ;   in Loop: Header=BB112_35 Depth=3
	v_mul_lo_u32 v33, v32, 24
	s_mov_b32 s47, 0
	s_delay_alu instid0(VALU_DEP_1)
	v_add_nc_u32_e32 v38, v38, v33
	ds_load_b64 v[33:34], v38 offset:2056
.LBB112_41:                             ;   Parent Loop BB112_14 Depth=1
                                        ;     Parent Loop BB112_17 Depth=2
                                        ;       Parent Loop BB112_35 Depth=3
                                        ; =>      This Inner Loop Header: Depth=4
	s_waitcnt lgkmcnt(0)
	v_add_f64 v[39:40], v[33:34], v[30:31]
	ds_cmpstore_rtn_b64 v[39:40], v38, v[39:40], v[33:34] offset:2056
	s_waitcnt lgkmcnt(0)
	v_cmp_eq_u64_e32 vcc_lo, v[39:40], v[33:34]
	v_dual_mov_b32 v33, v39 :: v_dual_mov_b32 v34, v40
	s_or_b32 s47, vcc_lo, s47
	s_delay_alu instid0(SALU_CYCLE_1)
	s_and_not1_b32 exec_lo, exec_lo, s47
	s_cbranch_execnz .LBB112_41
; %bb.42:                               ;   in Loop: Header=BB112_35 Depth=3
	s_or_b32 exec_lo, exec_lo, s47
	s_delay_alu instid0(SALU_CYCLE_1)
	s_xor_b32 s47, exec_lo, -1
.LBB112_43:                             ;   in Loop: Header=BB112_35 Depth=3
	s_or_b32 exec_lo, exec_lo, s46
	s_delay_alu instid0(SALU_CYCLE_1) | instskip(SKIP_1) | instid1(SALU_CYCLE_1)
	s_and_not1_b32 s44, s44, exec_lo
	s_and_b32 s46, s47, exec_lo
	s_or_b32 s44, s44, s46
.LBB112_44:                             ;   in Loop: Header=BB112_35 Depth=3
	s_or_b32 exec_lo, exec_lo, s45
	s_delay_alu instid0(SALU_CYCLE_1)
	s_and_b32 s44, s44, exec_lo
                                        ; implicit-def: $vgpr38
.LBB112_45:                             ;   in Loop: Header=BB112_35 Depth=3
	s_and_not1_saveexec_b32 s43, s43
	s_cbranch_execz .LBB112_34
; %bb.46:                               ;   in Loop: Header=BB112_35 Depth=3
	v_mul_lo_u32 v33, v32, 24
	s_mov_b32 s45, 0
	s_delay_alu instid0(VALU_DEP_1)
	v_add_nc_u32_e32 v38, v38, v33
	ds_load_b64 v[33:34], v38 offset:2056
.LBB112_47:                             ;   Parent Loop BB112_14 Depth=1
                                        ;     Parent Loop BB112_17 Depth=2
                                        ;       Parent Loop BB112_35 Depth=3
                                        ; =>      This Inner Loop Header: Depth=4
	s_waitcnt lgkmcnt(0)
	v_add_f64 v[39:40], v[33:34], v[30:31]
	ds_cmpstore_rtn_b64 v[39:40], v38, v[39:40], v[33:34] offset:2056
	s_waitcnt lgkmcnt(0)
	v_cmp_eq_u64_e32 vcc_lo, v[39:40], v[33:34]
	v_dual_mov_b32 v33, v39 :: v_dual_mov_b32 v34, v40
	s_or_b32 s45, vcc_lo, s45
	s_delay_alu instid0(SALU_CYCLE_1)
	s_and_not1_b32 exec_lo, exec_lo, s45
	s_cbranch_execnz .LBB112_47
; %bb.48:                               ;   in Loop: Header=BB112_35 Depth=3
	s_or_b32 exec_lo, exec_lo, s45
	s_delay_alu instid0(SALU_CYCLE_1)
	s_and_not1_b32 s44, s44, exec_lo
	s_branch .LBB112_34
.LBB112_49:                             ;   in Loop: Header=BB112_17 Depth=2
	s_or_b32 exec_lo, exec_lo, s42
	v_mul_f64 v[26:27], v[11:12], v[26:27]
	s_mov_b32 s42, 0
	s_delay_alu instid0(VALU_DEP_1)
	v_fma_f64 v[26:27], v[13:14], v[28:29], v[26:27]
	v_dual_mov_b32 v29, v22 :: v_dual_mov_b32 v28, v21
	s_branch .LBB112_51
.LBB112_50:                             ;   in Loop: Header=BB112_51 Depth=3
	s_or_b32 exec_lo, exec_lo, s43
	s_xor_b32 s43, s44, -1
	s_delay_alu instid0(SALU_CYCLE_1) | instskip(NEXT) | instid1(SALU_CYCLE_1)
	s_and_b32 s43, exec_lo, s43
	s_or_b32 s42, s43, s42
	s_delay_alu instid0(SALU_CYCLE_1)
	s_and_not1_b32 exec_lo, exec_lo, s42
	s_cbranch_execz .LBB112_65
.LBB112_51:                             ;   Parent Loop BB112_14 Depth=1
                                        ;     Parent Loop BB112_17 Depth=2
                                        ; =>    This Loop Header: Depth=3
                                        ;         Child Loop BB112_57 Depth 4
                                        ;         Child Loop BB112_63 Depth 4
	s_delay_alu instid0(VALU_DEP_1)
	v_lshl_add_u32 v31, v28, 3, 0
	s_mov_b32 s43, exec_lo
                                        ; implicit-def: $sgpr44
	ds_load_b64 v[29:30], v31
	s_waitcnt lgkmcnt(0)
	v_cmpx_ne_u64_e64 v[29:30], v[19:20]
	s_xor_b32 s43, exec_lo, s43
	s_cbranch_execz .LBB112_61
; %bb.52:                               ;   in Loop: Header=BB112_51 Depth=3
	s_mov_b32 s45, exec_lo
                                        ; implicit-def: $sgpr44
	v_cmpx_ne_u64_e64 s[28:29], v[29:30]
	s_xor_b32 s45, exec_lo, s45
; %bb.53:                               ;   in Loop: Header=BB112_51 Depth=3
	v_add_nc_u32_e32 v28, 1, v28
	s_mov_b32 s44, -1
                                        ; implicit-def: $vgpr31
	s_delay_alu instid0(VALU_DEP_1)
	v_and_b32_e32 v28, 0xff, v28
; %bb.54:                               ;   in Loop: Header=BB112_51 Depth=3
	s_and_not1_saveexec_b32 s45, s45
	s_cbranch_execz .LBB112_60
; %bb.55:                               ;   in Loop: Header=BB112_51 Depth=3
	v_dual_mov_b32 v30, s29 :: v_dual_mov_b32 v29, s28
	s_mov_b32 s47, -1
	s_mov_b32 s46, exec_lo
	ds_cmpstore_rtn_b64 v[29:30], v31, v[19:20], v[29:30]
	s_waitcnt lgkmcnt(0)
	v_cmpx_eq_u64_e64 s[28:29], v[29:30]
	s_cbranch_execz .LBB112_59
; %bb.56:                               ;   in Loop: Header=BB112_51 Depth=3
	v_mul_lo_u32 v29, v28, 24
	s_mov_b32 s47, 0
	s_delay_alu instid0(VALU_DEP_1)
	v_add_nc_u32_e32 v31, v31, v29
	ds_load_b64 v[29:30], v31 offset:2064
.LBB112_57:                             ;   Parent Loop BB112_14 Depth=1
                                        ;     Parent Loop BB112_17 Depth=2
                                        ;       Parent Loop BB112_51 Depth=3
                                        ; =>      This Inner Loop Header: Depth=4
	s_waitcnt lgkmcnt(0)
	v_add_f64 v[32:33], v[29:30], v[26:27]
	ds_cmpstore_rtn_b64 v[32:33], v31, v[32:33], v[29:30] offset:2064
	s_waitcnt lgkmcnt(0)
	v_cmp_eq_u64_e32 vcc_lo, v[32:33], v[29:30]
	v_dual_mov_b32 v29, v32 :: v_dual_mov_b32 v30, v33
	s_or_b32 s47, vcc_lo, s47
	s_delay_alu instid0(SALU_CYCLE_1)
	s_and_not1_b32 exec_lo, exec_lo, s47
	s_cbranch_execnz .LBB112_57
; %bb.58:                               ;   in Loop: Header=BB112_51 Depth=3
	s_or_b32 exec_lo, exec_lo, s47
	s_delay_alu instid0(SALU_CYCLE_1)
	s_xor_b32 s47, exec_lo, -1
.LBB112_59:                             ;   in Loop: Header=BB112_51 Depth=3
	s_or_b32 exec_lo, exec_lo, s46
	s_delay_alu instid0(SALU_CYCLE_1) | instskip(SKIP_1) | instid1(SALU_CYCLE_1)
	s_and_not1_b32 s44, s44, exec_lo
	s_and_b32 s46, s47, exec_lo
	s_or_b32 s44, s44, s46
.LBB112_60:                             ;   in Loop: Header=BB112_51 Depth=3
	s_or_b32 exec_lo, exec_lo, s45
	s_delay_alu instid0(SALU_CYCLE_1)
	s_and_b32 s44, s44, exec_lo
                                        ; implicit-def: $vgpr31
.LBB112_61:                             ;   in Loop: Header=BB112_51 Depth=3
	s_and_not1_saveexec_b32 s43, s43
	s_cbranch_execz .LBB112_50
; %bb.62:                               ;   in Loop: Header=BB112_51 Depth=3
	v_mul_lo_u32 v29, v28, 24
	s_mov_b32 s45, 0
	s_delay_alu instid0(VALU_DEP_1)
	v_add_nc_u32_e32 v31, v31, v29
	ds_load_b64 v[29:30], v31 offset:2064
.LBB112_63:                             ;   Parent Loop BB112_14 Depth=1
                                        ;     Parent Loop BB112_17 Depth=2
                                        ;       Parent Loop BB112_51 Depth=3
                                        ; =>      This Inner Loop Header: Depth=4
	s_waitcnt lgkmcnt(0)
	v_add_f64 v[32:33], v[29:30], v[26:27]
	ds_cmpstore_rtn_b64 v[32:33], v31, v[32:33], v[29:30] offset:2064
	s_waitcnt lgkmcnt(0)
	v_cmp_eq_u64_e32 vcc_lo, v[32:33], v[29:30]
	v_dual_mov_b32 v29, v32 :: v_dual_mov_b32 v30, v33
	s_or_b32 s45, vcc_lo, s45
	s_delay_alu instid0(SALU_CYCLE_1)
	s_and_not1_b32 exec_lo, exec_lo, s45
	s_cbranch_execnz .LBB112_63
; %bb.64:                               ;   in Loop: Header=BB112_51 Depth=3
	s_or_b32 exec_lo, exec_lo, s45
	s_delay_alu instid0(SALU_CYCLE_1)
	s_and_not1_b32 s44, s44, exec_lo
	s_branch .LBB112_50
.LBB112_65:                             ;   in Loop: Header=BB112_17 Depth=2
	s_or_b32 exec_lo, exec_lo, s42
	v_mul_f64 v[24:25], v[11:12], v[24:25]
	s_mov_b32 s42, 0
	s_delay_alu instid0(VALU_DEP_1)
	v_fma_f64 v[22:23], v[13:14], v[22:23], v[24:25]
	s_branch .LBB112_67
.LBB112_66:                             ;   in Loop: Header=BB112_67 Depth=3
	s_or_b32 exec_lo, exec_lo, s43
	s_xor_b32 s43, s44, -1
	s_delay_alu instid0(SALU_CYCLE_1) | instskip(NEXT) | instid1(SALU_CYCLE_1)
	s_and_b32 s43, exec_lo, s43
	s_or_b32 s42, s43, s42
	s_delay_alu instid0(SALU_CYCLE_1)
	s_and_not1_b32 exec_lo, exec_lo, s42
	s_cbranch_execz .LBB112_16
.LBB112_67:                             ;   Parent Loop BB112_14 Depth=1
                                        ;     Parent Loop BB112_17 Depth=2
                                        ; =>    This Loop Header: Depth=3
                                        ;         Child Loop BB112_73 Depth 4
                                        ;         Child Loop BB112_79 Depth 4
	v_lshl_add_u32 v26, v21, 3, 0
	s_mov_b32 s43, exec_lo
                                        ; implicit-def: $sgpr44
	ds_load_b64 v[24:25], v26
	s_waitcnt lgkmcnt(0)
	v_cmpx_ne_u64_e64 v[24:25], v[19:20]
	s_xor_b32 s43, exec_lo, s43
	s_cbranch_execz .LBB112_77
; %bb.68:                               ;   in Loop: Header=BB112_67 Depth=3
	s_mov_b32 s45, exec_lo
                                        ; implicit-def: $sgpr44
	v_cmpx_ne_u64_e64 s[28:29], v[24:25]
	s_xor_b32 s45, exec_lo, s45
; %bb.69:                               ;   in Loop: Header=BB112_67 Depth=3
	v_add_nc_u32_e32 v21, 1, v21
	s_mov_b32 s44, -1
                                        ; implicit-def: $vgpr26
	s_delay_alu instid0(VALU_DEP_1)
	v_and_b32_e32 v21, 0xff, v21
; %bb.70:                               ;   in Loop: Header=BB112_67 Depth=3
	s_and_not1_saveexec_b32 s45, s45
	s_cbranch_execz .LBB112_76
; %bb.71:                               ;   in Loop: Header=BB112_67 Depth=3
	v_dual_mov_b32 v24, s28 :: v_dual_mov_b32 v25, s29
	s_mov_b32 s47, -1
	s_mov_b32 s46, exec_lo
	ds_cmpstore_rtn_b64 v[24:25], v26, v[19:20], v[24:25]
	s_waitcnt lgkmcnt(0)
	v_cmpx_eq_u64_e64 s[28:29], v[24:25]
	s_cbranch_execz .LBB112_75
; %bb.72:                               ;   in Loop: Header=BB112_67 Depth=3
	v_mul_lo_u32 v24, v21, 24
	s_mov_b32 s47, 0
	s_delay_alu instid0(VALU_DEP_1)
	v_add_nc_u32_e32 v26, v26, v24
	ds_load_b64 v[24:25], v26 offset:2072
.LBB112_73:                             ;   Parent Loop BB112_14 Depth=1
                                        ;     Parent Loop BB112_17 Depth=2
                                        ;       Parent Loop BB112_67 Depth=3
                                        ; =>      This Inner Loop Header: Depth=4
	s_waitcnt lgkmcnt(0)
	v_add_f64 v[27:28], v[24:25], v[22:23]
	ds_cmpstore_rtn_b64 v[27:28], v26, v[27:28], v[24:25] offset:2072
	s_waitcnt lgkmcnt(0)
	v_cmp_eq_u64_e32 vcc_lo, v[27:28], v[24:25]
	v_dual_mov_b32 v24, v27 :: v_dual_mov_b32 v25, v28
	s_or_b32 s47, vcc_lo, s47
	s_delay_alu instid0(SALU_CYCLE_1)
	s_and_not1_b32 exec_lo, exec_lo, s47
	s_cbranch_execnz .LBB112_73
; %bb.74:                               ;   in Loop: Header=BB112_67 Depth=3
	s_or_b32 exec_lo, exec_lo, s47
	s_delay_alu instid0(SALU_CYCLE_1)
	s_xor_b32 s47, exec_lo, -1
.LBB112_75:                             ;   in Loop: Header=BB112_67 Depth=3
	s_or_b32 exec_lo, exec_lo, s46
	s_delay_alu instid0(SALU_CYCLE_1) | instskip(SKIP_1) | instid1(SALU_CYCLE_1)
	s_and_not1_b32 s44, s44, exec_lo
	s_and_b32 s46, s47, exec_lo
	s_or_b32 s44, s44, s46
.LBB112_76:                             ;   in Loop: Header=BB112_67 Depth=3
	s_or_b32 exec_lo, exec_lo, s45
	s_delay_alu instid0(SALU_CYCLE_1)
	s_and_b32 s44, s44, exec_lo
                                        ; implicit-def: $vgpr26
.LBB112_77:                             ;   in Loop: Header=BB112_67 Depth=3
	s_and_not1_saveexec_b32 s43, s43
	s_cbranch_execz .LBB112_66
; %bb.78:                               ;   in Loop: Header=BB112_67 Depth=3
	v_mul_lo_u32 v24, v21, 24
	s_mov_b32 s45, 0
	s_delay_alu instid0(VALU_DEP_1)
	v_add_nc_u32_e32 v26, v26, v24
	ds_load_b64 v[24:25], v26 offset:2072
.LBB112_79:                             ;   Parent Loop BB112_14 Depth=1
                                        ;     Parent Loop BB112_17 Depth=2
                                        ;       Parent Loop BB112_67 Depth=3
                                        ; =>      This Inner Loop Header: Depth=4
	s_waitcnt lgkmcnt(0)
	v_add_f64 v[27:28], v[24:25], v[22:23]
	ds_cmpstore_rtn_b64 v[27:28], v26, v[27:28], v[24:25] offset:2072
	s_waitcnt lgkmcnt(0)
	v_cmp_eq_u64_e32 vcc_lo, v[27:28], v[24:25]
	v_dual_mov_b32 v24, v27 :: v_dual_mov_b32 v25, v28
	s_or_b32 s45, vcc_lo, s45
	s_delay_alu instid0(SALU_CYCLE_1)
	s_and_not1_b32 exec_lo, exec_lo, s45
	s_cbranch_execnz .LBB112_79
; %bb.80:                               ;   in Loop: Header=BB112_67 Depth=3
	s_or_b32 exec_lo, exec_lo, s45
	s_delay_alu instid0(SALU_CYCLE_1)
	s_and_not1_b32 s44, s44, exec_lo
	s_branch .LBB112_66
.LBB112_81:
	s_or_b32 exec_lo, exec_lo, s12
.LBB112_82:
	s_delay_alu instid0(SALU_CYCLE_1)
	s_and_not1_b32 vcc_lo, exec_lo, s33
	s_waitcnt lgkmcnt(0)
	s_barrier
	buffer_gl0_inv
	s_cbranch_vccnz .LBB112_151
; %bb.83:
	s_lshl_b64 s[0:1], s[34:35], 3
	s_delay_alu instid0(SALU_CYCLE_1) | instskip(SKIP_4) | instid1(VALU_DEP_1)
	s_add_u32 s0, s4, s0
	s_addc_u32 s1, s5, s1
	s_mov_b32 s4, 0
	s_load_b128 s[12:15], s[0:1], 0x0
	v_sub_co_u32 v3, s0, v0, s23
	v_sub_co_ci_u32_e64 v4, null, 0, 0, s0
	s_mov_b32 s5, exec_lo
	s_waitcnt lgkmcnt(0)
	s_delay_alu instid0(VALU_DEP_2) | instskip(NEXT) | instid1(VALU_DEP_2)
	v_add_co_u32 v3, vcc_lo, s12, v3
	v_add_co_ci_u32_e32 v4, vcc_lo, s13, v4, vcc_lo
	s_sub_u32 s0, s14, s23
	s_subb_u32 s1, s15, 0
	s_delay_alu instid0(VALU_DEP_1) | instid1(SALU_CYCLE_1)
	v_cmpx_gt_i64_e64 s[0:1], v[3:4]
	s_cbranch_execz .LBB112_150
; %bb.84:
	s_cmp_eq_u32 s3, 0
	s_mov_b32 s12, s23
	s_cselect_b32 s13, 1, 2
	s_cselect_b32 s14, 2, 1
	s_branch .LBB112_86
.LBB112_85:                             ;   in Loop: Header=BB112_86 Depth=1
	s_or_b32 exec_lo, exec_lo, s15
	v_add_co_u32 v3, vcc_lo, 0x100, v3
	v_add_co_ci_u32_e32 v4, vcc_lo, 0, v4, vcc_lo
	s_delay_alu instid0(VALU_DEP_1) | instskip(SKIP_1) | instid1(SALU_CYCLE_1)
	v_cmp_le_i64_e32 vcc_lo, s[0:1], v[3:4]
	s_or_b32 s4, vcc_lo, s4
	s_and_not1_b32 exec_lo, exec_lo, s4
	s_cbranch_execz .LBB112_150
.LBB112_86:                             ; =>This Loop Header: Depth=1
                                        ;     Child Loop BB112_88 Depth 2
                                        ;       Child Loop BB112_94 Depth 3
                                        ;       Child Loop BB112_100 Depth 3
                                        ;     Child Loop BB112_104 Depth 2
                                        ;       Child Loop BB112_110 Depth 3
                                        ;       Child Loop BB112_116 Depth 3
	;; [unrolled: 3-line block ×4, first 2 shown]
	v_lshlrev_b64 v[5:6], 5, v[3:4]
	v_lshlrev_b64 v[7:8], 3, v[3:4]
	;; [unrolled: 1-line block ×3, first 2 shown]
	s_mov_b32 s15, 0
	s_delay_alu instid0(VALU_DEP_3) | instskip(NEXT) | instid1(VALU_DEP_4)
	v_add_co_u32 v5, vcc_lo, s8, v5
	v_add_co_ci_u32_e32 v6, vcc_lo, s9, v6, vcc_lo
	s_delay_alu instid0(VALU_DEP_4)
	v_add_co_u32 v7, vcc_lo, s6, v7
	v_add_co_ci_u32_e32 v8, vcc_lo, s7, v8, vcc_lo
	global_load_b64 v[14:15], v[5:6], off
	v_or_b32_e32 v12, 0, v10
	v_or_b32_e32 v11, s14, v9
	global_load_b64 v[16:17], v[7:8], off
	v_or_b32_e32 v8, 0, v10
	v_or_b32_e32 v7, s13, v9
	v_lshlrev_b64 v[9:10], 3, v[11:12]
	s_delay_alu instid0(VALU_DEP_2) | instskip(NEXT) | instid1(VALU_DEP_2)
	v_lshlrev_b64 v[7:8], 3, v[7:8]
	v_add_co_u32 v9, vcc_lo, s8, v9
	s_delay_alu instid0(VALU_DEP_3) | instskip(NEXT) | instid1(VALU_DEP_3)
	v_add_co_ci_u32_e32 v10, vcc_lo, s9, v10, vcc_lo
	v_add_co_u32 v7, vcc_lo, s8, v7
	s_delay_alu instid0(VALU_DEP_4)
	v_add_co_ci_u32_e32 v8, vcc_lo, s9, v8, vcc_lo
	s_clause 0x2
	global_load_b64 v[10:11], v[9:10], off
	global_load_b64 v[12:13], v[7:8], off
	global_load_b64 v[8:9], v[5:6], off offset:24
	s_waitcnt vmcnt(4)
	v_mul_f64 v[14:15], v[1:2], v[14:15]
	s_waitcnt vmcnt(3)
	v_sub_co_u32 v5, vcc_lo, v16, s12
	v_subrev_co_ci_u32_e32 v6, vcc_lo, 0, v17, vcc_lo
	s_delay_alu instid0(VALU_DEP_2) | instskip(NEXT) | instid1(VALU_DEP_1)
	v_mul_lo_u32 v7, 0x89, v5
	v_and_b32_e32 v7, 0xff, v7
	s_waitcnt vmcnt(0)
	s_delay_alu instid0(VALU_DEP_1)
	v_dual_mov_b32 v17, v8 :: v_dual_mov_b32 v16, v7
	s_branch .LBB112_88
.LBB112_87:                             ;   in Loop: Header=BB112_88 Depth=2
	s_or_b32 exec_lo, exec_lo, s16
	s_xor_b32 s16, s17, -1
	s_delay_alu instid0(SALU_CYCLE_1) | instskip(NEXT) | instid1(SALU_CYCLE_1)
	s_and_b32 s16, exec_lo, s16
	s_or_b32 s15, s16, s15
	s_delay_alu instid0(SALU_CYCLE_1)
	s_and_not1_b32 exec_lo, exec_lo, s15
	s_cbranch_execz .LBB112_102
.LBB112_88:                             ;   Parent Loop BB112_86 Depth=1
                                        ; =>  This Loop Header: Depth=2
                                        ;       Child Loop BB112_94 Depth 3
                                        ;       Child Loop BB112_100 Depth 3
	s_delay_alu instid0(VALU_DEP_1)
	v_lshl_add_u32 v19, v16, 3, 0
	s_mov_b32 s16, exec_lo
                                        ; implicit-def: $sgpr17
	ds_load_b64 v[17:18], v19
	s_waitcnt lgkmcnt(0)
	v_cmpx_ne_u64_e64 v[17:18], v[5:6]
	s_xor_b32 s16, exec_lo, s16
	s_cbranch_execz .LBB112_98
; %bb.89:                               ;   in Loop: Header=BB112_88 Depth=2
	s_mov_b32 s18, exec_lo
                                        ; implicit-def: $sgpr17
	v_cmpx_ne_u64_e64 s[28:29], v[17:18]
	s_xor_b32 s18, exec_lo, s18
; %bb.90:                               ;   in Loop: Header=BB112_88 Depth=2
	v_add_nc_u32_e32 v16, 1, v16
	s_mov_b32 s17, -1
                                        ; implicit-def: $vgpr19
	s_delay_alu instid0(VALU_DEP_1)
	v_and_b32_e32 v16, 0xff, v16
; %bb.91:                               ;   in Loop: Header=BB112_88 Depth=2
	s_and_not1_saveexec_b32 s18, s18
	s_cbranch_execz .LBB112_97
; %bb.92:                               ;   in Loop: Header=BB112_88 Depth=2
	v_dual_mov_b32 v17, s28 :: v_dual_mov_b32 v18, s29
	s_mov_b32 s20, -1
	s_mov_b32 s19, exec_lo
	ds_cmpstore_rtn_b64 v[17:18], v19, v[5:6], v[17:18]
	s_waitcnt lgkmcnt(0)
	v_cmpx_eq_u64_e64 s[28:29], v[17:18]
	s_cbranch_execz .LBB112_96
; %bb.93:                               ;   in Loop: Header=BB112_88 Depth=2
	v_mul_lo_u32 v17, v16, 24
	s_mov_b32 s20, 0
	s_delay_alu instid0(VALU_DEP_1)
	v_add_nc_u32_e32 v19, v19, v17
	ds_load_b64 v[17:18], v19 offset:2048
.LBB112_94:                             ;   Parent Loop BB112_86 Depth=1
                                        ;     Parent Loop BB112_88 Depth=2
                                        ; =>    This Inner Loop Header: Depth=3
	s_waitcnt lgkmcnt(0)
	v_add_f64 v[20:21], v[17:18], v[14:15]
	ds_cmpstore_rtn_b64 v[20:21], v19, v[20:21], v[17:18] offset:2048
	s_waitcnt lgkmcnt(0)
	v_cmp_eq_u64_e32 vcc_lo, v[20:21], v[17:18]
	v_dual_mov_b32 v17, v20 :: v_dual_mov_b32 v18, v21
	s_or_b32 s20, vcc_lo, s20
	s_delay_alu instid0(SALU_CYCLE_1)
	s_and_not1_b32 exec_lo, exec_lo, s20
	s_cbranch_execnz .LBB112_94
; %bb.95:                               ;   in Loop: Header=BB112_88 Depth=2
	s_or_b32 exec_lo, exec_lo, s20
	s_delay_alu instid0(SALU_CYCLE_1)
	s_xor_b32 s20, exec_lo, -1
.LBB112_96:                             ;   in Loop: Header=BB112_88 Depth=2
	s_or_b32 exec_lo, exec_lo, s19
	s_delay_alu instid0(SALU_CYCLE_1) | instskip(SKIP_1) | instid1(SALU_CYCLE_1)
	s_and_not1_b32 s17, s17, exec_lo
	s_and_b32 s19, s20, exec_lo
	s_or_b32 s17, s17, s19
.LBB112_97:                             ;   in Loop: Header=BB112_88 Depth=2
	s_or_b32 exec_lo, exec_lo, s18
	s_delay_alu instid0(SALU_CYCLE_1)
	s_and_b32 s17, s17, exec_lo
                                        ; implicit-def: $vgpr19
.LBB112_98:                             ;   in Loop: Header=BB112_88 Depth=2
	s_and_not1_saveexec_b32 s16, s16
	s_cbranch_execz .LBB112_87
; %bb.99:                               ;   in Loop: Header=BB112_88 Depth=2
	v_mul_lo_u32 v17, v16, 24
	s_mov_b32 s18, 0
	s_delay_alu instid0(VALU_DEP_1)
	v_add_nc_u32_e32 v19, v19, v17
	ds_load_b64 v[17:18], v19 offset:2048
.LBB112_100:                            ;   Parent Loop BB112_86 Depth=1
                                        ;     Parent Loop BB112_88 Depth=2
                                        ; =>    This Inner Loop Header: Depth=3
	s_waitcnt lgkmcnt(0)
	v_add_f64 v[20:21], v[17:18], v[14:15]
	ds_cmpstore_rtn_b64 v[20:21], v19, v[20:21], v[17:18] offset:2048
	s_waitcnt lgkmcnt(0)
	v_cmp_eq_u64_e32 vcc_lo, v[20:21], v[17:18]
	v_dual_mov_b32 v17, v20 :: v_dual_mov_b32 v18, v21
	s_or_b32 s18, vcc_lo, s18
	s_delay_alu instid0(SALU_CYCLE_1)
	s_and_not1_b32 exec_lo, exec_lo, s18
	s_cbranch_execnz .LBB112_100
; %bb.101:                              ;   in Loop: Header=BB112_88 Depth=2
	s_or_b32 exec_lo, exec_lo, s18
	s_delay_alu instid0(SALU_CYCLE_1)
	s_and_not1_b32 s17, s17, exec_lo
	s_branch .LBB112_87
.LBB112_102:                            ;   in Loop: Header=BB112_86 Depth=1
	s_or_b32 exec_lo, exec_lo, s15
	v_mul_f64 v[12:13], v[1:2], v[12:13]
	v_dual_mov_b32 v15, v8 :: v_dual_mov_b32 v14, v7
	s_mov_b32 s15, 0
	s_branch .LBB112_104
.LBB112_103:                            ;   in Loop: Header=BB112_104 Depth=2
	s_or_b32 exec_lo, exec_lo, s16
	s_xor_b32 s16, s17, -1
	s_delay_alu instid0(SALU_CYCLE_1) | instskip(NEXT) | instid1(SALU_CYCLE_1)
	s_and_b32 s16, exec_lo, s16
	s_or_b32 s15, s16, s15
	s_delay_alu instid0(SALU_CYCLE_1)
	s_and_not1_b32 exec_lo, exec_lo, s15
	s_cbranch_execz .LBB112_118
.LBB112_104:                            ;   Parent Loop BB112_86 Depth=1
                                        ; =>  This Loop Header: Depth=2
                                        ;       Child Loop BB112_110 Depth 3
                                        ;       Child Loop BB112_116 Depth 3
	s_delay_alu instid0(VALU_DEP_1)
	v_lshl_add_u32 v17, v14, 3, 0
	s_mov_b32 s16, exec_lo
                                        ; implicit-def: $sgpr17
	ds_load_b64 v[15:16], v17
	s_waitcnt lgkmcnt(0)
	v_cmpx_ne_u64_e64 v[15:16], v[5:6]
	s_xor_b32 s16, exec_lo, s16
	s_cbranch_execz .LBB112_114
; %bb.105:                              ;   in Loop: Header=BB112_104 Depth=2
	s_mov_b32 s18, exec_lo
                                        ; implicit-def: $sgpr17
	v_cmpx_ne_u64_e64 s[28:29], v[15:16]
	s_xor_b32 s18, exec_lo, s18
; %bb.106:                              ;   in Loop: Header=BB112_104 Depth=2
	v_add_nc_u32_e32 v14, 1, v14
	s_mov_b32 s17, -1
                                        ; implicit-def: $vgpr17
	s_delay_alu instid0(VALU_DEP_1)
	v_and_b32_e32 v14, 0xff, v14
; %bb.107:                              ;   in Loop: Header=BB112_104 Depth=2
	s_and_not1_saveexec_b32 s18, s18
	s_cbranch_execz .LBB112_113
; %bb.108:                              ;   in Loop: Header=BB112_104 Depth=2
	v_dual_mov_b32 v15, s28 :: v_dual_mov_b32 v16, s29
	s_mov_b32 s20, -1
	s_mov_b32 s19, exec_lo
	ds_cmpstore_rtn_b64 v[15:16], v17, v[5:6], v[15:16]
	s_waitcnt lgkmcnt(0)
	v_cmpx_eq_u64_e64 s[28:29], v[15:16]
	s_cbranch_execz .LBB112_112
; %bb.109:                              ;   in Loop: Header=BB112_104 Depth=2
	v_mul_lo_u32 v15, v14, 24
	s_mov_b32 s20, 0
	s_delay_alu instid0(VALU_DEP_1)
	v_add_nc_u32_e32 v17, v17, v15
	ds_load_b64 v[15:16], v17 offset:2056
.LBB112_110:                            ;   Parent Loop BB112_86 Depth=1
                                        ;     Parent Loop BB112_104 Depth=2
                                        ; =>    This Inner Loop Header: Depth=3
	s_waitcnt lgkmcnt(0)
	v_add_f64 v[18:19], v[15:16], v[12:13]
	ds_cmpstore_rtn_b64 v[18:19], v17, v[18:19], v[15:16] offset:2056
	s_waitcnt lgkmcnt(0)
	v_cmp_eq_u64_e32 vcc_lo, v[18:19], v[15:16]
	v_dual_mov_b32 v15, v18 :: v_dual_mov_b32 v16, v19
	s_or_b32 s20, vcc_lo, s20
	s_delay_alu instid0(SALU_CYCLE_1)
	s_and_not1_b32 exec_lo, exec_lo, s20
	s_cbranch_execnz .LBB112_110
; %bb.111:                              ;   in Loop: Header=BB112_104 Depth=2
	s_or_b32 exec_lo, exec_lo, s20
	s_delay_alu instid0(SALU_CYCLE_1)
	s_xor_b32 s20, exec_lo, -1
.LBB112_112:                            ;   in Loop: Header=BB112_104 Depth=2
	s_or_b32 exec_lo, exec_lo, s19
	s_delay_alu instid0(SALU_CYCLE_1) | instskip(SKIP_1) | instid1(SALU_CYCLE_1)
	s_and_not1_b32 s17, s17, exec_lo
	s_and_b32 s19, s20, exec_lo
	s_or_b32 s17, s17, s19
.LBB112_113:                            ;   in Loop: Header=BB112_104 Depth=2
	s_or_b32 exec_lo, exec_lo, s18
	s_delay_alu instid0(SALU_CYCLE_1)
	s_and_b32 s17, s17, exec_lo
                                        ; implicit-def: $vgpr17
.LBB112_114:                            ;   in Loop: Header=BB112_104 Depth=2
	s_and_not1_saveexec_b32 s16, s16
	s_cbranch_execz .LBB112_103
; %bb.115:                              ;   in Loop: Header=BB112_104 Depth=2
	v_mul_lo_u32 v15, v14, 24
	s_mov_b32 s18, 0
	s_delay_alu instid0(VALU_DEP_1)
	v_add_nc_u32_e32 v17, v17, v15
	ds_load_b64 v[15:16], v17 offset:2056
.LBB112_116:                            ;   Parent Loop BB112_86 Depth=1
                                        ;     Parent Loop BB112_104 Depth=2
                                        ; =>    This Inner Loop Header: Depth=3
	s_waitcnt lgkmcnt(0)
	v_add_f64 v[18:19], v[15:16], v[12:13]
	ds_cmpstore_rtn_b64 v[18:19], v17, v[18:19], v[15:16] offset:2056
	s_waitcnt lgkmcnt(0)
	v_cmp_eq_u64_e32 vcc_lo, v[18:19], v[15:16]
	v_dual_mov_b32 v15, v18 :: v_dual_mov_b32 v16, v19
	s_or_b32 s18, vcc_lo, s18
	s_delay_alu instid0(SALU_CYCLE_1)
	s_and_not1_b32 exec_lo, exec_lo, s18
	s_cbranch_execnz .LBB112_116
; %bb.117:                              ;   in Loop: Header=BB112_104 Depth=2
	s_or_b32 exec_lo, exec_lo, s18
	s_delay_alu instid0(SALU_CYCLE_1)
	s_and_not1_b32 s17, s17, exec_lo
	s_branch .LBB112_103
.LBB112_118:                            ;   in Loop: Header=BB112_86 Depth=1
	s_or_b32 exec_lo, exec_lo, s15
	v_mul_f64 v[10:11], v[1:2], v[10:11]
	v_dual_mov_b32 v13, v8 :: v_dual_mov_b32 v12, v7
	s_mov_b32 s15, 0
	s_branch .LBB112_120
.LBB112_119:                            ;   in Loop: Header=BB112_120 Depth=2
	s_or_b32 exec_lo, exec_lo, s16
	s_xor_b32 s16, s17, -1
	s_delay_alu instid0(SALU_CYCLE_1) | instskip(NEXT) | instid1(SALU_CYCLE_1)
	s_and_b32 s16, exec_lo, s16
	s_or_b32 s15, s16, s15
	s_delay_alu instid0(SALU_CYCLE_1)
	s_and_not1_b32 exec_lo, exec_lo, s15
	s_cbranch_execz .LBB112_134
.LBB112_120:                            ;   Parent Loop BB112_86 Depth=1
                                        ; =>  This Loop Header: Depth=2
                                        ;       Child Loop BB112_126 Depth 3
                                        ;       Child Loop BB112_132 Depth 3
	s_delay_alu instid0(VALU_DEP_1)
	v_lshl_add_u32 v15, v12, 3, 0
	s_mov_b32 s16, exec_lo
                                        ; implicit-def: $sgpr17
	ds_load_b64 v[13:14], v15
	s_waitcnt lgkmcnt(0)
	v_cmpx_ne_u64_e64 v[13:14], v[5:6]
	s_xor_b32 s16, exec_lo, s16
	s_cbranch_execz .LBB112_130
; %bb.121:                              ;   in Loop: Header=BB112_120 Depth=2
	s_mov_b32 s18, exec_lo
                                        ; implicit-def: $sgpr17
	v_cmpx_ne_u64_e64 s[28:29], v[13:14]
	s_xor_b32 s18, exec_lo, s18
; %bb.122:                              ;   in Loop: Header=BB112_120 Depth=2
	v_add_nc_u32_e32 v12, 1, v12
	s_mov_b32 s17, -1
                                        ; implicit-def: $vgpr15
	s_delay_alu instid0(VALU_DEP_1)
	v_and_b32_e32 v12, 0xff, v12
; %bb.123:                              ;   in Loop: Header=BB112_120 Depth=2
	s_and_not1_saveexec_b32 s18, s18
	s_cbranch_execz .LBB112_129
; %bb.124:                              ;   in Loop: Header=BB112_120 Depth=2
	v_dual_mov_b32 v13, s28 :: v_dual_mov_b32 v14, s29
	s_mov_b32 s20, -1
	s_mov_b32 s19, exec_lo
	ds_cmpstore_rtn_b64 v[13:14], v15, v[5:6], v[13:14]
	s_waitcnt lgkmcnt(0)
	v_cmpx_eq_u64_e64 s[28:29], v[13:14]
	s_cbranch_execz .LBB112_128
; %bb.125:                              ;   in Loop: Header=BB112_120 Depth=2
	v_mul_lo_u32 v13, v12, 24
	s_mov_b32 s20, 0
	s_delay_alu instid0(VALU_DEP_1)
	v_add_nc_u32_e32 v15, v15, v13
	ds_load_b64 v[13:14], v15 offset:2064
.LBB112_126:                            ;   Parent Loop BB112_86 Depth=1
                                        ;     Parent Loop BB112_120 Depth=2
                                        ; =>    This Inner Loop Header: Depth=3
	s_waitcnt lgkmcnt(0)
	v_add_f64 v[16:17], v[13:14], v[10:11]
	ds_cmpstore_rtn_b64 v[16:17], v15, v[16:17], v[13:14] offset:2064
	s_waitcnt lgkmcnt(0)
	v_cmp_eq_u64_e32 vcc_lo, v[16:17], v[13:14]
	v_dual_mov_b32 v13, v16 :: v_dual_mov_b32 v14, v17
	s_or_b32 s20, vcc_lo, s20
	s_delay_alu instid0(SALU_CYCLE_1)
	s_and_not1_b32 exec_lo, exec_lo, s20
	s_cbranch_execnz .LBB112_126
; %bb.127:                              ;   in Loop: Header=BB112_120 Depth=2
	s_or_b32 exec_lo, exec_lo, s20
	s_delay_alu instid0(SALU_CYCLE_1)
	s_xor_b32 s20, exec_lo, -1
.LBB112_128:                            ;   in Loop: Header=BB112_120 Depth=2
	s_or_b32 exec_lo, exec_lo, s19
	s_delay_alu instid0(SALU_CYCLE_1) | instskip(SKIP_1) | instid1(SALU_CYCLE_1)
	s_and_not1_b32 s17, s17, exec_lo
	s_and_b32 s19, s20, exec_lo
	s_or_b32 s17, s17, s19
.LBB112_129:                            ;   in Loop: Header=BB112_120 Depth=2
	s_or_b32 exec_lo, exec_lo, s18
	s_delay_alu instid0(SALU_CYCLE_1)
	s_and_b32 s17, s17, exec_lo
                                        ; implicit-def: $vgpr15
.LBB112_130:                            ;   in Loop: Header=BB112_120 Depth=2
	s_and_not1_saveexec_b32 s16, s16
	s_cbranch_execz .LBB112_119
; %bb.131:                              ;   in Loop: Header=BB112_120 Depth=2
	v_mul_lo_u32 v13, v12, 24
	s_mov_b32 s18, 0
	s_delay_alu instid0(VALU_DEP_1)
	v_add_nc_u32_e32 v15, v15, v13
	ds_load_b64 v[13:14], v15 offset:2064
.LBB112_132:                            ;   Parent Loop BB112_86 Depth=1
                                        ;     Parent Loop BB112_120 Depth=2
                                        ; =>    This Inner Loop Header: Depth=3
	s_waitcnt lgkmcnt(0)
	v_add_f64 v[16:17], v[13:14], v[10:11]
	ds_cmpstore_rtn_b64 v[16:17], v15, v[16:17], v[13:14] offset:2064
	s_waitcnt lgkmcnt(0)
	v_cmp_eq_u64_e32 vcc_lo, v[16:17], v[13:14]
	v_dual_mov_b32 v13, v16 :: v_dual_mov_b32 v14, v17
	s_or_b32 s18, vcc_lo, s18
	s_delay_alu instid0(SALU_CYCLE_1)
	s_and_not1_b32 exec_lo, exec_lo, s18
	s_cbranch_execnz .LBB112_132
; %bb.133:                              ;   in Loop: Header=BB112_120 Depth=2
	s_or_b32 exec_lo, exec_lo, s18
	s_delay_alu instid0(SALU_CYCLE_1)
	s_and_not1_b32 s17, s17, exec_lo
	s_branch .LBB112_119
.LBB112_134:                            ;   in Loop: Header=BB112_86 Depth=1
	s_or_b32 exec_lo, exec_lo, s15
	v_mul_f64 v[8:9], v[1:2], v[8:9]
	s_mov_b32 s15, 0
	s_branch .LBB112_136
.LBB112_135:                            ;   in Loop: Header=BB112_136 Depth=2
	s_or_b32 exec_lo, exec_lo, s16
	s_xor_b32 s16, s17, -1
	s_delay_alu instid0(SALU_CYCLE_1) | instskip(NEXT) | instid1(SALU_CYCLE_1)
	s_and_b32 s16, exec_lo, s16
	s_or_b32 s15, s16, s15
	s_delay_alu instid0(SALU_CYCLE_1)
	s_and_not1_b32 exec_lo, exec_lo, s15
	s_cbranch_execz .LBB112_85
.LBB112_136:                            ;   Parent Loop BB112_86 Depth=1
                                        ; =>  This Loop Header: Depth=2
                                        ;       Child Loop BB112_142 Depth 3
                                        ;       Child Loop BB112_148 Depth 3
	v_lshl_add_u32 v12, v7, 3, 0
	s_mov_b32 s16, exec_lo
                                        ; implicit-def: $sgpr17
	ds_load_b64 v[10:11], v12
	s_waitcnt lgkmcnt(0)
	v_cmpx_ne_u64_e64 v[10:11], v[5:6]
	s_xor_b32 s16, exec_lo, s16
	s_cbranch_execz .LBB112_146
; %bb.137:                              ;   in Loop: Header=BB112_136 Depth=2
	s_mov_b32 s18, exec_lo
                                        ; implicit-def: $sgpr17
	v_cmpx_ne_u64_e64 s[28:29], v[10:11]
	s_xor_b32 s18, exec_lo, s18
; %bb.138:                              ;   in Loop: Header=BB112_136 Depth=2
	v_add_nc_u32_e32 v7, 1, v7
	s_mov_b32 s17, -1
                                        ; implicit-def: $vgpr12
	s_delay_alu instid0(VALU_DEP_1)
	v_and_b32_e32 v7, 0xff, v7
; %bb.139:                              ;   in Loop: Header=BB112_136 Depth=2
	s_and_not1_saveexec_b32 s18, s18
	s_cbranch_execz .LBB112_145
; %bb.140:                              ;   in Loop: Header=BB112_136 Depth=2
	v_dual_mov_b32 v10, s28 :: v_dual_mov_b32 v11, s29
	s_mov_b32 s20, -1
	s_mov_b32 s19, exec_lo
	ds_cmpstore_rtn_b64 v[10:11], v12, v[5:6], v[10:11]
	s_waitcnt lgkmcnt(0)
	v_cmpx_eq_u64_e64 s[28:29], v[10:11]
	s_cbranch_execz .LBB112_144
; %bb.141:                              ;   in Loop: Header=BB112_136 Depth=2
	v_mul_lo_u32 v10, v7, 24
	s_mov_b32 s20, 0
	s_delay_alu instid0(VALU_DEP_1)
	v_add_nc_u32_e32 v12, v12, v10
	ds_load_b64 v[10:11], v12 offset:2072
.LBB112_142:                            ;   Parent Loop BB112_86 Depth=1
                                        ;     Parent Loop BB112_136 Depth=2
                                        ; =>    This Inner Loop Header: Depth=3
	s_waitcnt lgkmcnt(0)
	v_add_f64 v[13:14], v[10:11], v[8:9]
	ds_cmpstore_rtn_b64 v[13:14], v12, v[13:14], v[10:11] offset:2072
	s_waitcnt lgkmcnt(0)
	v_cmp_eq_u64_e32 vcc_lo, v[13:14], v[10:11]
	v_dual_mov_b32 v10, v13 :: v_dual_mov_b32 v11, v14
	s_or_b32 s20, vcc_lo, s20
	s_delay_alu instid0(SALU_CYCLE_1)
	s_and_not1_b32 exec_lo, exec_lo, s20
	s_cbranch_execnz .LBB112_142
; %bb.143:                              ;   in Loop: Header=BB112_136 Depth=2
	s_or_b32 exec_lo, exec_lo, s20
	s_delay_alu instid0(SALU_CYCLE_1)
	s_xor_b32 s20, exec_lo, -1
.LBB112_144:                            ;   in Loop: Header=BB112_136 Depth=2
	s_or_b32 exec_lo, exec_lo, s19
	s_delay_alu instid0(SALU_CYCLE_1) | instskip(SKIP_1) | instid1(SALU_CYCLE_1)
	s_and_not1_b32 s17, s17, exec_lo
	s_and_b32 s19, s20, exec_lo
	s_or_b32 s17, s17, s19
.LBB112_145:                            ;   in Loop: Header=BB112_136 Depth=2
	s_or_b32 exec_lo, exec_lo, s18
	s_delay_alu instid0(SALU_CYCLE_1)
	s_and_b32 s17, s17, exec_lo
                                        ; implicit-def: $vgpr12
.LBB112_146:                            ;   in Loop: Header=BB112_136 Depth=2
	s_and_not1_saveexec_b32 s16, s16
	s_cbranch_execz .LBB112_135
; %bb.147:                              ;   in Loop: Header=BB112_136 Depth=2
	v_mul_lo_u32 v10, v7, 24
	s_mov_b32 s18, 0
	s_delay_alu instid0(VALU_DEP_1)
	v_add_nc_u32_e32 v12, v12, v10
	ds_load_b64 v[10:11], v12 offset:2072
.LBB112_148:                            ;   Parent Loop BB112_86 Depth=1
                                        ;     Parent Loop BB112_136 Depth=2
                                        ; =>    This Inner Loop Header: Depth=3
	s_waitcnt lgkmcnt(0)
	v_add_f64 v[13:14], v[10:11], v[8:9]
	ds_cmpstore_rtn_b64 v[13:14], v12, v[13:14], v[10:11] offset:2072
	s_waitcnt lgkmcnt(0)
	v_cmp_eq_u64_e32 vcc_lo, v[13:14], v[10:11]
	v_dual_mov_b32 v10, v13 :: v_dual_mov_b32 v11, v14
	s_or_b32 s18, vcc_lo, s18
	s_delay_alu instid0(SALU_CYCLE_1)
	s_and_not1_b32 exec_lo, exec_lo, s18
	s_cbranch_execnz .LBB112_148
; %bb.149:                              ;   in Loop: Header=BB112_136 Depth=2
	s_or_b32 exec_lo, exec_lo, s18
	s_delay_alu instid0(SALU_CYCLE_1)
	s_and_not1_b32 s17, s17, exec_lo
	s_branch .LBB112_135
.LBB112_150:
	s_or_b32 exec_lo, exec_lo, s5
.LBB112_151:
	s_barrier
	buffer_gl0_inv
	s_and_saveexec_b32 s0, s2
	s_cbranch_execz .LBB112_156
; %bb.152:
	ds_load_b64 v[1:2], v35
	s_mov_b32 s1, 0
	s_waitcnt lgkmcnt(0)
	v_cmp_gt_i64_e32 vcc_lo, s[28:29], v[1:2]
	s_and_b32 exec_lo, exec_lo, vcc_lo
	s_cbranch_execz .LBB112_156
; %bb.153:
	s_lshl_b64 s[4:5], s[34:35], 3
	s_delay_alu instid0(SALU_CYCLE_1)
	s_add_u32 s4, s10, s4
	s_addc_u32 s5, s11, s5
	s_load_b64 s[4:5], s[4:5], 0x0
	s_waitcnt lgkmcnt(0)
	s_sub_u32 s4, s4, s22
	s_subb_u32 s5, s5, 0
	s_delay_alu instid0(SALU_CYCLE_1)
	v_dual_mov_b32 v3, s4 :: v_dual_mov_b32 v4, s5
.LBB112_154:                            ; =>This Inner Loop Header: Depth=1
	s_add_i32 s0, s1, 0
	s_addk_i32 s1, 0x80
	v_mov_b32_e32 v33, s0
	s_cmpk_lg_i32 s1, 0x800
	ds_load_2addr_b64 v[5:8], v33 offset1:1
	ds_load_2addr_b64 v[9:12], v33 offset0:2 offset1:3
	ds_load_2addr_b64 v[13:16], v33 offset0:4 offset1:5
	;; [unrolled: 1-line block ×7, first 2 shown]
	s_waitcnt lgkmcnt(7)
	v_cmp_gt_i64_e32 vcc_lo, v[1:2], v[5:6]
	v_cndmask_b32_e64 v5, 0, 1, vcc_lo
	v_cmp_gt_i64_e32 vcc_lo, v[1:2], v[7:8]
	v_cndmask_b32_e64 v6, 0, 1, vcc_lo
	s_waitcnt lgkmcnt(6)
	v_cmp_gt_i64_e32 vcc_lo, v[1:2], v[9:10]
	v_cndmask_b32_e64 v7, 0, 1, vcc_lo
	v_cmp_gt_i64_e32 vcc_lo, v[1:2], v[11:12]
	v_cndmask_b32_e64 v8, 0, 1, vcc_lo
	;; [unrolled: 5-line block ×4, first 2 shown]
	s_waitcnt lgkmcnt(3)
	v_cmp_gt_i64_e32 vcc_lo, v[1:2], v[21:22]
	v_cndmask_b32_e64 v13, 0, 1, vcc_lo
	v_add_co_u32 v3, vcc_lo, v3, v5
	v_add_co_ci_u32_e32 v4, vcc_lo, 0, v4, vcc_lo
	v_cmp_gt_i64_e32 vcc_lo, v[1:2], v[23:24]
	s_delay_alu instid0(VALU_DEP_3) | instskip(NEXT) | instid1(VALU_DEP_1)
	v_add_co_u32 v3, s0, v3, v6
	v_add_co_ci_u32_e64 v4, s0, 0, v4, s0
	v_cndmask_b32_e64 v5, 0, 1, vcc_lo
	s_delay_alu instid0(VALU_DEP_3) | instskip(NEXT) | instid1(VALU_DEP_3)
	v_add_co_u32 v3, vcc_lo, v3, v7
	v_add_co_ci_u32_e32 v4, vcc_lo, 0, v4, vcc_lo
	s_waitcnt lgkmcnt(2)
	v_cmp_gt_i64_e32 vcc_lo, v[1:2], v[25:26]
	s_delay_alu instid0(VALU_DEP_3) | instskip(NEXT) | instid1(VALU_DEP_1)
	v_add_co_u32 v3, s0, v3, v8
	v_add_co_ci_u32_e64 v4, s0, 0, v4, s0
	v_cndmask_b32_e64 v6, 0, 1, vcc_lo
	s_delay_alu instid0(VALU_DEP_3) | instskip(NEXT) | instid1(VALU_DEP_3)
	v_add_co_u32 v3, vcc_lo, v3, v9
	v_add_co_ci_u32_e32 v4, vcc_lo, 0, v4, vcc_lo
	v_cmp_gt_i64_e32 vcc_lo, v[1:2], v[27:28]
	s_delay_alu instid0(VALU_DEP_3) | instskip(NEXT) | instid1(VALU_DEP_1)
	v_add_co_u32 v3, s0, v3, v10
	v_add_co_ci_u32_e64 v4, s0, 0, v4, s0
	v_cndmask_b32_e64 v7, 0, 1, vcc_lo
	s_delay_alu instid0(VALU_DEP_3) | instskip(NEXT) | instid1(VALU_DEP_3)
	v_add_co_u32 v3, vcc_lo, v3, v11
	v_add_co_ci_u32_e32 v4, vcc_lo, 0, v4, vcc_lo
	s_waitcnt lgkmcnt(1)
	v_cmp_gt_i64_e32 vcc_lo, v[1:2], v[29:30]
	s_delay_alu instid0(VALU_DEP_3) | instskip(NEXT) | instid1(VALU_DEP_1)
	v_add_co_u32 v3, s0, v3, v12
	v_add_co_ci_u32_e64 v4, s0, 0, v4, s0
	v_cndmask_b32_e64 v8, 0, 1, vcc_lo
	s_delay_alu instid0(VALU_DEP_3) | instskip(NEXT) | instid1(VALU_DEP_3)
	;; [unrolled: 17-line block ×3, first 2 shown]
	v_add_co_u32 v3, vcc_lo, v3, v8
	v_add_co_ci_u32_e32 v4, vcc_lo, 0, v4, vcc_lo
	v_cmp_gt_i64_e32 vcc_lo, v[1:2], v[35:36]
	s_delay_alu instid0(VALU_DEP_3) | instskip(NEXT) | instid1(VALU_DEP_1)
	v_add_co_u32 v3, s0, v3, v5
	v_add_co_ci_u32_e64 v4, s0, 0, v4, s0
	v_cndmask_b32_e64 v5, 0, 1, vcc_lo
	s_delay_alu instid0(VALU_DEP_3) | instskip(NEXT) | instid1(VALU_DEP_3)
	v_add_co_u32 v3, vcc_lo, v3, v6
	v_add_co_ci_u32_e32 v4, vcc_lo, 0, v4, vcc_lo
	s_delay_alu instid0(VALU_DEP_2) | instskip(NEXT) | instid1(VALU_DEP_2)
	v_add_co_u32 v3, vcc_lo, v3, v5
	v_add_co_ci_u32_e32 v4, vcc_lo, 0, v4, vcc_lo
	s_cbranch_scc1 .LBB112_154
; %bb.155:
	v_lshlrev_b32_e32 v5, 2, v0
	s_cmp_eq_u32 s3, 0
	v_lshlrev_b32_e32 v0, 5, v0
	s_cselect_b32 s0, 2, 1
	s_cselect_b32 s1, 1, 2
	v_or_b32_e32 v6, s0, v5
	v_or_b32_e32 v5, s1, v5
	v_add_nc_u32_e32 v7, 0, v0
	v_add3_u32 v0, 0, 0x800, v0
	v_lshlrev_b64 v[13:14], 3, v[3:4]
	v_lshl_add_u32 v8, v6, 3, 0
	v_lshl_add_u32 v11, v5, 3, 0
	ds_load_b64 v[5:6], v7 offset:2048
	ds_load_b64 v[9:10], v8 offset:2048
	;; [unrolled: 1-line block ×4, first 2 shown]
	v_add_co_u32 v0, vcc_lo, v1, s22
	v_add_co_ci_u32_e32 v1, vcc_lo, 0, v2, vcc_lo
	v_lshlrev_b64 v[2:3], 5, v[3:4]
	v_add_co_u32 v13, vcc_lo, s24, v13
	v_add_co_ci_u32_e32 v14, vcc_lo, s25, v14, vcc_lo
	s_delay_alu instid0(VALU_DEP_3) | instskip(NEXT) | instid1(VALU_DEP_4)
	v_add_co_u32 v2, vcc_lo, s26, v2
	v_add_co_ci_u32_e32 v3, vcc_lo, s27, v3, vcc_lo
	global_store_b64 v[13:14], v[0:1], off
	s_waitcnt lgkmcnt(1)
	global_store_b128 v[2:3], v[5:8], off
	s_waitcnt lgkmcnt(0)
	global_store_b128 v[2:3], v[9:12], off offset:16
.LBB112_156:
	s_nop 0
	s_sendmsg sendmsg(MSG_DEALLOC_VGPRS)
	s_endpgm
	.section	.rodata,"a",@progbits
	.p2align	6, 0x0
	.amdhsa_kernel _ZN9rocsparseL30bsrgemm_fill_block_per_row_2x2ILj256ELj16ELj256ELj137ElldEEv20rocsparse_direction_T4_S2_PKS2_S4_NS_24const_host_device_scalarIT5_EEPKT3_S4_PKS6_SA_S4_SC_S7_SA_S4_SC_SA_PS2_PS6_21rocsparse_index_base_SF_SF_SF_bbb
		.amdhsa_group_segment_fixed_size 0
		.amdhsa_private_segment_fixed_size 0
		.amdhsa_kernarg_size 172
		.amdhsa_user_sgpr_count 15
		.amdhsa_user_sgpr_dispatch_ptr 0
		.amdhsa_user_sgpr_queue_ptr 0
		.amdhsa_user_sgpr_kernarg_segment_ptr 1
		.amdhsa_user_sgpr_dispatch_id 0
		.amdhsa_user_sgpr_private_segment_size 0
		.amdhsa_wavefront_size32 1
		.amdhsa_uses_dynamic_stack 0
		.amdhsa_enable_private_segment 0
		.amdhsa_system_sgpr_workgroup_id_x 1
		.amdhsa_system_sgpr_workgroup_id_y 0
		.amdhsa_system_sgpr_workgroup_id_z 0
		.amdhsa_system_sgpr_workgroup_info 0
		.amdhsa_system_vgpr_workitem_id 0
		.amdhsa_next_free_vgpr 41
		.amdhsa_next_free_sgpr 48
		.amdhsa_reserve_vcc 1
		.amdhsa_float_round_mode_32 0
		.amdhsa_float_round_mode_16_64 0
		.amdhsa_float_denorm_mode_32 3
		.amdhsa_float_denorm_mode_16_64 3
		.amdhsa_dx10_clamp 1
		.amdhsa_ieee_mode 1
		.amdhsa_fp16_overflow 0
		.amdhsa_workgroup_processor_mode 1
		.amdhsa_memory_ordered 1
		.amdhsa_forward_progress 0
		.amdhsa_shared_vgpr_count 0
		.amdhsa_exception_fp_ieee_invalid_op 0
		.amdhsa_exception_fp_denorm_src 0
		.amdhsa_exception_fp_ieee_div_zero 0
		.amdhsa_exception_fp_ieee_overflow 0
		.amdhsa_exception_fp_ieee_underflow 0
		.amdhsa_exception_fp_ieee_inexact 0
		.amdhsa_exception_int_div_zero 0
	.end_amdhsa_kernel
	.section	.text._ZN9rocsparseL30bsrgemm_fill_block_per_row_2x2ILj256ELj16ELj256ELj137ElldEEv20rocsparse_direction_T4_S2_PKS2_S4_NS_24const_host_device_scalarIT5_EEPKT3_S4_PKS6_SA_S4_SC_S7_SA_S4_SC_SA_PS2_PS6_21rocsparse_index_base_SF_SF_SF_bbb,"axG",@progbits,_ZN9rocsparseL30bsrgemm_fill_block_per_row_2x2ILj256ELj16ELj256ELj137ElldEEv20rocsparse_direction_T4_S2_PKS2_S4_NS_24const_host_device_scalarIT5_EEPKT3_S4_PKS6_SA_S4_SC_S7_SA_S4_SC_SA_PS2_PS6_21rocsparse_index_base_SF_SF_SF_bbb,comdat
.Lfunc_end112:
	.size	_ZN9rocsparseL30bsrgemm_fill_block_per_row_2x2ILj256ELj16ELj256ELj137ElldEEv20rocsparse_direction_T4_S2_PKS2_S4_NS_24const_host_device_scalarIT5_EEPKT3_S4_PKS6_SA_S4_SC_S7_SA_S4_SC_SA_PS2_PS6_21rocsparse_index_base_SF_SF_SF_bbb, .Lfunc_end112-_ZN9rocsparseL30bsrgemm_fill_block_per_row_2x2ILj256ELj16ELj256ELj137ElldEEv20rocsparse_direction_T4_S2_PKS2_S4_NS_24const_host_device_scalarIT5_EEPKT3_S4_PKS6_SA_S4_SC_S7_SA_S4_SC_SA_PS2_PS6_21rocsparse_index_base_SF_SF_SF_bbb
                                        ; -- End function
	.section	.AMDGPU.csdata,"",@progbits
; Kernel info:
; codeLenInByte = 5872
; NumSgprs: 50
; NumVgprs: 41
; ScratchSize: 0
; MemoryBound: 0
; FloatMode: 240
; IeeeMode: 1
; LDSByteSize: 0 bytes/workgroup (compile time only)
; SGPRBlocks: 6
; VGPRBlocks: 5
; NumSGPRsForWavesPerEU: 50
; NumVGPRsForWavesPerEU: 41
; Occupancy: 16
; WaveLimiterHint : 1
; COMPUTE_PGM_RSRC2:SCRATCH_EN: 0
; COMPUTE_PGM_RSRC2:USER_SGPR: 15
; COMPUTE_PGM_RSRC2:TRAP_HANDLER: 0
; COMPUTE_PGM_RSRC2:TGID_X_EN: 1
; COMPUTE_PGM_RSRC2:TGID_Y_EN: 0
; COMPUTE_PGM_RSRC2:TGID_Z_EN: 0
; COMPUTE_PGM_RSRC2:TIDIG_COMP_CNT: 0
	.section	.text._ZN9rocsparseL30bsrgemm_fill_block_per_row_2x2ILj256ELj16ELj512ELj137ElldEEv20rocsparse_direction_T4_S2_PKS2_S4_NS_24const_host_device_scalarIT5_EEPKT3_S4_PKS6_SA_S4_SC_S7_SA_S4_SC_SA_PS2_PS6_21rocsparse_index_base_SF_SF_SF_bbb,"axG",@progbits,_ZN9rocsparseL30bsrgemm_fill_block_per_row_2x2ILj256ELj16ELj512ELj137ElldEEv20rocsparse_direction_T4_S2_PKS2_S4_NS_24const_host_device_scalarIT5_EEPKT3_S4_PKS6_SA_S4_SC_S7_SA_S4_SC_SA_PS2_PS6_21rocsparse_index_base_SF_SF_SF_bbb,comdat
	.globl	_ZN9rocsparseL30bsrgemm_fill_block_per_row_2x2ILj256ELj16ELj512ELj137ElldEEv20rocsparse_direction_T4_S2_PKS2_S4_NS_24const_host_device_scalarIT5_EEPKT3_S4_PKS6_SA_S4_SC_S7_SA_S4_SC_SA_PS2_PS6_21rocsparse_index_base_SF_SF_SF_bbb ; -- Begin function _ZN9rocsparseL30bsrgemm_fill_block_per_row_2x2ILj256ELj16ELj512ELj137ElldEEv20rocsparse_direction_T4_S2_PKS2_S4_NS_24const_host_device_scalarIT5_EEPKT3_S4_PKS6_SA_S4_SC_S7_SA_S4_SC_SA_PS2_PS6_21rocsparse_index_base_SF_SF_SF_bbb
	.p2align	8
	.type	_ZN9rocsparseL30bsrgemm_fill_block_per_row_2x2ILj256ELj16ELj512ELj137ElldEEv20rocsparse_direction_T4_S2_PKS2_S4_NS_24const_host_device_scalarIT5_EEPKT3_S4_PKS6_SA_S4_SC_S7_SA_S4_SC_SA_PS2_PS6_21rocsparse_index_base_SF_SF_SF_bbb,@function
_ZN9rocsparseL30bsrgemm_fill_block_per_row_2x2ILj256ELj16ELj512ELj137ElldEEv20rocsparse_direction_T4_S2_PKS2_S4_NS_24const_host_device_scalarIT5_EEPKT3_S4_PKS6_SA_S4_SC_S7_SA_S4_SC_SA_PS2_PS6_21rocsparse_index_base_SF_SF_SF_bbb: ; @_ZN9rocsparseL30bsrgemm_fill_block_per_row_2x2ILj256ELj16ELj512ELj137ElldEEv20rocsparse_direction_T4_S2_PKS2_S4_NS_24const_host_device_scalarIT5_EEPKT3_S4_PKS6_SA_S4_SC_S7_SA_S4_SC_SA_PS2_PS6_21rocsparse_index_base_SF_SF_SF_bbb
; %bb.0:
	s_clause 0x2
	s_load_b32 s6, s[0:1], 0xa8
	s_load_b64 s[4:5], s[0:1], 0x28
	s_load_b64 s[2:3], s[0:1], 0x60
	s_mov_b32 s40, s15
	s_waitcnt lgkmcnt(0)
	s_and_b32 s8, 1, s6
	s_bitcmp1_b32 s6, 16
	s_cselect_b32 s7, -1, 0
	s_cmp_eq_u32 s8, 1
	s_cselect_b32 s43, -1, 0
	s_delay_alu instid0(SALU_CYCLE_1)
	s_and_b32 s8, s43, exec_lo
	s_cselect_b32 s9, s5, 0
	s_cselect_b32 s8, s4, 0
	s_xor_b32 s10, s43, -1
	v_dual_mov_b32 v3, s8 :: v_dual_mov_b32 v4, s9
	s_or_b32 s10, s10, s7
	s_delay_alu instid0(SALU_CYCLE_1)
	s_and_b32 vcc_lo, exec_lo, s10
	s_cbranch_vccnz .LBB113_2
; %bb.1:
	v_dual_mov_b32 v1, s4 :: v_dual_mov_b32 v2, s5
	flat_load_b64 v[3:4], v[1:2]
.LBB113_2:
	s_bitcmp1_b32 s6, 8
	s_cselect_b32 s42, -1, 0
	s_delay_alu instid0(SALU_CYCLE_1)
	s_and_b32 s4, s42, exec_lo
	s_cselect_b32 s5, s3, 0
	s_cselect_b32 s4, s2, 0
	s_xor_b32 s6, s42, -1
	v_dual_mov_b32 v1, s4 :: v_dual_mov_b32 v2, s5
	s_or_b32 s6, s6, s7
	s_delay_alu instid0(SALU_CYCLE_1)
	s_and_b32 vcc_lo, exec_lo, s6
	s_cbranch_vccnz .LBB113_4
; %bb.3:
	v_dual_mov_b32 v1, s2 :: v_dual_mov_b32 v2, s3
	flat_load_b64 v[1:2], v[1:2]
.LBB113_4:
	s_clause 0x1
	s_load_b128 s[20:23], s[0:1], 0x98
	s_load_b64 s[34:35], s[0:1], 0x10
	v_cmp_gt_u32_e64 s2, 0x200, v0
	v_lshlrev_b32_e32 v8, 3, v0
	v_or_b32_e32 v7, 0xffffff00, v0
	s_mov_b32 s3, exec_lo
	v_cmpx_lt_u32_e32 0x1ff, v0
	s_xor_b32 s3, exec_lo, s3
; %bb.5:
	v_lshlrev_b32_e32 v8, 3, v0
	v_or_b32_e32 v7, 0xffffff00, v0
; %bb.6:
	s_or_saveexec_b32 s3, s3
	s_clause 0x4
	s_load_b128 s[24:27], s[0:1], 0x88
	s_load_b256 s[4:11], s[0:1], 0x68
	s_load_b128 s[28:31], s[0:1], 0x50
	s_load_b128 s[36:39], s[0:1], 0x18
	s_load_b256 s[12:19], s[0:1], 0x30
	s_xor_b32 exec_lo, exec_lo, s3
	s_cbranch_execz .LBB113_10
; %bb.7:
	s_waitcnt lgkmcnt(0)
	v_dual_mov_b32 v5, s34 :: v_dual_mov_b32 v10, v7
	v_dual_mov_b32 v6, s35 :: v_dual_add_nc_u32 v9, 0, v8
	s_mov_b32 s33, 0
.LBB113_8:                              ; =>This Inner Loop Header: Depth=1
	s_delay_alu instid0(VALU_DEP_2) | instskip(NEXT) | instid1(VALU_DEP_1)
	v_add_co_u32 v10, s41, 0x100, v10
	s_xor_b32 s41, s41, -1
	ds_store_b64 v9, v[5:6]
	v_add_nc_u32_e32 v9, 0x800, v9
	s_and_b32 s41, exec_lo, s41
	s_delay_alu instid0(SALU_CYCLE_1) | instskip(NEXT) | instid1(SALU_CYCLE_1)
	s_or_b32 s33, s41, s33
	s_and_not1_b32 exec_lo, exec_lo, s33
	s_cbranch_execnz .LBB113_8
; %bb.9:
	s_or_b32 exec_lo, exec_lo, s33
.LBB113_10:
	s_delay_alu instid0(SALU_CYCLE_1) | instskip(SKIP_3) | instid1(VALU_DEP_2)
	s_or_b32 exec_lo, exec_lo, s3
	v_mov_b32_e32 v5, 0
	v_add3_u32 v8, v8, 0, 0x1000
	s_mov_b32 s3, 0
	v_mov_b32_e32 v6, v5
.LBB113_11:                             ; =>This Inner Loop Header: Depth=1
	v_add_nc_u32_e32 v7, 0x100, v7
	ds_store_b64 v8, v[5:6]
	v_add_nc_u32_e32 v8, 0x800, v8
	v_cmp_lt_u32_e32 vcc_lo, 0x6ff, v7
	s_or_b32 s3, vcc_lo, s3
	s_delay_alu instid0(SALU_CYCLE_1)
	s_and_not1_b32 exec_lo, exec_lo, s3
	s_cbranch_execnz .LBB113_11
; %bb.12:
	s_or_b32 exec_lo, exec_lo, s3
	s_waitcnt lgkmcnt(0)
	s_cmp_lg_u64 s[38:39], 0
	s_mov_b32 s41, 0
	s_waitcnt vmcnt(0)
	s_barrier
	buffer_gl0_inv
	s_cbranch_scc0 .LBB113_14
; %bb.13:
	s_load_b64 s[36:37], s[36:37], 0x0
	s_waitcnt lgkmcnt(0)
	s_lshl_b64 s[36:37], s[36:37], 3
	s_delay_alu instid0(SALU_CYCLE_1) | instskip(SKIP_2) | instid1(SALU_CYCLE_1)
	s_add_u32 s3, s38, s36
	s_addc_u32 s33, s39, s37
	s_lshl_b64 s[36:37], s[40:41], 3
	s_add_u32 s36, s3, s36
	s_addc_u32 s37, s33, s37
	s_load_b64 s[40:41], s[36:37], 0x0
.LBB113_14:
	s_load_b32 s33, s[0:1], 0x0
	s_and_not1_b32 vcc_lo, exec_lo, s43
	s_cbranch_vccnz .LBB113_86
; %bb.15:
	s_waitcnt lgkmcnt(0)
	s_lshl_b64 s[0:1], s[40:41], 3
	v_lshrrev_b32_e32 v5, 4, v0
	s_add_u32 s0, s12, s0
	s_addc_u32 s1, s13, s1
	s_mov_b32 s12, 0
	s_load_b128 s[36:39], s[0:1], 0x0
	v_sub_co_u32 v5, s0, v5, s20
	s_delay_alu instid0(VALU_DEP_1) | instskip(SKIP_2) | instid1(VALU_DEP_2)
	v_sub_co_ci_u32_e64 v6, null, 0, 0, s0
	s_mov_b32 s3, exec_lo
	s_waitcnt lgkmcnt(0)
	v_add_co_u32 v5, vcc_lo, s36, v5
	s_delay_alu instid0(VALU_DEP_2)
	v_add_co_ci_u32_e32 v6, vcc_lo, s37, v6, vcc_lo
	s_sub_u32 s0, s38, s20
	s_subb_u32 s1, s39, 0
	s_delay_alu instid0(VALU_DEP_1) | instid1(SALU_CYCLE_1)
	v_cmpx_gt_i64_e64 s[0:1], v[5:6]
	s_cbranch_execz .LBB113_85
; %bb.16:
	v_and_b32_e32 v7, 15, v0
	s_cmp_eq_u32 s33, 0
	s_cselect_b32 s36, 2, 1
	s_delay_alu instid0(VALU_DEP_1) | instskip(NEXT) | instid1(VALU_DEP_1)
	v_sub_co_u32 v35, s13, v7, s21
	v_sub_co_ci_u32_e64 v36, null, 0, 0, s13
	s_mov_b32 s13, s21
	s_cselect_b32 s21, 1, 2
	s_branch .LBB113_18
.LBB113_17:                             ;   in Loop: Header=BB113_18 Depth=1
	s_or_b32 exec_lo, exec_lo, s37
	v_add_co_u32 v5, vcc_lo, v5, 16
	v_add_co_ci_u32_e32 v6, vcc_lo, 0, v6, vcc_lo
	s_delay_alu instid0(VALU_DEP_1) | instskip(SKIP_1) | instid1(SALU_CYCLE_1)
	v_cmp_le_i64_e32 vcc_lo, s[0:1], v[5:6]
	s_or_b32 s12, vcc_lo, s12
	s_and_not1_b32 exec_lo, exec_lo, s12
	s_cbranch_execz .LBB113_85
.LBB113_18:                             ; =>This Loop Header: Depth=1
                                        ;     Child Loop BB113_21 Depth 2
                                        ;       Child Loop BB113_23 Depth 3
                                        ;         Child Loop BB113_29 Depth 4
                                        ;         Child Loop BB113_35 Depth 4
                                        ;       Child Loop BB113_39 Depth 3
                                        ;         Child Loop BB113_45 Depth 4
                                        ;         Child Loop BB113_51 Depth 4
	;; [unrolled: 3-line block ×4, first 2 shown]
	v_lshlrev_b64 v[7:8], 3, v[5:6]
	s_mov_b32 s37, exec_lo
	s_delay_alu instid0(VALU_DEP_1) | instskip(NEXT) | instid1(VALU_DEP_2)
	v_add_co_u32 v7, vcc_lo, s14, v7
	v_add_co_ci_u32_e32 v8, vcc_lo, s15, v8, vcc_lo
	global_load_b64 v[7:8], v[7:8], off
	s_waitcnt vmcnt(0)
	v_sub_co_u32 v7, vcc_lo, v7, s20
	v_subrev_co_ci_u32_e32 v8, vcc_lo, 0, v8, vcc_lo
	s_delay_alu instid0(VALU_DEP_1) | instskip(NEXT) | instid1(VALU_DEP_1)
	v_lshlrev_b64 v[7:8], 3, v[7:8]
	v_add_co_u32 v7, vcc_lo, s18, v7
	s_delay_alu instid0(VALU_DEP_2)
	v_add_co_ci_u32_e32 v8, vcc_lo, s19, v8, vcc_lo
	global_load_b128 v[9:12], v[7:8], off
	s_waitcnt vmcnt(0)
	v_sub_co_u32 v7, vcc_lo, v11, s13
	v_subrev_co_ci_u32_e32 v8, vcc_lo, 0, v12, vcc_lo
	v_add_co_u32 v9, vcc_lo, v9, v35
	v_add_co_ci_u32_e32 v10, vcc_lo, v10, v36, vcc_lo
	s_delay_alu instid0(VALU_DEP_1)
	v_cmpx_lt_i64_e64 v[9:10], v[7:8]
	s_cbranch_execz .LBB113_17
; %bb.19:                               ;   in Loop: Header=BB113_18 Depth=1
	v_lshlrev_b64 v[11:12], 2, v[5:6]
	v_lshlrev_b64 v[15:16], 5, v[5:6]
	s_mov_b32 s38, 0
	s_delay_alu instid0(VALU_DEP_2) | instskip(NEXT) | instid1(VALU_DEP_3)
	v_or_b32_e32 v14, 0, v12
	v_or_b32_e32 v13, s36, v11
	;; [unrolled: 1-line block ×4, first 2 shown]
	v_add_co_u32 v15, vcc_lo, s16, v15
	s_delay_alu instid0(VALU_DEP_4) | instskip(SKIP_1) | instid1(VALU_DEP_4)
	v_lshlrev_b64 v[13:14], 3, v[13:14]
	v_add_co_ci_u32_e32 v16, vcc_lo, s17, v16, vcc_lo
	v_lshlrev_b64 v[11:12], 3, v[11:12]
	s_delay_alu instid0(VALU_DEP_3) | instskip(NEXT) | instid1(VALU_DEP_4)
	v_add_co_u32 v13, vcc_lo, s16, v13
	v_add_co_ci_u32_e32 v14, vcc_lo, s17, v14, vcc_lo
	s_delay_alu instid0(VALU_DEP_3) | instskip(NEXT) | instid1(VALU_DEP_4)
	v_add_co_u32 v11, vcc_lo, s16, v11
	v_add_co_ci_u32_e32 v12, vcc_lo, s17, v12, vcc_lo
	s_clause 0x3
	global_load_b64 v[17:18], v[15:16], off offset:24
	global_load_b64 v[13:14], v[13:14], off
	global_load_b64 v[19:20], v[11:12], off
	;; [unrolled: 1-line block ×3, first 2 shown]
	s_waitcnt vmcnt(3)
	v_mul_f64 v[11:12], v[3:4], v[17:18]
	s_waitcnt vmcnt(2)
	v_mul_f64 v[13:14], v[3:4], v[13:14]
	;; [unrolled: 2-line block ×4, first 2 shown]
	s_branch .LBB113_21
.LBB113_20:                             ;   in Loop: Header=BB113_21 Depth=2
	s_or_b32 exec_lo, exec_lo, s39
	v_add_co_u32 v9, vcc_lo, v9, 16
	v_add_co_ci_u32_e32 v10, vcc_lo, 0, v10, vcc_lo
	s_delay_alu instid0(VALU_DEP_1) | instskip(SKIP_1) | instid1(SALU_CYCLE_1)
	v_cmp_ge_i64_e32 vcc_lo, v[9:10], v[7:8]
	s_or_b32 s38, vcc_lo, s38
	s_and_not1_b32 exec_lo, exec_lo, s38
	s_cbranch_execz .LBB113_17
.LBB113_21:                             ;   Parent Loop BB113_18 Depth=1
                                        ; =>  This Loop Header: Depth=2
                                        ;       Child Loop BB113_23 Depth 3
                                        ;         Child Loop BB113_29 Depth 4
                                        ;         Child Loop BB113_35 Depth 4
                                        ;       Child Loop BB113_39 Depth 3
                                        ;         Child Loop BB113_45 Depth 4
                                        ;         Child Loop BB113_51 Depth 4
	;; [unrolled: 3-line block ×4, first 2 shown]
	v_lshlrev_b64 v[19:20], 2, v[9:10]
	s_mov_b32 s39, 0
	s_delay_alu instid0(VALU_DEP_1) | instskip(NEXT) | instid1(VALU_DEP_2)
	v_or_b32_e32 v22, 0, v20
	v_or_b32_e32 v21, s36, v19
	;; [unrolled: 1-line block ×4, first 2 shown]
	s_delay_alu instid0(VALU_DEP_3) | instskip(NEXT) | instid1(VALU_DEP_2)
	v_lshlrev_b64 v[21:22], 3, v[21:22]
	v_lshlrev_b64 v[19:20], 3, v[19:20]
	s_delay_alu instid0(VALU_DEP_2) | instskip(NEXT) | instid1(VALU_DEP_3)
	v_add_co_u32 v21, vcc_lo, s30, v21
	v_add_co_ci_u32_e32 v22, vcc_lo, s31, v22, vcc_lo
	global_load_b64 v[26:27], v[21:22], off
	v_lshlrev_b64 v[21:22], 5, v[9:10]
	s_delay_alu instid0(VALU_DEP_1) | instskip(NEXT) | instid1(VALU_DEP_2)
	v_add_co_u32 v24, vcc_lo, s30, v21
	v_add_co_ci_u32_e32 v25, vcc_lo, s31, v22, vcc_lo
	v_lshlrev_b64 v[21:22], 3, v[9:10]
	global_load_b64 v[28:29], v[24:25], off
	v_add_co_u32 v21, vcc_lo, s28, v21
	v_add_co_ci_u32_e32 v22, vcc_lo, s29, v22, vcc_lo
	v_add_co_u32 v19, vcc_lo, s30, v19
	v_add_co_ci_u32_e32 v20, vcc_lo, s31, v20, vcc_lo
	global_load_b64 v[32:33], v[21:22], off
	s_clause 0x1
	global_load_b64 v[22:23], v[19:20], off
	global_load_b64 v[24:25], v[24:25], off offset:24
	s_waitcnt vmcnt(4)
	v_mul_f64 v[19:20], v[15:16], v[26:27]
	s_waitcnt vmcnt(3)
	s_delay_alu instid0(VALU_DEP_1) | instskip(SKIP_3) | instid1(VALU_DEP_2)
	v_fma_f64 v[30:31], v[17:18], v[28:29], v[19:20]
	s_waitcnt vmcnt(2)
	v_sub_co_u32 v19, vcc_lo, v32, s13
	v_subrev_co_ci_u32_e32 v20, vcc_lo, 0, v33, vcc_lo
	v_mul_lo_u32 v21, 0x89, v19
	s_delay_alu instid0(VALU_DEP_1) | instskip(SKIP_1) | instid1(VALU_DEP_1)
	v_and_b32_e32 v21, 0x1ff, v21
	s_waitcnt vmcnt(1)
	v_dual_mov_b32 v33, v22 :: v_dual_mov_b32 v32, v21
	s_branch .LBB113_23
.LBB113_22:                             ;   in Loop: Header=BB113_23 Depth=3
	s_or_b32 exec_lo, exec_lo, s43
	s_xor_b32 s43, s44, -1
	s_delay_alu instid0(SALU_CYCLE_1) | instskip(NEXT) | instid1(SALU_CYCLE_1)
	s_and_b32 s43, exec_lo, s43
	s_or_b32 s39, s43, s39
	s_delay_alu instid0(SALU_CYCLE_1)
	s_and_not1_b32 exec_lo, exec_lo, s39
	s_cbranch_execz .LBB113_37
.LBB113_23:                             ;   Parent Loop BB113_18 Depth=1
                                        ;     Parent Loop BB113_21 Depth=2
                                        ; =>    This Loop Header: Depth=3
                                        ;         Child Loop BB113_29 Depth 4
                                        ;         Child Loop BB113_35 Depth 4
	s_delay_alu instid0(VALU_DEP_1)
	v_lshl_add_u32 v37, v32, 3, 0
	s_mov_b32 s43, exec_lo
                                        ; implicit-def: $sgpr44
	ds_load_b64 v[33:34], v37
	s_waitcnt lgkmcnt(0)
	v_cmpx_ne_u64_e64 v[33:34], v[19:20]
	s_xor_b32 s43, exec_lo, s43
	s_cbranch_execz .LBB113_33
; %bb.24:                               ;   in Loop: Header=BB113_23 Depth=3
	s_mov_b32 s45, exec_lo
                                        ; implicit-def: $sgpr44
	v_cmpx_ne_u64_e64 s[34:35], v[33:34]
	s_xor_b32 s45, exec_lo, s45
; %bb.25:                               ;   in Loop: Header=BB113_23 Depth=3
	v_add_nc_u32_e32 v32, 1, v32
	s_mov_b32 s44, -1
                                        ; implicit-def: $vgpr37
	s_delay_alu instid0(VALU_DEP_1)
	v_and_b32_e32 v32, 0x1ff, v32
; %bb.26:                               ;   in Loop: Header=BB113_23 Depth=3
	s_and_not1_saveexec_b32 s45, s45
	s_cbranch_execz .LBB113_32
; %bb.27:                               ;   in Loop: Header=BB113_23 Depth=3
	v_dual_mov_b32 v33, s34 :: v_dual_mov_b32 v34, s35
	s_mov_b32 s47, -1
	s_mov_b32 s46, exec_lo
	ds_cmpstore_rtn_b64 v[33:34], v37, v[19:20], v[33:34]
	s_waitcnt lgkmcnt(0)
	v_cmpx_eq_u64_e64 s[34:35], v[33:34]
	s_cbranch_execz .LBB113_31
; %bb.28:                               ;   in Loop: Header=BB113_23 Depth=3
	v_mul_lo_u32 v33, v32, 24
	s_mov_b32 s47, 0
	s_delay_alu instid0(VALU_DEP_1)
	v_add_nc_u32_e32 v37, v37, v33
	ds_load_b64 v[33:34], v37 offset:4096
.LBB113_29:                             ;   Parent Loop BB113_18 Depth=1
                                        ;     Parent Loop BB113_21 Depth=2
                                        ;       Parent Loop BB113_23 Depth=3
                                        ; =>      This Inner Loop Header: Depth=4
	s_waitcnt lgkmcnt(0)
	v_add_f64 v[38:39], v[33:34], v[30:31]
	ds_cmpstore_rtn_b64 v[38:39], v37, v[38:39], v[33:34] offset:4096
	s_waitcnt lgkmcnt(0)
	v_cmp_eq_u64_e32 vcc_lo, v[38:39], v[33:34]
	v_dual_mov_b32 v33, v38 :: v_dual_mov_b32 v34, v39
	s_or_b32 s47, vcc_lo, s47
	s_delay_alu instid0(SALU_CYCLE_1)
	s_and_not1_b32 exec_lo, exec_lo, s47
	s_cbranch_execnz .LBB113_29
; %bb.30:                               ;   in Loop: Header=BB113_23 Depth=3
	s_or_b32 exec_lo, exec_lo, s47
	s_delay_alu instid0(SALU_CYCLE_1)
	s_xor_b32 s47, exec_lo, -1
.LBB113_31:                             ;   in Loop: Header=BB113_23 Depth=3
	s_or_b32 exec_lo, exec_lo, s46
	s_delay_alu instid0(SALU_CYCLE_1) | instskip(SKIP_1) | instid1(SALU_CYCLE_1)
	s_and_not1_b32 s44, s44, exec_lo
	s_and_b32 s46, s47, exec_lo
	s_or_b32 s44, s44, s46
.LBB113_32:                             ;   in Loop: Header=BB113_23 Depth=3
	s_or_b32 exec_lo, exec_lo, s45
	s_delay_alu instid0(SALU_CYCLE_1)
	s_and_b32 s44, s44, exec_lo
                                        ; implicit-def: $vgpr37
.LBB113_33:                             ;   in Loop: Header=BB113_23 Depth=3
	s_and_not1_saveexec_b32 s43, s43
	s_cbranch_execz .LBB113_22
; %bb.34:                               ;   in Loop: Header=BB113_23 Depth=3
	v_mul_lo_u32 v33, v32, 24
	s_mov_b32 s45, 0
	s_delay_alu instid0(VALU_DEP_1)
	v_add_nc_u32_e32 v37, v37, v33
	ds_load_b64 v[33:34], v37 offset:4096
.LBB113_35:                             ;   Parent Loop BB113_18 Depth=1
                                        ;     Parent Loop BB113_21 Depth=2
                                        ;       Parent Loop BB113_23 Depth=3
                                        ; =>      This Inner Loop Header: Depth=4
	s_waitcnt lgkmcnt(0)
	v_add_f64 v[38:39], v[33:34], v[30:31]
	ds_cmpstore_rtn_b64 v[38:39], v37, v[38:39], v[33:34] offset:4096
	s_waitcnt lgkmcnt(0)
	v_cmp_eq_u64_e32 vcc_lo, v[38:39], v[33:34]
	v_dual_mov_b32 v33, v38 :: v_dual_mov_b32 v34, v39
	s_or_b32 s45, vcc_lo, s45
	s_delay_alu instid0(SALU_CYCLE_1)
	s_and_not1_b32 exec_lo, exec_lo, s45
	s_cbranch_execnz .LBB113_35
; %bb.36:                               ;   in Loop: Header=BB113_23 Depth=3
	s_or_b32 exec_lo, exec_lo, s45
	s_delay_alu instid0(SALU_CYCLE_1)
	s_and_not1_b32 s44, s44, exec_lo
	s_branch .LBB113_22
.LBB113_37:                             ;   in Loop: Header=BB113_21 Depth=2
	s_or_b32 exec_lo, exec_lo, s39
	s_waitcnt vmcnt(0)
	v_mul_f64 v[30:31], v[15:16], v[24:25]
	v_dual_mov_b32 v33, v22 :: v_dual_mov_b32 v32, v21
	s_mov_b32 s39, 0
	s_delay_alu instid0(VALU_DEP_2)
	v_fma_f64 v[30:31], v[17:18], v[22:23], v[30:31]
	s_branch .LBB113_39
.LBB113_38:                             ;   in Loop: Header=BB113_39 Depth=3
	s_or_b32 exec_lo, exec_lo, s43
	s_xor_b32 s43, s44, -1
	s_delay_alu instid0(SALU_CYCLE_1) | instskip(NEXT) | instid1(SALU_CYCLE_1)
	s_and_b32 s43, exec_lo, s43
	s_or_b32 s39, s43, s39
	s_delay_alu instid0(SALU_CYCLE_1)
	s_and_not1_b32 exec_lo, exec_lo, s39
	s_cbranch_execz .LBB113_53
.LBB113_39:                             ;   Parent Loop BB113_18 Depth=1
                                        ;     Parent Loop BB113_21 Depth=2
                                        ; =>    This Loop Header: Depth=3
                                        ;         Child Loop BB113_45 Depth 4
                                        ;         Child Loop BB113_51 Depth 4
	s_delay_alu instid0(VALU_DEP_2)
	v_lshl_add_u32 v37, v32, 3, 0
	s_mov_b32 s43, exec_lo
                                        ; implicit-def: $sgpr44
	ds_load_b64 v[33:34], v37
	s_waitcnt lgkmcnt(0)
	v_cmpx_ne_u64_e64 v[33:34], v[19:20]
	s_xor_b32 s43, exec_lo, s43
	s_cbranch_execz .LBB113_49
; %bb.40:                               ;   in Loop: Header=BB113_39 Depth=3
	s_mov_b32 s45, exec_lo
                                        ; implicit-def: $sgpr44
	v_cmpx_ne_u64_e64 s[34:35], v[33:34]
	s_xor_b32 s45, exec_lo, s45
; %bb.41:                               ;   in Loop: Header=BB113_39 Depth=3
	v_add_nc_u32_e32 v32, 1, v32
	s_mov_b32 s44, -1
                                        ; implicit-def: $vgpr37
	s_delay_alu instid0(VALU_DEP_1)
	v_and_b32_e32 v32, 0x1ff, v32
; %bb.42:                               ;   in Loop: Header=BB113_39 Depth=3
	s_and_not1_saveexec_b32 s45, s45
	s_cbranch_execz .LBB113_48
; %bb.43:                               ;   in Loop: Header=BB113_39 Depth=3
	v_dual_mov_b32 v33, s34 :: v_dual_mov_b32 v34, s35
	s_mov_b32 s47, -1
	s_mov_b32 s46, exec_lo
	ds_cmpstore_rtn_b64 v[33:34], v37, v[19:20], v[33:34]
	s_waitcnt lgkmcnt(0)
	v_cmpx_eq_u64_e64 s[34:35], v[33:34]
	s_cbranch_execz .LBB113_47
; %bb.44:                               ;   in Loop: Header=BB113_39 Depth=3
	v_mul_lo_u32 v33, v32, 24
	s_mov_b32 s47, 0
	s_delay_alu instid0(VALU_DEP_1)
	v_add_nc_u32_e32 v37, v37, v33
	ds_load_b64 v[33:34], v37 offset:4104
.LBB113_45:                             ;   Parent Loop BB113_18 Depth=1
                                        ;     Parent Loop BB113_21 Depth=2
                                        ;       Parent Loop BB113_39 Depth=3
                                        ; =>      This Inner Loop Header: Depth=4
	s_waitcnt lgkmcnt(0)
	v_add_f64 v[38:39], v[33:34], v[30:31]
	ds_cmpstore_rtn_b64 v[38:39], v37, v[38:39], v[33:34] offset:4104
	s_waitcnt lgkmcnt(0)
	v_cmp_eq_u64_e32 vcc_lo, v[38:39], v[33:34]
	v_dual_mov_b32 v33, v38 :: v_dual_mov_b32 v34, v39
	s_or_b32 s47, vcc_lo, s47
	s_delay_alu instid0(SALU_CYCLE_1)
	s_and_not1_b32 exec_lo, exec_lo, s47
	s_cbranch_execnz .LBB113_45
; %bb.46:                               ;   in Loop: Header=BB113_39 Depth=3
	s_or_b32 exec_lo, exec_lo, s47
	s_delay_alu instid0(SALU_CYCLE_1)
	s_xor_b32 s47, exec_lo, -1
.LBB113_47:                             ;   in Loop: Header=BB113_39 Depth=3
	s_or_b32 exec_lo, exec_lo, s46
	s_delay_alu instid0(SALU_CYCLE_1) | instskip(SKIP_1) | instid1(SALU_CYCLE_1)
	s_and_not1_b32 s44, s44, exec_lo
	s_and_b32 s46, s47, exec_lo
	s_or_b32 s44, s44, s46
.LBB113_48:                             ;   in Loop: Header=BB113_39 Depth=3
	s_or_b32 exec_lo, exec_lo, s45
	s_delay_alu instid0(SALU_CYCLE_1)
	s_and_b32 s44, s44, exec_lo
                                        ; implicit-def: $vgpr37
.LBB113_49:                             ;   in Loop: Header=BB113_39 Depth=3
	s_and_not1_saveexec_b32 s43, s43
	s_cbranch_execz .LBB113_38
; %bb.50:                               ;   in Loop: Header=BB113_39 Depth=3
	v_mul_lo_u32 v33, v32, 24
	s_mov_b32 s45, 0
	s_delay_alu instid0(VALU_DEP_1)
	v_add_nc_u32_e32 v37, v37, v33
	ds_load_b64 v[33:34], v37 offset:4104
.LBB113_51:                             ;   Parent Loop BB113_18 Depth=1
                                        ;     Parent Loop BB113_21 Depth=2
                                        ;       Parent Loop BB113_39 Depth=3
                                        ; =>      This Inner Loop Header: Depth=4
	s_waitcnt lgkmcnt(0)
	v_add_f64 v[38:39], v[33:34], v[30:31]
	ds_cmpstore_rtn_b64 v[38:39], v37, v[38:39], v[33:34] offset:4104
	s_waitcnt lgkmcnt(0)
	v_cmp_eq_u64_e32 vcc_lo, v[38:39], v[33:34]
	v_dual_mov_b32 v33, v38 :: v_dual_mov_b32 v34, v39
	s_or_b32 s45, vcc_lo, s45
	s_delay_alu instid0(SALU_CYCLE_1)
	s_and_not1_b32 exec_lo, exec_lo, s45
	s_cbranch_execnz .LBB113_51
; %bb.52:                               ;   in Loop: Header=BB113_39 Depth=3
	s_or_b32 exec_lo, exec_lo, s45
	s_delay_alu instid0(SALU_CYCLE_1)
	s_and_not1_b32 s44, s44, exec_lo
	s_branch .LBB113_38
.LBB113_53:                             ;   in Loop: Header=BB113_21 Depth=2
	s_or_b32 exec_lo, exec_lo, s39
	v_mul_f64 v[26:27], v[11:12], v[26:27]
	s_mov_b32 s39, 0
	s_delay_alu instid0(VALU_DEP_1)
	v_fma_f64 v[26:27], v[13:14], v[28:29], v[26:27]
	v_dual_mov_b32 v29, v22 :: v_dual_mov_b32 v28, v21
	s_branch .LBB113_55
.LBB113_54:                             ;   in Loop: Header=BB113_55 Depth=3
	s_or_b32 exec_lo, exec_lo, s43
	s_xor_b32 s43, s44, -1
	s_delay_alu instid0(SALU_CYCLE_1) | instskip(NEXT) | instid1(SALU_CYCLE_1)
	s_and_b32 s43, exec_lo, s43
	s_or_b32 s39, s43, s39
	s_delay_alu instid0(SALU_CYCLE_1)
	s_and_not1_b32 exec_lo, exec_lo, s39
	s_cbranch_execz .LBB113_69
.LBB113_55:                             ;   Parent Loop BB113_18 Depth=1
                                        ;     Parent Loop BB113_21 Depth=2
                                        ; =>    This Loop Header: Depth=3
                                        ;         Child Loop BB113_61 Depth 4
                                        ;         Child Loop BB113_67 Depth 4
	s_delay_alu instid0(VALU_DEP_1)
	v_lshl_add_u32 v31, v28, 3, 0
	s_mov_b32 s43, exec_lo
                                        ; implicit-def: $sgpr44
	ds_load_b64 v[29:30], v31
	s_waitcnt lgkmcnt(0)
	v_cmpx_ne_u64_e64 v[29:30], v[19:20]
	s_xor_b32 s43, exec_lo, s43
	s_cbranch_execz .LBB113_65
; %bb.56:                               ;   in Loop: Header=BB113_55 Depth=3
	s_mov_b32 s45, exec_lo
                                        ; implicit-def: $sgpr44
	v_cmpx_ne_u64_e64 s[34:35], v[29:30]
	s_xor_b32 s45, exec_lo, s45
; %bb.57:                               ;   in Loop: Header=BB113_55 Depth=3
	v_add_nc_u32_e32 v28, 1, v28
	s_mov_b32 s44, -1
                                        ; implicit-def: $vgpr31
	s_delay_alu instid0(VALU_DEP_1)
	v_and_b32_e32 v28, 0x1ff, v28
; %bb.58:                               ;   in Loop: Header=BB113_55 Depth=3
	s_and_not1_saveexec_b32 s45, s45
	s_cbranch_execz .LBB113_64
; %bb.59:                               ;   in Loop: Header=BB113_55 Depth=3
	v_dual_mov_b32 v29, s34 :: v_dual_mov_b32 v30, s35
	s_mov_b32 s47, -1
	s_mov_b32 s46, exec_lo
	ds_cmpstore_rtn_b64 v[29:30], v31, v[19:20], v[29:30]
	s_waitcnt lgkmcnt(0)
	v_cmpx_eq_u64_e64 s[34:35], v[29:30]
	s_cbranch_execz .LBB113_63
; %bb.60:                               ;   in Loop: Header=BB113_55 Depth=3
	v_mul_lo_u32 v29, v28, 24
	s_mov_b32 s47, 0
	s_delay_alu instid0(VALU_DEP_1)
	v_add_nc_u32_e32 v31, v31, v29
	ds_load_b64 v[29:30], v31 offset:4112
.LBB113_61:                             ;   Parent Loop BB113_18 Depth=1
                                        ;     Parent Loop BB113_21 Depth=2
                                        ;       Parent Loop BB113_55 Depth=3
                                        ; =>      This Inner Loop Header: Depth=4
	s_waitcnt lgkmcnt(0)
	v_add_f64 v[32:33], v[29:30], v[26:27]
	ds_cmpstore_rtn_b64 v[32:33], v31, v[32:33], v[29:30] offset:4112
	s_waitcnt lgkmcnt(0)
	v_cmp_eq_u64_e32 vcc_lo, v[32:33], v[29:30]
	v_dual_mov_b32 v29, v32 :: v_dual_mov_b32 v30, v33
	s_or_b32 s47, vcc_lo, s47
	s_delay_alu instid0(SALU_CYCLE_1)
	s_and_not1_b32 exec_lo, exec_lo, s47
	s_cbranch_execnz .LBB113_61
; %bb.62:                               ;   in Loop: Header=BB113_55 Depth=3
	s_or_b32 exec_lo, exec_lo, s47
	s_delay_alu instid0(SALU_CYCLE_1)
	s_xor_b32 s47, exec_lo, -1
.LBB113_63:                             ;   in Loop: Header=BB113_55 Depth=3
	s_or_b32 exec_lo, exec_lo, s46
	s_delay_alu instid0(SALU_CYCLE_1) | instskip(SKIP_1) | instid1(SALU_CYCLE_1)
	s_and_not1_b32 s44, s44, exec_lo
	s_and_b32 s46, s47, exec_lo
	s_or_b32 s44, s44, s46
.LBB113_64:                             ;   in Loop: Header=BB113_55 Depth=3
	s_or_b32 exec_lo, exec_lo, s45
	s_delay_alu instid0(SALU_CYCLE_1)
	s_and_b32 s44, s44, exec_lo
                                        ; implicit-def: $vgpr31
.LBB113_65:                             ;   in Loop: Header=BB113_55 Depth=3
	s_and_not1_saveexec_b32 s43, s43
	s_cbranch_execz .LBB113_54
; %bb.66:                               ;   in Loop: Header=BB113_55 Depth=3
	v_mul_lo_u32 v29, v28, 24
	s_mov_b32 s45, 0
	s_delay_alu instid0(VALU_DEP_1)
	v_add_nc_u32_e32 v31, v31, v29
	ds_load_b64 v[29:30], v31 offset:4112
.LBB113_67:                             ;   Parent Loop BB113_18 Depth=1
                                        ;     Parent Loop BB113_21 Depth=2
                                        ;       Parent Loop BB113_55 Depth=3
                                        ; =>      This Inner Loop Header: Depth=4
	s_waitcnt lgkmcnt(0)
	v_add_f64 v[32:33], v[29:30], v[26:27]
	ds_cmpstore_rtn_b64 v[32:33], v31, v[32:33], v[29:30] offset:4112
	s_waitcnt lgkmcnt(0)
	v_cmp_eq_u64_e32 vcc_lo, v[32:33], v[29:30]
	v_dual_mov_b32 v29, v32 :: v_dual_mov_b32 v30, v33
	s_or_b32 s45, vcc_lo, s45
	s_delay_alu instid0(SALU_CYCLE_1)
	s_and_not1_b32 exec_lo, exec_lo, s45
	s_cbranch_execnz .LBB113_67
; %bb.68:                               ;   in Loop: Header=BB113_55 Depth=3
	s_or_b32 exec_lo, exec_lo, s45
	s_delay_alu instid0(SALU_CYCLE_1)
	s_and_not1_b32 s44, s44, exec_lo
	s_branch .LBB113_54
.LBB113_69:                             ;   in Loop: Header=BB113_21 Depth=2
	s_or_b32 exec_lo, exec_lo, s39
	v_mul_f64 v[24:25], v[11:12], v[24:25]
	s_mov_b32 s39, 0
	s_delay_alu instid0(VALU_DEP_1)
	v_fma_f64 v[22:23], v[13:14], v[22:23], v[24:25]
	s_branch .LBB113_71
.LBB113_70:                             ;   in Loop: Header=BB113_71 Depth=3
	s_or_b32 exec_lo, exec_lo, s43
	s_xor_b32 s43, s44, -1
	s_delay_alu instid0(SALU_CYCLE_1) | instskip(NEXT) | instid1(SALU_CYCLE_1)
	s_and_b32 s43, exec_lo, s43
	s_or_b32 s39, s43, s39
	s_delay_alu instid0(SALU_CYCLE_1)
	s_and_not1_b32 exec_lo, exec_lo, s39
	s_cbranch_execz .LBB113_20
.LBB113_71:                             ;   Parent Loop BB113_18 Depth=1
                                        ;     Parent Loop BB113_21 Depth=2
                                        ; =>    This Loop Header: Depth=3
                                        ;         Child Loop BB113_77 Depth 4
                                        ;         Child Loop BB113_83 Depth 4
	v_lshl_add_u32 v26, v21, 3, 0
	s_mov_b32 s43, exec_lo
                                        ; implicit-def: $sgpr44
	ds_load_b64 v[24:25], v26
	s_waitcnt lgkmcnt(0)
	v_cmpx_ne_u64_e64 v[24:25], v[19:20]
	s_xor_b32 s43, exec_lo, s43
	s_cbranch_execz .LBB113_81
; %bb.72:                               ;   in Loop: Header=BB113_71 Depth=3
	s_mov_b32 s45, exec_lo
                                        ; implicit-def: $sgpr44
	v_cmpx_ne_u64_e64 s[34:35], v[24:25]
	s_xor_b32 s45, exec_lo, s45
; %bb.73:                               ;   in Loop: Header=BB113_71 Depth=3
	v_add_nc_u32_e32 v21, 1, v21
	s_mov_b32 s44, -1
                                        ; implicit-def: $vgpr26
	s_delay_alu instid0(VALU_DEP_1)
	v_and_b32_e32 v21, 0x1ff, v21
; %bb.74:                               ;   in Loop: Header=BB113_71 Depth=3
	s_and_not1_saveexec_b32 s45, s45
	s_cbranch_execz .LBB113_80
; %bb.75:                               ;   in Loop: Header=BB113_71 Depth=3
	v_dual_mov_b32 v24, s34 :: v_dual_mov_b32 v25, s35
	s_mov_b32 s47, -1
	s_mov_b32 s46, exec_lo
	ds_cmpstore_rtn_b64 v[24:25], v26, v[19:20], v[24:25]
	s_waitcnt lgkmcnt(0)
	v_cmpx_eq_u64_e64 s[34:35], v[24:25]
	s_cbranch_execz .LBB113_79
; %bb.76:                               ;   in Loop: Header=BB113_71 Depth=3
	v_mul_lo_u32 v24, v21, 24
	s_mov_b32 s47, 0
	s_delay_alu instid0(VALU_DEP_1)
	v_add_nc_u32_e32 v26, v26, v24
	ds_load_b64 v[24:25], v26 offset:4120
.LBB113_77:                             ;   Parent Loop BB113_18 Depth=1
                                        ;     Parent Loop BB113_21 Depth=2
                                        ;       Parent Loop BB113_71 Depth=3
                                        ; =>      This Inner Loop Header: Depth=4
	s_waitcnt lgkmcnt(0)
	v_add_f64 v[27:28], v[24:25], v[22:23]
	ds_cmpstore_rtn_b64 v[27:28], v26, v[27:28], v[24:25] offset:4120
	s_waitcnt lgkmcnt(0)
	v_cmp_eq_u64_e32 vcc_lo, v[27:28], v[24:25]
	v_dual_mov_b32 v24, v27 :: v_dual_mov_b32 v25, v28
	s_or_b32 s47, vcc_lo, s47
	s_delay_alu instid0(SALU_CYCLE_1)
	s_and_not1_b32 exec_lo, exec_lo, s47
	s_cbranch_execnz .LBB113_77
; %bb.78:                               ;   in Loop: Header=BB113_71 Depth=3
	s_or_b32 exec_lo, exec_lo, s47
	s_delay_alu instid0(SALU_CYCLE_1)
	s_xor_b32 s47, exec_lo, -1
.LBB113_79:                             ;   in Loop: Header=BB113_71 Depth=3
	s_or_b32 exec_lo, exec_lo, s46
	s_delay_alu instid0(SALU_CYCLE_1) | instskip(SKIP_1) | instid1(SALU_CYCLE_1)
	s_and_not1_b32 s44, s44, exec_lo
	s_and_b32 s46, s47, exec_lo
	s_or_b32 s44, s44, s46
.LBB113_80:                             ;   in Loop: Header=BB113_71 Depth=3
	s_or_b32 exec_lo, exec_lo, s45
	s_delay_alu instid0(SALU_CYCLE_1)
	s_and_b32 s44, s44, exec_lo
                                        ; implicit-def: $vgpr26
.LBB113_81:                             ;   in Loop: Header=BB113_71 Depth=3
	s_and_not1_saveexec_b32 s43, s43
	s_cbranch_execz .LBB113_70
; %bb.82:                               ;   in Loop: Header=BB113_71 Depth=3
	v_mul_lo_u32 v24, v21, 24
	s_mov_b32 s45, 0
	s_delay_alu instid0(VALU_DEP_1)
	v_add_nc_u32_e32 v26, v26, v24
	ds_load_b64 v[24:25], v26 offset:4120
.LBB113_83:                             ;   Parent Loop BB113_18 Depth=1
                                        ;     Parent Loop BB113_21 Depth=2
                                        ;       Parent Loop BB113_71 Depth=3
                                        ; =>      This Inner Loop Header: Depth=4
	s_waitcnt lgkmcnt(0)
	v_add_f64 v[27:28], v[24:25], v[22:23]
	ds_cmpstore_rtn_b64 v[27:28], v26, v[27:28], v[24:25] offset:4120
	s_waitcnt lgkmcnt(0)
	v_cmp_eq_u64_e32 vcc_lo, v[27:28], v[24:25]
	v_dual_mov_b32 v24, v27 :: v_dual_mov_b32 v25, v28
	s_or_b32 s45, vcc_lo, s45
	s_delay_alu instid0(SALU_CYCLE_1)
	s_and_not1_b32 exec_lo, exec_lo, s45
	s_cbranch_execnz .LBB113_83
; %bb.84:                               ;   in Loop: Header=BB113_71 Depth=3
	s_or_b32 exec_lo, exec_lo, s45
	s_delay_alu instid0(SALU_CYCLE_1)
	s_and_not1_b32 s44, s44, exec_lo
	s_branch .LBB113_70
.LBB113_85:
	s_or_b32 exec_lo, exec_lo, s3
.LBB113_86:
	s_delay_alu instid0(SALU_CYCLE_1)
	s_and_not1_b32 vcc_lo, exec_lo, s42
	s_waitcnt lgkmcnt(0)
	s_barrier
	buffer_gl0_inv
	s_cbranch_vccnz .LBB113_155
; %bb.87:
	s_lshl_b64 s[0:1], s[40:41], 3
	s_mov_b32 s3, 0
	s_add_u32 s0, s4, s0
	s_addc_u32 s1, s5, s1
	s_mov_b32 s4, exec_lo
	s_load_b128 s[12:15], s[0:1], 0x0
	v_sub_co_u32 v3, s0, v0, s23
	s_delay_alu instid0(VALU_DEP_1) | instskip(SKIP_1) | instid1(VALU_DEP_2)
	v_sub_co_ci_u32_e64 v4, null, 0, 0, s0
	s_waitcnt lgkmcnt(0)
	v_add_co_u32 v3, vcc_lo, s12, v3
	s_delay_alu instid0(VALU_DEP_2)
	v_add_co_ci_u32_e32 v4, vcc_lo, s13, v4, vcc_lo
	s_sub_u32 s0, s14, s23
	s_subb_u32 s1, s15, 0
	s_delay_alu instid0(VALU_DEP_1) | instid1(SALU_CYCLE_1)
	v_cmpx_gt_i64_e64 s[0:1], v[3:4]
	s_cbranch_execz .LBB113_154
; %bb.88:
	s_cmp_eq_u32 s33, 0
	s_mov_b32 s5, s23
	s_cselect_b32 s12, 1, 2
	s_cselect_b32 s13, 2, 1
	s_branch .LBB113_90
.LBB113_89:                             ;   in Loop: Header=BB113_90 Depth=1
	s_or_b32 exec_lo, exec_lo, s14
	v_add_co_u32 v3, vcc_lo, 0x100, v3
	v_add_co_ci_u32_e32 v4, vcc_lo, 0, v4, vcc_lo
	s_delay_alu instid0(VALU_DEP_1) | instskip(SKIP_1) | instid1(SALU_CYCLE_1)
	v_cmp_le_i64_e32 vcc_lo, s[0:1], v[3:4]
	s_or_b32 s3, vcc_lo, s3
	s_and_not1_b32 exec_lo, exec_lo, s3
	s_cbranch_execz .LBB113_154
.LBB113_90:                             ; =>This Loop Header: Depth=1
                                        ;     Child Loop BB113_92 Depth 2
                                        ;       Child Loop BB113_98 Depth 3
                                        ;       Child Loop BB113_104 Depth 3
                                        ;     Child Loop BB113_108 Depth 2
                                        ;       Child Loop BB113_114 Depth 3
                                        ;       Child Loop BB113_120 Depth 3
	;; [unrolled: 3-line block ×4, first 2 shown]
	v_lshlrev_b64 v[5:6], 5, v[3:4]
	v_lshlrev_b64 v[7:8], 3, v[3:4]
	;; [unrolled: 1-line block ×3, first 2 shown]
	s_mov_b32 s14, 0
	s_delay_alu instid0(VALU_DEP_3) | instskip(NEXT) | instid1(VALU_DEP_4)
	v_add_co_u32 v5, vcc_lo, s8, v5
	v_add_co_ci_u32_e32 v6, vcc_lo, s9, v6, vcc_lo
	s_delay_alu instid0(VALU_DEP_4)
	v_add_co_u32 v7, vcc_lo, s6, v7
	v_add_co_ci_u32_e32 v8, vcc_lo, s7, v8, vcc_lo
	global_load_b64 v[14:15], v[5:6], off
	v_or_b32_e32 v12, 0, v10
	v_or_b32_e32 v11, s13, v9
	global_load_b64 v[16:17], v[7:8], off
	v_or_b32_e32 v8, 0, v10
	v_or_b32_e32 v7, s12, v9
	v_lshlrev_b64 v[9:10], 3, v[11:12]
	s_delay_alu instid0(VALU_DEP_2) | instskip(NEXT) | instid1(VALU_DEP_2)
	v_lshlrev_b64 v[7:8], 3, v[7:8]
	v_add_co_u32 v9, vcc_lo, s8, v9
	s_delay_alu instid0(VALU_DEP_3) | instskip(NEXT) | instid1(VALU_DEP_3)
	v_add_co_ci_u32_e32 v10, vcc_lo, s9, v10, vcc_lo
	v_add_co_u32 v7, vcc_lo, s8, v7
	s_delay_alu instid0(VALU_DEP_4)
	v_add_co_ci_u32_e32 v8, vcc_lo, s9, v8, vcc_lo
	s_clause 0x2
	global_load_b64 v[10:11], v[9:10], off
	global_load_b64 v[12:13], v[7:8], off
	global_load_b64 v[8:9], v[5:6], off offset:24
	s_waitcnt vmcnt(4)
	v_mul_f64 v[14:15], v[1:2], v[14:15]
	s_waitcnt vmcnt(3)
	v_sub_co_u32 v5, vcc_lo, v16, s5
	v_subrev_co_ci_u32_e32 v6, vcc_lo, 0, v17, vcc_lo
	s_delay_alu instid0(VALU_DEP_2) | instskip(NEXT) | instid1(VALU_DEP_1)
	v_mul_lo_u32 v7, 0x89, v5
	v_and_b32_e32 v7, 0x1ff, v7
	s_waitcnt vmcnt(0)
	s_delay_alu instid0(VALU_DEP_1)
	v_dual_mov_b32 v17, v8 :: v_dual_mov_b32 v16, v7
	s_branch .LBB113_92
.LBB113_91:                             ;   in Loop: Header=BB113_92 Depth=2
	s_or_b32 exec_lo, exec_lo, s15
	s_xor_b32 s15, s16, -1
	s_delay_alu instid0(SALU_CYCLE_1) | instskip(NEXT) | instid1(SALU_CYCLE_1)
	s_and_b32 s15, exec_lo, s15
	s_or_b32 s14, s15, s14
	s_delay_alu instid0(SALU_CYCLE_1)
	s_and_not1_b32 exec_lo, exec_lo, s14
	s_cbranch_execz .LBB113_106
.LBB113_92:                             ;   Parent Loop BB113_90 Depth=1
                                        ; =>  This Loop Header: Depth=2
                                        ;       Child Loop BB113_98 Depth 3
                                        ;       Child Loop BB113_104 Depth 3
	s_delay_alu instid0(VALU_DEP_1)
	v_lshl_add_u32 v19, v16, 3, 0
	s_mov_b32 s15, exec_lo
                                        ; implicit-def: $sgpr16
	ds_load_b64 v[17:18], v19
	s_waitcnt lgkmcnt(0)
	v_cmpx_ne_u64_e64 v[17:18], v[5:6]
	s_xor_b32 s15, exec_lo, s15
	s_cbranch_execz .LBB113_102
; %bb.93:                               ;   in Loop: Header=BB113_92 Depth=2
	s_mov_b32 s17, exec_lo
                                        ; implicit-def: $sgpr16
	v_cmpx_ne_u64_e64 s[34:35], v[17:18]
	s_xor_b32 s17, exec_lo, s17
; %bb.94:                               ;   in Loop: Header=BB113_92 Depth=2
	v_add_nc_u32_e32 v16, 1, v16
	s_mov_b32 s16, -1
                                        ; implicit-def: $vgpr19
	s_delay_alu instid0(VALU_DEP_1)
	v_and_b32_e32 v16, 0x1ff, v16
; %bb.95:                               ;   in Loop: Header=BB113_92 Depth=2
	s_and_not1_saveexec_b32 s17, s17
	s_cbranch_execz .LBB113_101
; %bb.96:                               ;   in Loop: Header=BB113_92 Depth=2
	v_dual_mov_b32 v17, s34 :: v_dual_mov_b32 v18, s35
	s_mov_b32 s19, -1
	s_mov_b32 s18, exec_lo
	ds_cmpstore_rtn_b64 v[17:18], v19, v[5:6], v[17:18]
	s_waitcnt lgkmcnt(0)
	v_cmpx_eq_u64_e64 s[34:35], v[17:18]
	s_cbranch_execz .LBB113_100
; %bb.97:                               ;   in Loop: Header=BB113_92 Depth=2
	v_mul_lo_u32 v17, v16, 24
	s_mov_b32 s19, 0
	s_delay_alu instid0(VALU_DEP_1)
	v_add_nc_u32_e32 v19, v19, v17
	ds_load_b64 v[17:18], v19 offset:4096
.LBB113_98:                             ;   Parent Loop BB113_90 Depth=1
                                        ;     Parent Loop BB113_92 Depth=2
                                        ; =>    This Inner Loop Header: Depth=3
	s_waitcnt lgkmcnt(0)
	v_add_f64 v[20:21], v[17:18], v[14:15]
	ds_cmpstore_rtn_b64 v[20:21], v19, v[20:21], v[17:18] offset:4096
	s_waitcnt lgkmcnt(0)
	v_cmp_eq_u64_e32 vcc_lo, v[20:21], v[17:18]
	v_dual_mov_b32 v17, v20 :: v_dual_mov_b32 v18, v21
	s_or_b32 s19, vcc_lo, s19
	s_delay_alu instid0(SALU_CYCLE_1)
	s_and_not1_b32 exec_lo, exec_lo, s19
	s_cbranch_execnz .LBB113_98
; %bb.99:                               ;   in Loop: Header=BB113_92 Depth=2
	s_or_b32 exec_lo, exec_lo, s19
	s_delay_alu instid0(SALU_CYCLE_1)
	s_xor_b32 s19, exec_lo, -1
.LBB113_100:                            ;   in Loop: Header=BB113_92 Depth=2
	s_or_b32 exec_lo, exec_lo, s18
	s_delay_alu instid0(SALU_CYCLE_1) | instskip(SKIP_1) | instid1(SALU_CYCLE_1)
	s_and_not1_b32 s16, s16, exec_lo
	s_and_b32 s18, s19, exec_lo
	s_or_b32 s16, s16, s18
.LBB113_101:                            ;   in Loop: Header=BB113_92 Depth=2
	s_or_b32 exec_lo, exec_lo, s17
	s_delay_alu instid0(SALU_CYCLE_1)
	s_and_b32 s16, s16, exec_lo
                                        ; implicit-def: $vgpr19
.LBB113_102:                            ;   in Loop: Header=BB113_92 Depth=2
	s_and_not1_saveexec_b32 s15, s15
	s_cbranch_execz .LBB113_91
; %bb.103:                              ;   in Loop: Header=BB113_92 Depth=2
	v_mul_lo_u32 v17, v16, 24
	s_mov_b32 s17, 0
	s_delay_alu instid0(VALU_DEP_1)
	v_add_nc_u32_e32 v19, v19, v17
	ds_load_b64 v[17:18], v19 offset:4096
.LBB113_104:                            ;   Parent Loop BB113_90 Depth=1
                                        ;     Parent Loop BB113_92 Depth=2
                                        ; =>    This Inner Loop Header: Depth=3
	s_waitcnt lgkmcnt(0)
	v_add_f64 v[20:21], v[17:18], v[14:15]
	ds_cmpstore_rtn_b64 v[20:21], v19, v[20:21], v[17:18] offset:4096
	s_waitcnt lgkmcnt(0)
	v_cmp_eq_u64_e32 vcc_lo, v[20:21], v[17:18]
	v_dual_mov_b32 v17, v20 :: v_dual_mov_b32 v18, v21
	s_or_b32 s17, vcc_lo, s17
	s_delay_alu instid0(SALU_CYCLE_1)
	s_and_not1_b32 exec_lo, exec_lo, s17
	s_cbranch_execnz .LBB113_104
; %bb.105:                              ;   in Loop: Header=BB113_92 Depth=2
	s_or_b32 exec_lo, exec_lo, s17
	s_delay_alu instid0(SALU_CYCLE_1)
	s_and_not1_b32 s16, s16, exec_lo
	s_branch .LBB113_91
.LBB113_106:                            ;   in Loop: Header=BB113_90 Depth=1
	s_or_b32 exec_lo, exec_lo, s14
	v_mul_f64 v[12:13], v[1:2], v[12:13]
	v_dual_mov_b32 v15, v8 :: v_dual_mov_b32 v14, v7
	s_mov_b32 s14, 0
	s_branch .LBB113_108
.LBB113_107:                            ;   in Loop: Header=BB113_108 Depth=2
	s_or_b32 exec_lo, exec_lo, s15
	s_xor_b32 s15, s16, -1
	s_delay_alu instid0(SALU_CYCLE_1) | instskip(NEXT) | instid1(SALU_CYCLE_1)
	s_and_b32 s15, exec_lo, s15
	s_or_b32 s14, s15, s14
	s_delay_alu instid0(SALU_CYCLE_1)
	s_and_not1_b32 exec_lo, exec_lo, s14
	s_cbranch_execz .LBB113_122
.LBB113_108:                            ;   Parent Loop BB113_90 Depth=1
                                        ; =>  This Loop Header: Depth=2
                                        ;       Child Loop BB113_114 Depth 3
                                        ;       Child Loop BB113_120 Depth 3
	s_delay_alu instid0(VALU_DEP_1)
	v_lshl_add_u32 v17, v14, 3, 0
	s_mov_b32 s15, exec_lo
                                        ; implicit-def: $sgpr16
	ds_load_b64 v[15:16], v17
	s_waitcnt lgkmcnt(0)
	v_cmpx_ne_u64_e64 v[15:16], v[5:6]
	s_xor_b32 s15, exec_lo, s15
	s_cbranch_execz .LBB113_118
; %bb.109:                              ;   in Loop: Header=BB113_108 Depth=2
	s_mov_b32 s17, exec_lo
                                        ; implicit-def: $sgpr16
	v_cmpx_ne_u64_e64 s[34:35], v[15:16]
	s_xor_b32 s17, exec_lo, s17
; %bb.110:                              ;   in Loop: Header=BB113_108 Depth=2
	v_add_nc_u32_e32 v14, 1, v14
	s_mov_b32 s16, -1
                                        ; implicit-def: $vgpr17
	s_delay_alu instid0(VALU_DEP_1)
	v_and_b32_e32 v14, 0x1ff, v14
; %bb.111:                              ;   in Loop: Header=BB113_108 Depth=2
	s_and_not1_saveexec_b32 s17, s17
	s_cbranch_execz .LBB113_117
; %bb.112:                              ;   in Loop: Header=BB113_108 Depth=2
	v_dual_mov_b32 v15, s34 :: v_dual_mov_b32 v16, s35
	s_mov_b32 s19, -1
	s_mov_b32 s18, exec_lo
	ds_cmpstore_rtn_b64 v[15:16], v17, v[5:6], v[15:16]
	s_waitcnt lgkmcnt(0)
	v_cmpx_eq_u64_e64 s[34:35], v[15:16]
	s_cbranch_execz .LBB113_116
; %bb.113:                              ;   in Loop: Header=BB113_108 Depth=2
	v_mul_lo_u32 v15, v14, 24
	s_mov_b32 s19, 0
	s_delay_alu instid0(VALU_DEP_1)
	v_add_nc_u32_e32 v17, v17, v15
	ds_load_b64 v[15:16], v17 offset:4104
.LBB113_114:                            ;   Parent Loop BB113_90 Depth=1
                                        ;     Parent Loop BB113_108 Depth=2
                                        ; =>    This Inner Loop Header: Depth=3
	s_waitcnt lgkmcnt(0)
	v_add_f64 v[18:19], v[15:16], v[12:13]
	ds_cmpstore_rtn_b64 v[18:19], v17, v[18:19], v[15:16] offset:4104
	s_waitcnt lgkmcnt(0)
	v_cmp_eq_u64_e32 vcc_lo, v[18:19], v[15:16]
	v_dual_mov_b32 v15, v18 :: v_dual_mov_b32 v16, v19
	s_or_b32 s19, vcc_lo, s19
	s_delay_alu instid0(SALU_CYCLE_1)
	s_and_not1_b32 exec_lo, exec_lo, s19
	s_cbranch_execnz .LBB113_114
; %bb.115:                              ;   in Loop: Header=BB113_108 Depth=2
	s_or_b32 exec_lo, exec_lo, s19
	s_delay_alu instid0(SALU_CYCLE_1)
	s_xor_b32 s19, exec_lo, -1
.LBB113_116:                            ;   in Loop: Header=BB113_108 Depth=2
	s_or_b32 exec_lo, exec_lo, s18
	s_delay_alu instid0(SALU_CYCLE_1) | instskip(SKIP_1) | instid1(SALU_CYCLE_1)
	s_and_not1_b32 s16, s16, exec_lo
	s_and_b32 s18, s19, exec_lo
	s_or_b32 s16, s16, s18
.LBB113_117:                            ;   in Loop: Header=BB113_108 Depth=2
	s_or_b32 exec_lo, exec_lo, s17
	s_delay_alu instid0(SALU_CYCLE_1)
	s_and_b32 s16, s16, exec_lo
                                        ; implicit-def: $vgpr17
.LBB113_118:                            ;   in Loop: Header=BB113_108 Depth=2
	s_and_not1_saveexec_b32 s15, s15
	s_cbranch_execz .LBB113_107
; %bb.119:                              ;   in Loop: Header=BB113_108 Depth=2
	v_mul_lo_u32 v15, v14, 24
	s_mov_b32 s17, 0
	s_delay_alu instid0(VALU_DEP_1)
	v_add_nc_u32_e32 v17, v17, v15
	ds_load_b64 v[15:16], v17 offset:4104
.LBB113_120:                            ;   Parent Loop BB113_90 Depth=1
                                        ;     Parent Loop BB113_108 Depth=2
                                        ; =>    This Inner Loop Header: Depth=3
	s_waitcnt lgkmcnt(0)
	v_add_f64 v[18:19], v[15:16], v[12:13]
	ds_cmpstore_rtn_b64 v[18:19], v17, v[18:19], v[15:16] offset:4104
	s_waitcnt lgkmcnt(0)
	v_cmp_eq_u64_e32 vcc_lo, v[18:19], v[15:16]
	v_dual_mov_b32 v15, v18 :: v_dual_mov_b32 v16, v19
	s_or_b32 s17, vcc_lo, s17
	s_delay_alu instid0(SALU_CYCLE_1)
	s_and_not1_b32 exec_lo, exec_lo, s17
	s_cbranch_execnz .LBB113_120
; %bb.121:                              ;   in Loop: Header=BB113_108 Depth=2
	s_or_b32 exec_lo, exec_lo, s17
	s_delay_alu instid0(SALU_CYCLE_1)
	s_and_not1_b32 s16, s16, exec_lo
	s_branch .LBB113_107
.LBB113_122:                            ;   in Loop: Header=BB113_90 Depth=1
	s_or_b32 exec_lo, exec_lo, s14
	v_mul_f64 v[10:11], v[1:2], v[10:11]
	v_dual_mov_b32 v13, v8 :: v_dual_mov_b32 v12, v7
	s_mov_b32 s14, 0
	s_branch .LBB113_124
.LBB113_123:                            ;   in Loop: Header=BB113_124 Depth=2
	s_or_b32 exec_lo, exec_lo, s15
	s_xor_b32 s15, s16, -1
	s_delay_alu instid0(SALU_CYCLE_1) | instskip(NEXT) | instid1(SALU_CYCLE_1)
	s_and_b32 s15, exec_lo, s15
	s_or_b32 s14, s15, s14
	s_delay_alu instid0(SALU_CYCLE_1)
	s_and_not1_b32 exec_lo, exec_lo, s14
	s_cbranch_execz .LBB113_138
.LBB113_124:                            ;   Parent Loop BB113_90 Depth=1
                                        ; =>  This Loop Header: Depth=2
                                        ;       Child Loop BB113_130 Depth 3
                                        ;       Child Loop BB113_136 Depth 3
	s_delay_alu instid0(VALU_DEP_1)
	v_lshl_add_u32 v15, v12, 3, 0
	s_mov_b32 s15, exec_lo
                                        ; implicit-def: $sgpr16
	ds_load_b64 v[13:14], v15
	s_waitcnt lgkmcnt(0)
	v_cmpx_ne_u64_e64 v[13:14], v[5:6]
	s_xor_b32 s15, exec_lo, s15
	s_cbranch_execz .LBB113_134
; %bb.125:                              ;   in Loop: Header=BB113_124 Depth=2
	s_mov_b32 s17, exec_lo
                                        ; implicit-def: $sgpr16
	v_cmpx_ne_u64_e64 s[34:35], v[13:14]
	s_xor_b32 s17, exec_lo, s17
; %bb.126:                              ;   in Loop: Header=BB113_124 Depth=2
	v_add_nc_u32_e32 v12, 1, v12
	s_mov_b32 s16, -1
                                        ; implicit-def: $vgpr15
	s_delay_alu instid0(VALU_DEP_1)
	v_and_b32_e32 v12, 0x1ff, v12
; %bb.127:                              ;   in Loop: Header=BB113_124 Depth=2
	s_and_not1_saveexec_b32 s17, s17
	s_cbranch_execz .LBB113_133
; %bb.128:                              ;   in Loop: Header=BB113_124 Depth=2
	v_dual_mov_b32 v13, s34 :: v_dual_mov_b32 v14, s35
	s_mov_b32 s19, -1
	s_mov_b32 s18, exec_lo
	ds_cmpstore_rtn_b64 v[13:14], v15, v[5:6], v[13:14]
	s_waitcnt lgkmcnt(0)
	v_cmpx_eq_u64_e64 s[34:35], v[13:14]
	s_cbranch_execz .LBB113_132
; %bb.129:                              ;   in Loop: Header=BB113_124 Depth=2
	v_mul_lo_u32 v13, v12, 24
	s_mov_b32 s19, 0
	s_delay_alu instid0(VALU_DEP_1)
	v_add_nc_u32_e32 v15, v15, v13
	ds_load_b64 v[13:14], v15 offset:4112
.LBB113_130:                            ;   Parent Loop BB113_90 Depth=1
                                        ;     Parent Loop BB113_124 Depth=2
                                        ; =>    This Inner Loop Header: Depth=3
	s_waitcnt lgkmcnt(0)
	v_add_f64 v[16:17], v[13:14], v[10:11]
	ds_cmpstore_rtn_b64 v[16:17], v15, v[16:17], v[13:14] offset:4112
	s_waitcnt lgkmcnt(0)
	v_cmp_eq_u64_e32 vcc_lo, v[16:17], v[13:14]
	v_dual_mov_b32 v13, v16 :: v_dual_mov_b32 v14, v17
	s_or_b32 s19, vcc_lo, s19
	s_delay_alu instid0(SALU_CYCLE_1)
	s_and_not1_b32 exec_lo, exec_lo, s19
	s_cbranch_execnz .LBB113_130
; %bb.131:                              ;   in Loop: Header=BB113_124 Depth=2
	s_or_b32 exec_lo, exec_lo, s19
	s_delay_alu instid0(SALU_CYCLE_1)
	s_xor_b32 s19, exec_lo, -1
.LBB113_132:                            ;   in Loop: Header=BB113_124 Depth=2
	s_or_b32 exec_lo, exec_lo, s18
	s_delay_alu instid0(SALU_CYCLE_1) | instskip(SKIP_1) | instid1(SALU_CYCLE_1)
	s_and_not1_b32 s16, s16, exec_lo
	s_and_b32 s18, s19, exec_lo
	s_or_b32 s16, s16, s18
.LBB113_133:                            ;   in Loop: Header=BB113_124 Depth=2
	s_or_b32 exec_lo, exec_lo, s17
	s_delay_alu instid0(SALU_CYCLE_1)
	s_and_b32 s16, s16, exec_lo
                                        ; implicit-def: $vgpr15
.LBB113_134:                            ;   in Loop: Header=BB113_124 Depth=2
	s_and_not1_saveexec_b32 s15, s15
	s_cbranch_execz .LBB113_123
; %bb.135:                              ;   in Loop: Header=BB113_124 Depth=2
	v_mul_lo_u32 v13, v12, 24
	s_mov_b32 s17, 0
	s_delay_alu instid0(VALU_DEP_1)
	v_add_nc_u32_e32 v15, v15, v13
	ds_load_b64 v[13:14], v15 offset:4112
.LBB113_136:                            ;   Parent Loop BB113_90 Depth=1
                                        ;     Parent Loop BB113_124 Depth=2
                                        ; =>    This Inner Loop Header: Depth=3
	s_waitcnt lgkmcnt(0)
	v_add_f64 v[16:17], v[13:14], v[10:11]
	ds_cmpstore_rtn_b64 v[16:17], v15, v[16:17], v[13:14] offset:4112
	s_waitcnt lgkmcnt(0)
	v_cmp_eq_u64_e32 vcc_lo, v[16:17], v[13:14]
	v_dual_mov_b32 v13, v16 :: v_dual_mov_b32 v14, v17
	s_or_b32 s17, vcc_lo, s17
	s_delay_alu instid0(SALU_CYCLE_1)
	s_and_not1_b32 exec_lo, exec_lo, s17
	s_cbranch_execnz .LBB113_136
; %bb.137:                              ;   in Loop: Header=BB113_124 Depth=2
	s_or_b32 exec_lo, exec_lo, s17
	s_delay_alu instid0(SALU_CYCLE_1)
	s_and_not1_b32 s16, s16, exec_lo
	s_branch .LBB113_123
.LBB113_138:                            ;   in Loop: Header=BB113_90 Depth=1
	s_or_b32 exec_lo, exec_lo, s14
	v_mul_f64 v[8:9], v[1:2], v[8:9]
	s_mov_b32 s14, 0
	s_branch .LBB113_140
.LBB113_139:                            ;   in Loop: Header=BB113_140 Depth=2
	s_or_b32 exec_lo, exec_lo, s15
	s_xor_b32 s15, s16, -1
	s_delay_alu instid0(SALU_CYCLE_1) | instskip(NEXT) | instid1(SALU_CYCLE_1)
	s_and_b32 s15, exec_lo, s15
	s_or_b32 s14, s15, s14
	s_delay_alu instid0(SALU_CYCLE_1)
	s_and_not1_b32 exec_lo, exec_lo, s14
	s_cbranch_execz .LBB113_89
.LBB113_140:                            ;   Parent Loop BB113_90 Depth=1
                                        ; =>  This Loop Header: Depth=2
                                        ;       Child Loop BB113_146 Depth 3
                                        ;       Child Loop BB113_152 Depth 3
	v_lshl_add_u32 v12, v7, 3, 0
	s_mov_b32 s15, exec_lo
                                        ; implicit-def: $sgpr16
	ds_load_b64 v[10:11], v12
	s_waitcnt lgkmcnt(0)
	v_cmpx_ne_u64_e64 v[10:11], v[5:6]
	s_xor_b32 s15, exec_lo, s15
	s_cbranch_execz .LBB113_150
; %bb.141:                              ;   in Loop: Header=BB113_140 Depth=2
	s_mov_b32 s17, exec_lo
                                        ; implicit-def: $sgpr16
	v_cmpx_ne_u64_e64 s[34:35], v[10:11]
	s_xor_b32 s17, exec_lo, s17
; %bb.142:                              ;   in Loop: Header=BB113_140 Depth=2
	v_add_nc_u32_e32 v7, 1, v7
	s_mov_b32 s16, -1
                                        ; implicit-def: $vgpr12
	s_delay_alu instid0(VALU_DEP_1)
	v_and_b32_e32 v7, 0x1ff, v7
; %bb.143:                              ;   in Loop: Header=BB113_140 Depth=2
	s_and_not1_saveexec_b32 s17, s17
	s_cbranch_execz .LBB113_149
; %bb.144:                              ;   in Loop: Header=BB113_140 Depth=2
	v_dual_mov_b32 v10, s34 :: v_dual_mov_b32 v11, s35
	s_mov_b32 s19, -1
	s_mov_b32 s18, exec_lo
	ds_cmpstore_rtn_b64 v[10:11], v12, v[5:6], v[10:11]
	s_waitcnt lgkmcnt(0)
	v_cmpx_eq_u64_e64 s[34:35], v[10:11]
	s_cbranch_execz .LBB113_148
; %bb.145:                              ;   in Loop: Header=BB113_140 Depth=2
	v_mul_lo_u32 v10, v7, 24
	s_mov_b32 s19, 0
	s_delay_alu instid0(VALU_DEP_1)
	v_add_nc_u32_e32 v12, v12, v10
	ds_load_b64 v[10:11], v12 offset:4120
.LBB113_146:                            ;   Parent Loop BB113_90 Depth=1
                                        ;     Parent Loop BB113_140 Depth=2
                                        ; =>    This Inner Loop Header: Depth=3
	s_waitcnt lgkmcnt(0)
	v_add_f64 v[13:14], v[10:11], v[8:9]
	ds_cmpstore_rtn_b64 v[13:14], v12, v[13:14], v[10:11] offset:4120
	s_waitcnt lgkmcnt(0)
	v_cmp_eq_u64_e32 vcc_lo, v[13:14], v[10:11]
	v_dual_mov_b32 v10, v13 :: v_dual_mov_b32 v11, v14
	s_or_b32 s19, vcc_lo, s19
	s_delay_alu instid0(SALU_CYCLE_1)
	s_and_not1_b32 exec_lo, exec_lo, s19
	s_cbranch_execnz .LBB113_146
; %bb.147:                              ;   in Loop: Header=BB113_140 Depth=2
	s_or_b32 exec_lo, exec_lo, s19
	s_delay_alu instid0(SALU_CYCLE_1)
	s_xor_b32 s19, exec_lo, -1
.LBB113_148:                            ;   in Loop: Header=BB113_140 Depth=2
	s_or_b32 exec_lo, exec_lo, s18
	s_delay_alu instid0(SALU_CYCLE_1) | instskip(SKIP_1) | instid1(SALU_CYCLE_1)
	s_and_not1_b32 s16, s16, exec_lo
	s_and_b32 s18, s19, exec_lo
	s_or_b32 s16, s16, s18
.LBB113_149:                            ;   in Loop: Header=BB113_140 Depth=2
	s_or_b32 exec_lo, exec_lo, s17
	s_delay_alu instid0(SALU_CYCLE_1)
	s_and_b32 s16, s16, exec_lo
                                        ; implicit-def: $vgpr12
.LBB113_150:                            ;   in Loop: Header=BB113_140 Depth=2
	s_and_not1_saveexec_b32 s15, s15
	s_cbranch_execz .LBB113_139
; %bb.151:                              ;   in Loop: Header=BB113_140 Depth=2
	v_mul_lo_u32 v10, v7, 24
	s_mov_b32 s17, 0
	s_delay_alu instid0(VALU_DEP_1)
	v_add_nc_u32_e32 v12, v12, v10
	ds_load_b64 v[10:11], v12 offset:4120
.LBB113_152:                            ;   Parent Loop BB113_90 Depth=1
                                        ;     Parent Loop BB113_140 Depth=2
                                        ; =>    This Inner Loop Header: Depth=3
	s_waitcnt lgkmcnt(0)
	v_add_f64 v[13:14], v[10:11], v[8:9]
	ds_cmpstore_rtn_b64 v[13:14], v12, v[13:14], v[10:11] offset:4120
	s_waitcnt lgkmcnt(0)
	v_cmp_eq_u64_e32 vcc_lo, v[13:14], v[10:11]
	v_dual_mov_b32 v10, v13 :: v_dual_mov_b32 v11, v14
	s_or_b32 s17, vcc_lo, s17
	s_delay_alu instid0(SALU_CYCLE_1)
	s_and_not1_b32 exec_lo, exec_lo, s17
	s_cbranch_execnz .LBB113_152
; %bb.153:                              ;   in Loop: Header=BB113_140 Depth=2
	s_or_b32 exec_lo, exec_lo, s17
	s_delay_alu instid0(SALU_CYCLE_1)
	s_and_not1_b32 s16, s16, exec_lo
	s_branch .LBB113_139
.LBB113_154:
	s_or_b32 exec_lo, exec_lo, s4
.LBB113_155:
	s_barrier
	buffer_gl0_inv
	s_and_saveexec_b32 s0, s2
	s_cbranch_execz .LBB113_162
; %bb.156:
	s_lshl_b64 s[0:1], s[40:41], 3
	s_delay_alu instid0(SALU_CYCLE_1)
	s_add_u32 s0, s10, s0
	s_addc_u32 s1, s11, s1
	s_load_b64 s[0:1], s[0:1], 0x0
	s_waitcnt lgkmcnt(0)
	s_sub_u32 s2, s0, s22
	s_subb_u32 s3, s1, 0
	s_cmp_eq_u32 s33, 0
	s_mov_b32 s1, 0
	s_cselect_b32 s4, 1, 2
	s_cselect_b32 s5, 2, 1
	s_add_i32 s6, 0, 0x1000
	s_branch .LBB113_158
.LBB113_157:                            ;   in Loop: Header=BB113_158 Depth=1
	s_or_b32 exec_lo, exec_lo, s7
	v_add_nc_u32_e32 v1, 0x100, v0
	v_cmp_lt_u32_e32 vcc_lo, 0xff, v0
	s_delay_alu instid0(VALU_DEP_2) | instskip(SKIP_1) | instid1(SALU_CYCLE_1)
	v_mov_b32_e32 v0, v1
	s_or_b32 s1, vcc_lo, s1
	s_and_not1_b32 exec_lo, exec_lo, s1
	s_cbranch_execz .LBB113_162
.LBB113_158:                            ; =>This Loop Header: Depth=1
                                        ;     Child Loop BB113_160 Depth 2
	s_delay_alu instid0(VALU_DEP_1)
	v_lshl_add_u32 v1, v0, 3, 0
	s_mov_b32 s7, exec_lo
	ds_load_b64 v[1:2], v1
	s_waitcnt lgkmcnt(0)
	v_cmpx_gt_i64_e64 s[34:35], v[1:2]
	s_cbranch_execz .LBB113_157
; %bb.159:                              ;   in Loop: Header=BB113_158 Depth=1
	v_dual_mov_b32 v4, s3 :: v_dual_mov_b32 v3, s2
	s_mov_b32 s8, 0
.LBB113_160:                            ;   Parent Loop BB113_158 Depth=1
                                        ; =>  This Inner Loop Header: Depth=2
	s_delay_alu instid0(SALU_CYCLE_1)
	s_add_i32 s0, s8, 0
	s_addk_i32 s8, 0x80
	v_mov_b32_e32 v33, s0
	s_cmpk_lg_i32 s8, 0x1000
	ds_load_2addr_b64 v[5:8], v33 offset1:1
	ds_load_2addr_b64 v[9:12], v33 offset0:2 offset1:3
	ds_load_2addr_b64 v[13:16], v33 offset0:4 offset1:5
	ds_load_2addr_b64 v[17:20], v33 offset0:6 offset1:7
	ds_load_2addr_b64 v[21:24], v33 offset0:8 offset1:9
	ds_load_2addr_b64 v[25:28], v33 offset0:10 offset1:11
	ds_load_2addr_b64 v[29:32], v33 offset0:12 offset1:13
	ds_load_2addr_b64 v[33:36], v33 offset0:14 offset1:15
	s_waitcnt lgkmcnt(7)
	v_cmp_gt_i64_e32 vcc_lo, v[1:2], v[5:6]
	v_cndmask_b32_e64 v5, 0, 1, vcc_lo
	v_cmp_gt_i64_e32 vcc_lo, v[1:2], v[7:8]
	v_cndmask_b32_e64 v6, 0, 1, vcc_lo
	s_waitcnt lgkmcnt(6)
	v_cmp_gt_i64_e32 vcc_lo, v[1:2], v[9:10]
	v_cndmask_b32_e64 v7, 0, 1, vcc_lo
	v_cmp_gt_i64_e32 vcc_lo, v[1:2], v[11:12]
	v_cndmask_b32_e64 v8, 0, 1, vcc_lo
	;; [unrolled: 5-line block ×4, first 2 shown]
	s_waitcnt lgkmcnt(3)
	v_cmp_gt_i64_e32 vcc_lo, v[1:2], v[21:22]
	v_cndmask_b32_e64 v13, 0, 1, vcc_lo
	v_add_co_u32 v3, vcc_lo, v3, v5
	v_add_co_ci_u32_e32 v4, vcc_lo, 0, v4, vcc_lo
	v_cmp_gt_i64_e32 vcc_lo, v[1:2], v[23:24]
	s_delay_alu instid0(VALU_DEP_3) | instskip(NEXT) | instid1(VALU_DEP_1)
	v_add_co_u32 v3, s0, v3, v6
	v_add_co_ci_u32_e64 v4, s0, 0, v4, s0
	v_cndmask_b32_e64 v5, 0, 1, vcc_lo
	s_delay_alu instid0(VALU_DEP_3) | instskip(NEXT) | instid1(VALU_DEP_3)
	v_add_co_u32 v3, vcc_lo, v3, v7
	v_add_co_ci_u32_e32 v4, vcc_lo, 0, v4, vcc_lo
	s_waitcnt lgkmcnt(2)
	v_cmp_gt_i64_e32 vcc_lo, v[1:2], v[25:26]
	s_delay_alu instid0(VALU_DEP_3) | instskip(NEXT) | instid1(VALU_DEP_1)
	v_add_co_u32 v3, s0, v3, v8
	v_add_co_ci_u32_e64 v4, s0, 0, v4, s0
	v_cndmask_b32_e64 v6, 0, 1, vcc_lo
	s_delay_alu instid0(VALU_DEP_3) | instskip(NEXT) | instid1(VALU_DEP_3)
	v_add_co_u32 v3, vcc_lo, v3, v9
	v_add_co_ci_u32_e32 v4, vcc_lo, 0, v4, vcc_lo
	v_cmp_gt_i64_e32 vcc_lo, v[1:2], v[27:28]
	s_delay_alu instid0(VALU_DEP_3) | instskip(NEXT) | instid1(VALU_DEP_1)
	v_add_co_u32 v3, s0, v3, v10
	v_add_co_ci_u32_e64 v4, s0, 0, v4, s0
	v_cndmask_b32_e64 v7, 0, 1, vcc_lo
	s_delay_alu instid0(VALU_DEP_3) | instskip(NEXT) | instid1(VALU_DEP_3)
	v_add_co_u32 v3, vcc_lo, v3, v11
	v_add_co_ci_u32_e32 v4, vcc_lo, 0, v4, vcc_lo
	s_waitcnt lgkmcnt(1)
	v_cmp_gt_i64_e32 vcc_lo, v[1:2], v[29:30]
	s_delay_alu instid0(VALU_DEP_3) | instskip(NEXT) | instid1(VALU_DEP_1)
	v_add_co_u32 v3, s0, v3, v12
	v_add_co_ci_u32_e64 v4, s0, 0, v4, s0
	v_cndmask_b32_e64 v8, 0, 1, vcc_lo
	s_delay_alu instid0(VALU_DEP_3) | instskip(NEXT) | instid1(VALU_DEP_3)
	;; [unrolled: 17-line block ×3, first 2 shown]
	v_add_co_u32 v3, vcc_lo, v3, v8
	v_add_co_ci_u32_e32 v4, vcc_lo, 0, v4, vcc_lo
	v_cmp_gt_i64_e32 vcc_lo, v[1:2], v[35:36]
	s_delay_alu instid0(VALU_DEP_3) | instskip(NEXT) | instid1(VALU_DEP_1)
	v_add_co_u32 v3, s0, v3, v5
	v_add_co_ci_u32_e64 v4, s0, 0, v4, s0
	v_cndmask_b32_e64 v5, 0, 1, vcc_lo
	s_delay_alu instid0(VALU_DEP_3) | instskip(NEXT) | instid1(VALU_DEP_3)
	v_add_co_u32 v3, vcc_lo, v3, v6
	v_add_co_ci_u32_e32 v4, vcc_lo, 0, v4, vcc_lo
	s_delay_alu instid0(VALU_DEP_2) | instskip(NEXT) | instid1(VALU_DEP_2)
	v_add_co_u32 v3, vcc_lo, v3, v5
	v_add_co_ci_u32_e32 v4, vcc_lo, 0, v4, vcc_lo
	s_cbranch_scc1 .LBB113_160
; %bb.161:                              ;   in Loop: Header=BB113_158 Depth=1
	v_lshl_add_u32 v5, v0, 5, s6
	v_add_co_u32 v1, vcc_lo, v1, s22
	v_add_co_ci_u32_e32 v2, vcc_lo, 0, v2, vcc_lo
	ds_load_2addr_b64 v[5:8], v5 offset1:3
	v_lshlrev_b32_e32 v9, 2, v0
	s_delay_alu instid0(VALU_DEP_1) | instskip(NEXT) | instid1(VALU_DEP_1)
	v_or_b32_e32 v10, s4, v9
	v_lshl_add_u32 v11, v10, 3, s6
	s_waitcnt lgkmcnt(0)
	v_mov_b32_e32 v10, v6
	v_or_b32_e32 v9, s5, v9
	s_delay_alu instid0(VALU_DEP_1)
	v_lshl_add_u32 v13, v9, 3, s6
	v_mov_b32_e32 v9, v5
	ds_load_b64 v[11:12], v11
	ds_load_b64 v[5:6], v13
	v_lshlrev_b64 v[13:14], 3, v[3:4]
	v_lshlrev_b64 v[3:4], 5, v[3:4]
	s_delay_alu instid0(VALU_DEP_2) | instskip(NEXT) | instid1(VALU_DEP_3)
	v_add_co_u32 v13, vcc_lo, s24, v13
	v_add_co_ci_u32_e32 v14, vcc_lo, s25, v14, vcc_lo
	s_delay_alu instid0(VALU_DEP_3) | instskip(NEXT) | instid1(VALU_DEP_4)
	v_add_co_u32 v3, vcc_lo, s26, v3
	v_add_co_ci_u32_e32 v4, vcc_lo, s27, v4, vcc_lo
	global_store_b64 v[13:14], v[1:2], off
	s_waitcnt lgkmcnt(1)
	global_store_b128 v[3:4], v[9:12], off
	s_waitcnt lgkmcnt(0)
	global_store_b128 v[3:4], v[5:8], off offset:16
	s_branch .LBB113_157
.LBB113_162:
	s_nop 0
	s_sendmsg sendmsg(MSG_DEALLOC_VGPRS)
	s_endpgm
	.section	.rodata,"a",@progbits
	.p2align	6, 0x0
	.amdhsa_kernel _ZN9rocsparseL30bsrgemm_fill_block_per_row_2x2ILj256ELj16ELj512ELj137ElldEEv20rocsparse_direction_T4_S2_PKS2_S4_NS_24const_host_device_scalarIT5_EEPKT3_S4_PKS6_SA_S4_SC_S7_SA_S4_SC_SA_PS2_PS6_21rocsparse_index_base_SF_SF_SF_bbb
		.amdhsa_group_segment_fixed_size 0
		.amdhsa_private_segment_fixed_size 0
		.amdhsa_kernarg_size 172
		.amdhsa_user_sgpr_count 15
		.amdhsa_user_sgpr_dispatch_ptr 0
		.amdhsa_user_sgpr_queue_ptr 0
		.amdhsa_user_sgpr_kernarg_segment_ptr 1
		.amdhsa_user_sgpr_dispatch_id 0
		.amdhsa_user_sgpr_private_segment_size 0
		.amdhsa_wavefront_size32 1
		.amdhsa_uses_dynamic_stack 0
		.amdhsa_enable_private_segment 0
		.amdhsa_system_sgpr_workgroup_id_x 1
		.amdhsa_system_sgpr_workgroup_id_y 0
		.amdhsa_system_sgpr_workgroup_id_z 0
		.amdhsa_system_sgpr_workgroup_info 0
		.amdhsa_system_vgpr_workitem_id 0
		.amdhsa_next_free_vgpr 40
		.amdhsa_next_free_sgpr 48
		.amdhsa_reserve_vcc 1
		.amdhsa_float_round_mode_32 0
		.amdhsa_float_round_mode_16_64 0
		.amdhsa_float_denorm_mode_32 3
		.amdhsa_float_denorm_mode_16_64 3
		.amdhsa_dx10_clamp 1
		.amdhsa_ieee_mode 1
		.amdhsa_fp16_overflow 0
		.amdhsa_workgroup_processor_mode 1
		.amdhsa_memory_ordered 1
		.amdhsa_forward_progress 0
		.amdhsa_shared_vgpr_count 0
		.amdhsa_exception_fp_ieee_invalid_op 0
		.amdhsa_exception_fp_denorm_src 0
		.amdhsa_exception_fp_ieee_div_zero 0
		.amdhsa_exception_fp_ieee_overflow 0
		.amdhsa_exception_fp_ieee_underflow 0
		.amdhsa_exception_fp_ieee_inexact 0
		.amdhsa_exception_int_div_zero 0
	.end_amdhsa_kernel
	.section	.text._ZN9rocsparseL30bsrgemm_fill_block_per_row_2x2ILj256ELj16ELj512ELj137ElldEEv20rocsparse_direction_T4_S2_PKS2_S4_NS_24const_host_device_scalarIT5_EEPKT3_S4_PKS6_SA_S4_SC_S7_SA_S4_SC_SA_PS2_PS6_21rocsparse_index_base_SF_SF_SF_bbb,"axG",@progbits,_ZN9rocsparseL30bsrgemm_fill_block_per_row_2x2ILj256ELj16ELj512ELj137ElldEEv20rocsparse_direction_T4_S2_PKS2_S4_NS_24const_host_device_scalarIT5_EEPKT3_S4_PKS6_SA_S4_SC_S7_SA_S4_SC_SA_PS2_PS6_21rocsparse_index_base_SF_SF_SF_bbb,comdat
.Lfunc_end113:
	.size	_ZN9rocsparseL30bsrgemm_fill_block_per_row_2x2ILj256ELj16ELj512ELj137ElldEEv20rocsparse_direction_T4_S2_PKS2_S4_NS_24const_host_device_scalarIT5_EEPKT3_S4_PKS6_SA_S4_SC_S7_SA_S4_SC_SA_PS2_PS6_21rocsparse_index_base_SF_SF_SF_bbb, .Lfunc_end113-_ZN9rocsparseL30bsrgemm_fill_block_per_row_2x2ILj256ELj16ELj512ELj137ElldEEv20rocsparse_direction_T4_S2_PKS2_S4_NS_24const_host_device_scalarIT5_EEPKT3_S4_PKS6_SA_S4_SC_S7_SA_S4_SC_SA_PS2_PS6_21rocsparse_index_base_SF_SF_SF_bbb
                                        ; -- End function
	.section	.AMDGPU.csdata,"",@progbits
; Kernel info:
; codeLenInByte = 6044
; NumSgprs: 50
; NumVgprs: 40
; ScratchSize: 0
; MemoryBound: 0
; FloatMode: 240
; IeeeMode: 1
; LDSByteSize: 0 bytes/workgroup (compile time only)
; SGPRBlocks: 6
; VGPRBlocks: 4
; NumSGPRsForWavesPerEU: 50
; NumVGPRsForWavesPerEU: 40
; Occupancy: 16
; WaveLimiterHint : 1
; COMPUTE_PGM_RSRC2:SCRATCH_EN: 0
; COMPUTE_PGM_RSRC2:USER_SGPR: 15
; COMPUTE_PGM_RSRC2:TRAP_HANDLER: 0
; COMPUTE_PGM_RSRC2:TGID_X_EN: 1
; COMPUTE_PGM_RSRC2:TGID_Y_EN: 0
; COMPUTE_PGM_RSRC2:TGID_Z_EN: 0
; COMPUTE_PGM_RSRC2:TIDIG_COMP_CNT: 0
	.section	.text._ZN9rocsparseL38bsrgemm_block_per_row_atomic_multipassILj256ELj256ELj2ElldEEv20rocsparse_direction_T3_S2_PKS2_S4_NS_24const_host_device_scalarIT4_EEPKT2_S4_PKS6_SA_S4_SC_S7_SA_S4_SC_SA_PS2_PS6_PS8_21rocsparse_index_base_SG_SG_SG_bbb,"axG",@progbits,_ZN9rocsparseL38bsrgemm_block_per_row_atomic_multipassILj256ELj256ELj2ElldEEv20rocsparse_direction_T3_S2_PKS2_S4_NS_24const_host_device_scalarIT4_EEPKT2_S4_PKS6_SA_S4_SC_S7_SA_S4_SC_SA_PS2_PS6_PS8_21rocsparse_index_base_SG_SG_SG_bbb,comdat
	.globl	_ZN9rocsparseL38bsrgemm_block_per_row_atomic_multipassILj256ELj256ELj2ElldEEv20rocsparse_direction_T3_S2_PKS2_S4_NS_24const_host_device_scalarIT4_EEPKT2_S4_PKS6_SA_S4_SC_S7_SA_S4_SC_SA_PS2_PS6_PS8_21rocsparse_index_base_SG_SG_SG_bbb ; -- Begin function _ZN9rocsparseL38bsrgemm_block_per_row_atomic_multipassILj256ELj256ELj2ElldEEv20rocsparse_direction_T3_S2_PKS2_S4_NS_24const_host_device_scalarIT4_EEPKT2_S4_PKS6_SA_S4_SC_S7_SA_S4_SC_SA_PS2_PS6_PS8_21rocsparse_index_base_SG_SG_SG_bbb
	.p2align	8
	.type	_ZN9rocsparseL38bsrgemm_block_per_row_atomic_multipassILj256ELj256ELj2ElldEEv20rocsparse_direction_T3_S2_PKS2_S4_NS_24const_host_device_scalarIT4_EEPKT2_S4_PKS6_SA_S4_SC_S7_SA_S4_SC_SA_PS2_PS6_PS8_21rocsparse_index_base_SG_SG_SG_bbb,@function
_ZN9rocsparseL38bsrgemm_block_per_row_atomic_multipassILj256ELj256ELj2ElldEEv20rocsparse_direction_T3_S2_PKS2_S4_NS_24const_host_device_scalarIT4_EEPKT2_S4_PKS6_SA_S4_SC_S7_SA_S4_SC_SA_PS2_PS6_PS8_21rocsparse_index_base_SG_SG_SG_bbb: ; @_ZN9rocsparseL38bsrgemm_block_per_row_atomic_multipassILj256ELj256ELj2ElldEEv20rocsparse_direction_T3_S2_PKS2_S4_NS_24const_host_device_scalarIT4_EEPKT2_S4_PKS6_SA_S4_SC_S7_SA_S4_SC_SA_PS2_PS6_PS8_21rocsparse_index_base_SG_SG_SG_bbb
; %bb.0:
	s_clause 0x3
	s_load_b32 s3, s[0:1], 0xb0
	s_load_b64 s[6:7], s[0:1], 0x28
	s_load_b128 s[28:31], s[0:1], 0xa0
	s_load_b64 s[4:5], s[0:1], 0x60
	s_mov_b32 s2, s15
	s_waitcnt lgkmcnt(0)
	s_and_b32 s8, 1, s3
	s_bitcmp1_b32 s3, 16
	s_cselect_b32 s9, -1, 0
	s_cmp_eq_u32 s8, 1
	s_cselect_b32 s8, -1, 0
	s_delay_alu instid0(SALU_CYCLE_1)
	s_and_b32 s10, s8, exec_lo
	s_cselect_b32 s11, s7, 0
	s_cselect_b32 s10, s6, 0
	s_xor_b32 s12, s8, -1
	v_dual_mov_b32 v1, s10 :: v_dual_mov_b32 v2, s11
	s_or_b32 s12, s12, s9
	s_delay_alu instid0(SALU_CYCLE_1)
	s_and_b32 vcc_lo, exec_lo, s12
	s_cbranch_vccnz .LBB114_2
; %bb.1:
	v_dual_mov_b32 v1, s6 :: v_dual_mov_b32 v2, s7
	flat_load_b64 v[1:2], v[1:2]
.LBB114_2:
	s_load_b64 s[6:7], s[0:1], 0x20
	s_bitcmp1_b32 s3, 8
	s_cselect_b32 s33, -1, 0
	s_delay_alu instid0(SALU_CYCLE_1)
	s_and_b32 s3, s33, exec_lo
	s_cselect_b32 s11, s5, 0
	s_cselect_b32 s10, s4, 0
	s_xor_b32 s3, s33, -1
	v_dual_mov_b32 v3, s10 :: v_dual_mov_b32 v4, s11
	s_or_b32 s3, s3, s9
	s_delay_alu instid0(SALU_CYCLE_1)
	s_and_b32 vcc_lo, exec_lo, s3
	s_cbranch_vccnz .LBB114_4
; %bb.3:
	v_dual_mov_b32 v3, s4 :: v_dual_mov_b32 v4, s5
	flat_load_b64 v[3:4], v[3:4]
.LBB114_4:
	s_load_b64 s[4:5], s[0:1], 0x30
	s_mov_b64 s[34:35], 0
	s_waitcnt lgkmcnt(0)
	s_cmp_eq_u64 s[6:7], 0
	s_mov_b32 s3, 0
	s_cbranch_scc1 .LBB114_6
; %bb.5:
	s_load_b64 s[10:11], s[0:1], 0x18
	s_waitcnt lgkmcnt(0)
	s_load_b64 s[10:11], s[10:11], 0x0
	s_waitcnt lgkmcnt(0)
	s_lshl_b64 s[10:11], s[10:11], 3
	s_delay_alu instid0(SALU_CYCLE_1) | instskip(SKIP_2) | instid1(SALU_CYCLE_1)
	s_add_u32 s6, s6, s10
	s_addc_u32 s7, s7, s11
	s_lshl_b64 s[2:3], s[2:3], 3
	s_add_u32 s2, s6, s2
	s_addc_u32 s3, s7, s3
	s_load_b64 s[2:3], s[2:3], 0x0
.LBB114_6:
	s_and_not1_b32 vcc_lo, exec_lo, s8
	s_cbranch_vccz .LBB114_9
; %bb.7:
	s_and_not1_b32 vcc_lo, exec_lo, s8
	s_mov_b64 s[44:45], 0
	s_cbranch_vccz .LBB114_10
.LBB114_8:
	s_load_b128 s[36:39], s[0:1], 0x8
	s_waitcnt lgkmcnt(0)
	v_cmp_lt_i64_e64 s4, s[36:37], 1
	s_delay_alu instid0(VALU_DEP_1)
	s_and_b32 vcc_lo, exec_lo, s4
	s_cbranch_vccz .LBB114_11
	s_branch .LBB114_98
.LBB114_9:
	s_waitcnt lgkmcnt(0)
	s_lshl_b64 s[6:7], s[2:3], 3
	s_delay_alu instid0(SALU_CYCLE_1)
	s_add_u32 s6, s4, s6
	s_addc_u32 s7, s5, s7
	s_load_b64 s[6:7], s[6:7], 0x0
	s_waitcnt lgkmcnt(0)
	s_sub_u32 s34, s6, s28
	s_subb_u32 s35, s7, 0
	s_and_not1_b32 vcc_lo, exec_lo, s8
	s_mov_b64 s[44:45], 0
	s_cbranch_vccnz .LBB114_8
.LBB114_10:
	s_waitcnt lgkmcnt(0)
	s_lshl_b64 s[6:7], s[2:3], 3
	s_delay_alu instid0(SALU_CYCLE_1)
	s_add_u32 s4, s4, s6
	s_addc_u32 s5, s5, s7
	s_load_b64 s[4:5], s[4:5], 0x8
	s_waitcnt lgkmcnt(0)
	s_sub_u32 s44, s4, s28
	s_subb_u32 s45, s5, 0
	s_load_b128 s[36:39], s[0:1], 0x8
	s_waitcnt lgkmcnt(0)
	v_cmp_lt_i64_e64 s4, s[36:37], 1
	s_delay_alu instid0(VALU_DEP_1)
	s_and_b32 vcc_lo, exec_lo, s4
	s_cbranch_vccnz .LBB114_98
.LBB114_11:
	s_clause 0x4
	s_load_b256 s[12:19], s[0:1], 0x68
	s_load_b64 s[46:47], s[0:1], 0x98
	s_load_b128 s[40:43], s[0:1], 0x88
	s_load_b64 s[48:49], s[0:1], 0x58
	s_load_b256 s[20:27], s[0:1], 0x38
	v_bfe_u32 v11, v0, 1, 1
	s_lshl_b64 s[6:7], s[2:3], 3
	v_dual_mov_b32 v6, 0 :: v_dual_and_b32 v7, 1, v0
	v_lshlrev_b32_e32 v39, 3, v0
	s_delay_alu instid0(VALU_DEP_3) | instskip(SKIP_1) | instid1(VALU_DEP_4)
	v_mad_u64_u32 v[13:14], null, v11, s38, 0
	v_and_b32_e32 v19, 3, v0
	v_mul_lo_u32 v16, v7, s39
	v_mov_b32_e32 v12, v6
	s_load_b32 s9, s[0:1], 0x0
	v_lshrrev_b32_e32 v5, 2, v0
	s_mul_i32 s11, s38, s39
	v_mov_b32_e32 v8, v14
	v_mov_b32_e32 v10, v6
	s_waitcnt lgkmcnt(0)
	s_add_u32 s2, s18, s6
	s_addc_u32 s3, s19, s7
	s_mul_hi_u32 s19, s38, s38
	s_load_b64 s[4:5], s[2:3], 0x0
	v_mad_u64_u32 v[14:15], null, v11, s39, v[8:9]
	v_mul_lo_u32 v15, v7, s38
	v_dual_mov_b32 v8, v6 :: v_dual_lshlrev_b32 v9, 3, v7
	v_cmp_gt_i64_e64 s2, s[38:39], v[11:12]
	v_cmp_gt_u64_e32 vcc_lo, s[38:39], v[11:12]
	v_and_b32_e32 v42, 2, v0
	v_lshlrev_b64 v[13:14], 3, v[13:14]
	v_cmp_gt_i64_e64 s3, s[38:39], v[7:8]
	v_lshlrev_b64 v[15:16], 3, v[15:16]
	s_mov_b32 s54, s31
	v_cmp_lt_i64_e64 s10, s[34:35], s[44:45]
	v_cmp_gt_u32_e64 s0, 0x100, v0
	v_cmp_eq_u32_e64 s1, 0, v0
	v_or_b32_e32 v40, 0x2000, v39
	s_mul_i32 s18, s38, s38
	v_mov_b32_e32 v62, 1
	s_waitcnt lgkmcnt(0)
	s_sub_u32 s50, s4, s30
	v_add_co_u32 v8, s4, s22, v13
	s_delay_alu instid0(VALU_DEP_1) | instskip(SKIP_1) | instid1(VALU_DEP_2)
	v_add_co_ci_u32_e64 v17, s4, s23, v14, s4
	s_subb_u32 s51, s5, 0
	v_add_co_u32 v8, s4, v8, v9
	s_delay_alu instid0(VALU_DEP_1) | instskip(SKIP_3) | instid1(VALU_DEP_1)
	v_add_co_ci_u32_e64 v41, s4, 0, v17, s4
	s_and_b32 s52, s3, s2
	v_lshlrev_b64 v[17:18], 3, v[11:12]
	v_add_co_u32 v12, s2, s42, v15
	v_add_co_ci_u32_e64 v20, s2, s43, v16, s2
	v_add_co_u32 v21, s2, s42, v13
	s_delay_alu instid0(VALU_DEP_1) | instskip(NEXT) | instid1(VALU_DEP_4)
	v_add_co_ci_u32_e64 v22, s2, s43, v14, s2
	v_add_co_u32 v12, s2, v12, v17
	s_delay_alu instid0(VALU_DEP_1) | instskip(NEXT) | instid1(VALU_DEP_4)
	v_add_co_ci_u32_e64 v20, s2, v20, v18, s2
	v_add_co_u32 v21, s2, v21, v9
	s_delay_alu instid0(VALU_DEP_1) | instskip(SKIP_1) | instid1(VALU_DEP_1)
	v_add_co_ci_u32_e64 v22, s2, 0, v22, s2
	v_add_co_u32 v15, s2, s16, v15
	v_add_co_ci_u32_e64 v16, s2, s17, v16, s2
	v_sub_co_u32 v43, s2, v5, s31
	s_delay_alu instid0(VALU_DEP_1) | instskip(NEXT) | instid1(VALU_DEP_4)
	v_sub_co_ci_u32_e64 v44, null, 0, 0, s2
	v_add_co_u32 v15, s2, v15, v17
	s_delay_alu instid0(VALU_DEP_1) | instskip(SKIP_4) | instid1(VALU_DEP_2)
	v_add_co_ci_u32_e64 v16, s2, v16, v18, s2
	v_add_co_u32 v13, s2, s16, v13
	s_add_i32 s5, s19, s11
	v_add_co_ci_u32_e64 v14, s2, s17, v14, s2
	s_add_i32 s19, s5, s11
	v_add_co_u32 v13, s2, v13, v9
	s_cmp_eq_u32 s9, 0
	s_delay_alu instid0(VALU_DEP_2)
	v_add_co_ci_u32_e64 v14, s2, 0, v14, s2
	s_cselect_b32 s11, -1, 0
	v_lshlrev_b32_e32 v11, 3, v11
	v_lshlrev_b32_e32 v17, 2, v0
	v_add_co_u32 v18, s31, v0, -1
	v_cndmask_b32_e64 v57, v15, v13, s11
	v_and_b32_e32 v13, 0xfc, v0
	v_cndmask_b32_e64 v56, v16, v14, s11
	v_mov_b32_e32 v16, v6
	v_lshl_or_b32 v11, v5, 5, v11
	v_or_b32_e32 v45, 0x2800, v17
	v_lshl_add_u32 v46, v18, 2, 0x2800
	v_add_nc_u32_e32 v47, 0x27f8, v17
	v_add_nc_u32_e32 v48, 0x27f0, v17
	;; [unrolled: 1-line block ×3, first 2 shown]
	v_dual_mov_b32 v15, v6 :: v_dual_add_nc_u32 v50, 0x27c0, v17
	v_add_nc_u32_e32 v51, 0x2780, v17
	v_add_nc_u32_e32 v52, 0x2700, v17
	;; [unrolled: 1-line block ×3, first 2 shown]
	v_mov_b32_e32 v17, 0
	v_or3_b32 v14, v13, v42, v7
	s_cmp_lg_u32 s9, 0
	v_cndmask_b32_e64 v54, v20, v22, s11
	s_cselect_b32 s53, -1, 0
	s_add_u32 s22, s12, s6
	v_cndmask_b32_e64 v55, v12, v21, s11
	v_add_nc_u32_e32 v58, 0x2000, v11
	s_movk_i32 s11, 0x7f0
	v_add_co_u32 v11, s12, s48, v9
	s_addc_u32 s23, s13, s7
	v_cmp_eq_u32_e64 s2, 3, v19
	s_and_b32 s55, s8, s10
	s_and_b32 s56, s3, vcc_lo
	v_dual_mov_b32 v19, 0x100 :: v_dual_lshlrev_b32 v60, 3, v14
	v_or_b32_e32 v61, 0x2800, v13
	v_mov_b32_e32 v13, s50
	v_cmp_ne_u32_e64 s3, 0, v0
	v_cmp_lt_u32_e64 s4, 1, v0
	v_cmp_lt_u32_e64 s5, 3, v0
	;; [unrolled: 1-line block ×7, first 2 shown]
	s_add_u32 s57, s24, 8
	v_or_b32_e32 v0, 0xffffff00, v0
	v_add_co_ci_u32_e64 v12, null, s49, 0, s12
	v_and_or_b32 v59, v39, s11, 0x2000
	v_mov_b32_e32 v18, 0
	v_mov_b32_e32 v20, 0
	;; [unrolled: 1-line block ×3, first 2 shown]
	s_addc_u32 s58, s25, 0
	s_add_u32 s59, s40, -8
	s_addc_u32 s60, s41, -1
	s_lshl_b64 s[16:17], s[38:39], 3
	s_lshl_b64 s[40:41], s[18:19], 3
	s_branch .LBB114_13
.LBB114_12:                             ;   in Loop: Header=BB114_13 Depth=1
	s_or_b32 exec_lo, exec_lo, s11
	s_waitcnt_vscnt null, 0x0
	s_barrier
	buffer_gl0_inv
	ds_load_b64 v[17:18], v6 offset:11264
	v_ashrrev_i32_e32 v19, 31, v20
	v_add_co_u32 v13, vcc_lo, v13, v20
	s_waitcnt lgkmcnt(0)
	s_barrier
	s_delay_alu instid0(VALU_DEP_2) | instskip(SKIP_3) | instid1(VALU_DEP_1)
	v_add_co_ci_u32_e32 v14, vcc_lo, v14, v19, vcc_lo
	buffer_gl0_inv
	v_cmp_le_i64_e32 vcc_lo, s[36:37], v[17:18]
	v_add_co_u32 v19, s11, 0x100, v17
	v_add_co_ci_u32_e64 v20, s11, 0, v18, s11
	s_cbranch_vccnz .LBB114_98
.LBB114_13:                             ; =>This Loop Header: Depth=1
                                        ;     Child Loop BB114_16 Depth 2
                                        ;     Child Loop BB114_22 Depth 2
                                        ;       Child Loop BB114_36 Depth 3
                                        ;         Child Loop BB114_48 Depth 4
                                        ;         Child Loop BB114_44 Depth 4
	;; [unrolled: 1-line block ×3, first 2 shown]
                                        ;     Child Loop BB114_60 Depth 2
                                        ;       Child Loop BB114_65 Depth 3
                                        ;     Child Loop BB114_70 Depth 2
                                        ;     Child Loop BB114_95 Depth 2
	s_and_saveexec_b32 s11, s0
	s_cbranch_execz .LBB114_15
; %bb.14:                               ;   in Loop: Header=BB114_13 Depth=1
	ds_store_b32 v45, v6
.LBB114_15:                             ;   in Loop: Header=BB114_13 Depth=1
	s_or_b32 exec_lo, exec_lo, s11
	v_dual_mov_b32 v21, v39 :: v_dual_mov_b32 v22, v0
	s_mov_b32 s11, 0
.LBB114_16:                             ;   Parent Loop BB114_13 Depth=1
                                        ; =>  This Inner Loop Header: Depth=2
	s_delay_alu instid0(VALU_DEP_1) | instskip(SKIP_4) | instid1(SALU_CYCLE_1)
	v_add_nc_u32_e32 v22, 0x100, v22
	ds_store_b64 v21, v[15:16]
	v_add_nc_u32_e32 v21, 0x800, v21
	v_cmp_lt_u32_e32 vcc_lo, 0x2ff, v22
	s_or_b32 s11, vcc_lo, s11
	s_and_not1_b32 exec_lo, exec_lo, s11
	s_cbranch_execnz .LBB114_16
; %bb.17:                               ;   in Loop: Header=BB114_13 Depth=1
	s_or_b32 exec_lo, exec_lo, s11
	s_and_saveexec_b32 s11, s1
	s_cbranch_execz .LBB114_19
; %bb.18:                               ;   in Loop: Header=BB114_13 Depth=1
	v_dual_mov_b32 v21, s36 :: v_dual_mov_b32 v22, s37
	ds_store_b64 v6, v[21:22] offset:11264
.LBB114_19:                             ;   in Loop: Header=BB114_13 Depth=1
	s_or_b32 exec_lo, exec_lo, s11
	v_dual_mov_b32 v21, s36 :: v_dual_mov_b32 v22, s37
	s_and_not1_b32 vcc_lo, exec_lo, s55
	s_waitcnt vmcnt(0) lgkmcnt(0)
	s_barrier
	buffer_gl0_inv
	s_cbranch_vccnz .LBB114_55
; %bb.20:                               ;   in Loop: Header=BB114_13 Depth=1
	v_cmp_ne_u64_e64 s11, 0, v[17:18]
	v_dual_mov_b32 v21, s36 :: v_dual_mov_b32 v22, s37
	s_mov_b64 s[42:43], s[34:35]
	s_branch .LBB114_22
.LBB114_21:                             ;   in Loop: Header=BB114_22 Depth=2
	s_or_b32 exec_lo, exec_lo, s13
	s_add_u32 s42, s42, 64
	s_addc_u32 s43, s43, 0
	s_delay_alu instid0(SALU_CYCLE_1) | instskip(NEXT) | instid1(VALU_DEP_1)
	v_cmp_lt_i64_e64 s12, s[42:43], s[44:45]
	s_and_b32 vcc_lo, exec_lo, s12
	s_cbranch_vccz .LBB114_55
.LBB114_22:                             ;   Parent Loop BB114_13 Depth=1
                                        ; =>  This Loop Header: Depth=2
                                        ;       Child Loop BB114_36 Depth 3
                                        ;         Child Loop BB114_48 Depth 4
                                        ;         Child Loop BB114_44 Depth 4
	;; [unrolled: 1-line block ×3, first 2 shown]
	v_add_co_u32 v23, s12, s42, v5
	s_delay_alu instid0(VALU_DEP_1) | instskip(NEXT) | instid1(VALU_DEP_1)
	v_add_co_ci_u32_e64 v24, null, s43, 0, s12
	s_waitcnt_vscnt null, 0x0
	s_barrier
	buffer_gl0_inv
	v_cmp_gt_i64_e64 s12, s[44:45], v[23:24]
	s_delay_alu instid0(VALU_DEP_1)
	s_and_saveexec_b32 s13, s12
	s_cbranch_execz .LBB114_26
; %bb.23:                               ;   in Loop: Header=BB114_22 Depth=2
	v_mov_b32_e32 v25, 0
	v_mov_b32_e32 v26, 0
	s_and_saveexec_b32 s50, s56
	s_cbranch_execz .LBB114_25
; %bb.24:                               ;   in Loop: Header=BB114_22 Depth=2
	v_mul_lo_u32 v27, v24, s18
	v_mul_lo_u32 v28, v23, s19
	v_mad_u64_u32 v[25:26], null, v23, s18, 0
	s_delay_alu instid0(VALU_DEP_1) | instskip(NEXT) | instid1(VALU_DEP_1)
	v_add3_u32 v26, v26, v28, v27
	v_lshlrev_b64 v[25:26], 3, v[25:26]
	s_delay_alu instid0(VALU_DEP_1) | instskip(NEXT) | instid1(VALU_DEP_2)
	v_add_co_u32 v25, vcc_lo, v8, v25
	v_add_co_ci_u32_e32 v26, vcc_lo, v41, v26, vcc_lo
	global_load_b64 v[25:26], v[25:26], off
.LBB114_25:                             ;   in Loop: Header=BB114_22 Depth=2
	s_or_b32 exec_lo, exec_lo, s50
	s_waitcnt vmcnt(0)
	ds_store_b64 v40, v[25:26]
.LBB114_26:                             ;   in Loop: Header=BB114_22 Depth=2
	s_or_b32 exec_lo, exec_lo, s13
	v_mov_b32_e32 v25, 0
	v_lshlrev_b64 v[23:24], 3, v[23:24]
	v_mov_b32_e32 v26, 0
	s_waitcnt lgkmcnt(0)
	s_barrier
	buffer_gl0_inv
	s_and_saveexec_b32 s61, s12
	s_cbranch_execz .LBB114_53
; %bb.27:                               ;   in Loop: Header=BB114_22 Depth=2
	v_add_co_u32 v25, vcc_lo, s20, v23
	v_add_co_ci_u32_e32 v26, vcc_lo, s21, v24, vcc_lo
	s_and_b32 vcc_lo, exec_lo, s11
	global_load_b64 v[27:28], v[25:26], off
	s_cbranch_vccz .LBB114_29
; %bb.28:                               ;   in Loop: Header=BB114_22 Depth=2
	v_add_co_u32 v25, vcc_lo, s46, v23
	v_add_co_ci_u32_e32 v26, vcc_lo, s47, v24, vcc_lo
	s_mov_b32 s13, 0
	global_load_b64 v[25:26], v[25:26], off
	s_branch .LBB114_30
.LBB114_29:                             ;   in Loop: Header=BB114_22 Depth=2
	s_mov_b32 s13, -1
                                        ; implicit-def: $vgpr25_vgpr26
.LBB114_30:                             ;   in Loop: Header=BB114_22 Depth=2
	s_waitcnt vmcnt(0)
	v_sub_co_u32 v27, vcc_lo, v27, s28
	v_subrev_co_ci_u32_e32 v28, vcc_lo, 0, v28, vcc_lo
	s_and_not1_b32 vcc_lo, exec_lo, s13
	s_delay_alu instid0(VALU_DEP_1)
	v_lshlrev_b64 v[27:28], 3, v[27:28]
	s_cbranch_vccnz .LBB114_32
; %bb.31:                               ;   in Loop: Header=BB114_22 Depth=2
	s_delay_alu instid0(VALU_DEP_1) | instskip(NEXT) | instid1(VALU_DEP_2)
	v_add_co_u32 v25, vcc_lo, s24, v27
	v_add_co_ci_u32_e32 v26, vcc_lo, s25, v28, vcc_lo
	global_load_b64 v[25:26], v[25:26], off
	s_waitcnt vmcnt(0)
	v_sub_co_u32 v25, vcc_lo, v25, s29
	v_subrev_co_ci_u32_e32 v26, vcc_lo, 0, v26, vcc_lo
.LBB114_32:                             ;   in Loop: Header=BB114_22 Depth=2
	s_delay_alu instid0(VALU_DEP_1) | instskip(NEXT) | instid1(VALU_DEP_2)
	v_add_co_u32 v27, vcc_lo, s57, v27
	v_add_co_ci_u32_e32 v28, vcc_lo, s58, v28, vcc_lo
	s_mov_b32 s62, exec_lo
	global_load_b64 v[27:28], v[27:28], off
	s_waitcnt vmcnt(0)
	v_sub_co_u32 v27, vcc_lo, v27, s29
	v_subrev_co_ci_u32_e32 v28, vcc_lo, 0, v28, vcc_lo
	s_delay_alu instid0(VALU_DEP_1)
	v_cmpx_lt_i64_e64 v[25:26], v[27:28]
	s_cbranch_execz .LBB114_52
; %bb.33:                               ;   in Loop: Header=BB114_22 Depth=2
	v_mad_u64_u32 v[33:34], null, s16, v25, v[9:10]
	v_mul_lo_u32 v31, s16, v26
	v_mul_lo_u32 v32, s17, v25
	v_mad_u64_u32 v[29:30], null, s40, v25, v[11:12]
	v_mul_lo_u32 v35, s40, v26
	v_mul_lo_u32 v36, s41, v25
	;; [unrolled: 1-line block ×3, first 2 shown]
	s_mov_b32 s63, 0
	v_add3_u32 v34, v32, v34, v31
	v_mad_u64_u32 v[31:32], null, s38, v33, s[48:49]
	s_delay_alu instid0(VALU_DEP_4) | instskip(NEXT) | instid1(VALU_DEP_3)
	v_add3_u32 v30, v36, v30, v35
	v_mul_lo_u32 v33, s38, v34
	s_delay_alu instid0(VALU_DEP_1)
	v_add3_u32 v32, v37, v32, v33
	v_dual_mov_b32 v34, v26 :: v_dual_mov_b32 v33, v25
	s_branch .LBB114_36
.LBB114_34:                             ;   in Loop: Header=BB114_36 Depth=3
	s_or_b32 exec_lo, exec_lo, s65
	s_delay_alu instid0(SALU_CYCLE_1)
	s_or_b32 s13, s13, exec_lo
.LBB114_35:                             ;   in Loop: Header=BB114_36 Depth=3
	s_or_b32 exec_lo, exec_lo, s64
	v_add_co_u32 v25, vcc_lo, v25, 1
	v_add_co_ci_u32_e32 v26, vcc_lo, 0, v26, vcc_lo
	s_xor_b32 s50, s13, -1
	v_add_co_u32 v31, s13, v31, s40
	s_delay_alu instid0(VALU_DEP_2)
	v_cmp_ge_i64_e32 vcc_lo, v[25:26], v[27:28]
	v_add_co_ci_u32_e64 v32, s13, s41, v32, s13
	s_or_b32 s13, s50, vcc_lo
	v_add_co_u32 v29, vcc_lo, v29, s40
	v_add_co_ci_u32_e32 v30, vcc_lo, s41, v30, vcc_lo
	s_and_b32 s13, exec_lo, s13
	s_delay_alu instid0(SALU_CYCLE_1) | instskip(NEXT) | instid1(SALU_CYCLE_1)
	s_or_b32 s63, s13, s63
	s_and_not1_b32 exec_lo, exec_lo, s63
	s_cbranch_execz .LBB114_51
.LBB114_36:                             ;   Parent Loop BB114_13 Depth=1
                                        ;     Parent Loop BB114_22 Depth=2
                                        ; =>    This Loop Header: Depth=3
                                        ;         Child Loop BB114_48 Depth 4
                                        ;         Child Loop BB114_44 Depth 4
                                        ;         Child Loop BB114_50 Depth 4
	v_lshlrev_b64 v[35:36], 3, v[25:26]
	s_delay_alu instid0(VALU_DEP_1) | instskip(NEXT) | instid1(VALU_DEP_2)
	v_add_co_u32 v35, vcc_lo, s26, v35
	v_add_co_ci_u32_e32 v36, vcc_lo, s27, v36, vcc_lo
	global_load_b64 v[35:36], v[35:36], off
	s_waitcnt vmcnt(0)
	v_sub_co_u32 v35, vcc_lo, v35, s29
	v_subrev_co_ci_u32_e32 v36, vcc_lo, 0, v36, vcc_lo
	s_delay_alu instid0(VALU_DEP_1) | instskip(SKIP_1) | instid1(VALU_DEP_2)
	v_cmp_lt_i64_e64 s13, v[35:36], v[17:18]
	v_cmp_ge_i64_e32 vcc_lo, v[35:36], v[19:20]
	s_or_b32 s50, s13, vcc_lo
                                        ; implicit-def: $sgpr13
	s_delay_alu instid0(SALU_CYCLE_1) | instskip(NEXT) | instid1(SALU_CYCLE_1)
	s_and_saveexec_b32 s51, s50
	s_xor_b32 s50, exec_lo, s51
	s_cbranch_execz .LBB114_40
; %bb.37:                               ;   in Loop: Header=BB114_36 Depth=3
	s_mov_b32 s51, -1
	s_and_saveexec_b32 s13, vcc_lo
; %bb.38:                               ;   in Loop: Header=BB114_36 Depth=3
	v_cmp_lt_i64_e32 vcc_lo, v[35:36], v[21:22]
	v_dual_mov_b32 v34, v26 :: v_dual_mov_b32 v33, v25
	s_xor_b32 s51, exec_lo, -1
	v_dual_cndmask_b32 v22, v22, v36 :: v_dual_cndmask_b32 v21, v21, v35
; %bb.39:                               ;   in Loop: Header=BB114_36 Depth=3
	s_or_b32 exec_lo, exec_lo, s13
	s_delay_alu instid0(SALU_CYCLE_1)
	s_and_b32 s13, s51, exec_lo
                                        ; implicit-def: $vgpr35_vgpr36
.LBB114_40:                             ;   in Loop: Header=BB114_36 Depth=3
	s_and_not1_saveexec_b32 s64, s50
	s_cbranch_execz .LBB114_35
; %bb.41:                               ;   in Loop: Header=BB114_36 Depth=3
	v_sub_nc_u32_e32 v35, v35, v17
	s_delay_alu instid0(VALU_DEP_1)
	v_lshlrev_b32_e32 v63, 2, v35
	ds_store_b32 v63, v62 offset:10240
	s_and_saveexec_b32 s65, s52
	s_cbranch_execz .LBB114_34
; %bb.42:                               ;   in Loop: Header=BB114_36 Depth=3
	s_and_not1_b32 vcc_lo, exec_lo, s53
	s_cbranch_vccnz .LBB114_46
; %bb.43:                               ;   in Loop: Header=BB114_36 Depth=3
	v_dual_mov_b32 v35, 0 :: v_dual_mov_b32 v64, v58
	v_mov_b32_e32 v38, v32
	v_dual_mov_b32 v36, 0 :: v_dual_mov_b32 v37, v31
	s_mov_b64 s[50:51], s[38:39]
.LBB114_44:                             ;   Parent Loop BB114_13 Depth=1
                                        ;     Parent Loop BB114_22 Depth=2
                                        ;       Parent Loop BB114_36 Depth=3
                                        ; =>      This Inner Loop Header: Depth=4
	global_load_b64 v[65:66], v[37:38], off
	ds_load_b64 v[67:68], v64
	v_add_co_u32 v37, vcc_lo, v37, 8
	v_add_co_ci_u32_e32 v38, vcc_lo, 0, v38, vcc_lo
	s_add_u32 s50, s50, -1
	v_add_nc_u32_e32 v64, 16, v64
	s_addc_u32 s51, s51, -1
	s_delay_alu instid0(SALU_CYCLE_1)
	s_cmp_lg_u64 s[50:51], 0
	s_waitcnt vmcnt(0) lgkmcnt(0)
	v_fma_f64 v[35:36], v[67:68], v[65:66], v[35:36]
	s_cbranch_scc1 .LBB114_44
; %bb.45:                               ;   in Loop: Header=BB114_36 Depth=3
	s_branch .LBB114_49
.LBB114_46:                             ;   in Loop: Header=BB114_36 Depth=3
                                        ; implicit-def: $vgpr35_vgpr36
	s_cbranch_execz .LBB114_49
; %bb.47:                               ;   in Loop: Header=BB114_36 Depth=3
	v_dual_mov_b32 v35, 0 :: v_dual_mov_b32 v64, v59
	v_mov_b32_e32 v38, v30
	v_dual_mov_b32 v36, 0 :: v_dual_mov_b32 v37, v29
	s_mov_b64 s[50:51], s[38:39]
.LBB114_48:                             ;   Parent Loop BB114_13 Depth=1
                                        ;     Parent Loop BB114_22 Depth=2
                                        ;       Parent Loop BB114_36 Depth=3
                                        ; =>      This Inner Loop Header: Depth=4
	global_load_b64 v[65:66], v[37:38], off
	ds_load_b64 v[67:68], v64
	v_add_co_u32 v37, vcc_lo, v37, s16
	s_add_u32 s50, s50, -1
	v_add_co_ci_u32_e32 v38, vcc_lo, s17, v38, vcc_lo
	v_add_nc_u32_e32 v64, 8, v64
	s_addc_u32 s51, s51, -1
	s_delay_alu instid0(SALU_CYCLE_1)
	s_cmp_eq_u64 s[50:51], 0
	s_waitcnt vmcnt(0) lgkmcnt(0)
	v_fma_f64 v[35:36], v[67:68], v[65:66], v[35:36]
	s_cbranch_scc0 .LBB114_48
.LBB114_49:                             ;   in Loop: Header=BB114_36 Depth=3
	s_delay_alu instid0(VALU_DEP_1) | instskip(SKIP_2) | instid1(VALU_DEP_1)
	v_mul_f64 v[35:36], v[1:2], v[35:36]
	v_or3_b32 v37, v63, v42, v7
	s_mov_b32 s50, 0
	v_lshlrev_b32_e32 v63, 3, v37
	ds_load_b64 v[37:38], v63
.LBB114_50:                             ;   Parent Loop BB114_13 Depth=1
                                        ;     Parent Loop BB114_22 Depth=2
                                        ;       Parent Loop BB114_36 Depth=3
                                        ; =>      This Inner Loop Header: Depth=4
	s_waitcnt lgkmcnt(0)
	v_add_f64 v[64:65], v[37:38], v[35:36]
	ds_cmpstore_rtn_b64 v[64:65], v63, v[64:65], v[37:38]
	s_waitcnt lgkmcnt(0)
	v_cmp_eq_u64_e32 vcc_lo, v[64:65], v[37:38]
	v_dual_mov_b32 v37, v64 :: v_dual_mov_b32 v38, v65
	s_or_b32 s50, vcc_lo, s50
	s_delay_alu instid0(SALU_CYCLE_1)
	s_and_not1_b32 exec_lo, exec_lo, s50
	s_cbranch_execnz .LBB114_50
	s_branch .LBB114_34
.LBB114_51:                             ;   in Loop: Header=BB114_22 Depth=2
	s_or_b32 exec_lo, exec_lo, s63
	v_dual_mov_b32 v25, v33 :: v_dual_mov_b32 v26, v34
.LBB114_52:                             ;   in Loop: Header=BB114_22 Depth=2
	s_or_b32 exec_lo, exec_lo, s62
.LBB114_53:                             ;   in Loop: Header=BB114_22 Depth=2
	s_delay_alu instid0(SALU_CYCLE_1)
	s_or_b32 exec_lo, exec_lo, s61
	s_waitcnt lgkmcnt(0)
	s_barrier
	buffer_gl0_inv
	s_and_saveexec_b32 s13, s12
	s_cbranch_execz .LBB114_21
; %bb.54:                               ;   in Loop: Header=BB114_22 Depth=2
	v_add_co_u32 v23, vcc_lo, s46, v23
	v_add_co_ci_u32_e32 v24, vcc_lo, s47, v24, vcc_lo
	global_store_b64 v[23:24], v[25:26], off
	s_branch .LBB114_21
.LBB114_55:                             ;   in Loop: Header=BB114_13 Depth=1
	s_and_not1_b32 vcc_lo, exec_lo, s33
	s_cbranch_vccnz .LBB114_68
; %bb.56:                               ;   in Loop: Header=BB114_13 Depth=1
	s_load_b128 s[64:67], s[22:23], 0x0
	s_mov_b32 s42, exec_lo
	s_waitcnt lgkmcnt(0)
	v_add_co_u32 v23, vcc_lo, s64, v43
	v_add_co_ci_u32_e32 v24, vcc_lo, s65, v44, vcc_lo
	s_sub_u32 s12, s66, s54
	s_subb_u32 s13, s67, 0
	s_delay_alu instid0(VALU_DEP_1) | instid1(SALU_CYCLE_1)
	v_cmpx_gt_i64_e64 s[12:13], v[23:24]
	s_cbranch_execz .LBB114_67
; %bb.57:                               ;   in Loop: Header=BB114_13 Depth=1
	s_mov_b32 s43, 0
	s_branch .LBB114_60
.LBB114_58:                             ;   in Loop: Header=BB114_60 Depth=2
	s_or_b32 exec_lo, exec_lo, s51
	s_delay_alu instid0(SALU_CYCLE_1)
	s_or_b32 s11, s11, exec_lo
.LBB114_59:                             ;   in Loop: Header=BB114_60 Depth=2
	s_or_b32 exec_lo, exec_lo, s50
	v_add_co_u32 v23, vcc_lo, v23, 64
	v_add_co_ci_u32_e32 v24, vcc_lo, 0, v24, vcc_lo
	s_xor_b32 s11, s11, -1
	s_delay_alu instid0(VALU_DEP_1) | instskip(SKIP_1) | instid1(SALU_CYCLE_1)
	v_cmp_le_i64_e32 vcc_lo, s[12:13], v[23:24]
	s_or_b32 s11, s11, vcc_lo
	s_and_b32 s11, exec_lo, s11
	s_delay_alu instid0(SALU_CYCLE_1) | instskip(NEXT) | instid1(SALU_CYCLE_1)
	s_or_b32 s43, s11, s43
	s_and_not1_b32 exec_lo, exec_lo, s43
	s_cbranch_execz .LBB114_66
.LBB114_60:                             ;   Parent Loop BB114_13 Depth=1
                                        ; =>  This Loop Header: Depth=2
                                        ;       Child Loop BB114_65 Depth 3
	v_lshlrev_b64 v[25:26], 3, v[23:24]
	s_delay_alu instid0(VALU_DEP_1) | instskip(NEXT) | instid1(VALU_DEP_2)
	v_add_co_u32 v25, vcc_lo, s14, v25
	v_add_co_ci_u32_e32 v26, vcc_lo, s15, v26, vcc_lo
	global_load_b64 v[25:26], v[25:26], off
	s_waitcnt vmcnt(0)
	v_sub_co_u32 v25, vcc_lo, v25, s54
	v_subrev_co_ci_u32_e32 v26, vcc_lo, 0, v26, vcc_lo
	s_delay_alu instid0(VALU_DEP_1)
	v_cmp_lt_i64_e32 vcc_lo, v[25:26], v[19:20]
	v_cmp_lt_i64_e64 s11, v[25:26], v[17:18]
	s_xor_b32 s50, vcc_lo, -1
	s_delay_alu instid0(VALU_DEP_1) | instid1(SALU_CYCLE_1)
	s_or_b32 s50, s11, s50
                                        ; implicit-def: $sgpr11
	s_delay_alu instid0(SALU_CYCLE_1) | instskip(NEXT) | instid1(SALU_CYCLE_1)
	s_and_saveexec_b32 s51, s50
	s_xor_b32 s50, exec_lo, s51
; %bb.61:                               ;   in Loop: Header=BB114_60 Depth=2
	v_cmp_lt_i64_e64 s11, v[25:26], v[21:22]
	s_delay_alu instid0(VALU_DEP_1) | instskip(SKIP_2) | instid1(VALU_DEP_1)
	v_cndmask_b32_e64 v25, v21, v25, s11
	v_cndmask_b32_e64 v26, v22, v26, s11
	s_and_b32 s11, vcc_lo, exec_lo
	v_dual_cndmask_b32 v21, v25, v21 :: v_dual_cndmask_b32 v22, v26, v22
                                        ; implicit-def: $vgpr25
; %bb.62:                               ;   in Loop: Header=BB114_60 Depth=2
	s_and_not1_saveexec_b32 s50, s50
	s_cbranch_execz .LBB114_59
; %bb.63:                               ;   in Loop: Header=BB114_60 Depth=2
	v_sub_nc_u32_e32 v25, v25, v17
	s_delay_alu instid0(VALU_DEP_1)
	v_lshlrev_b32_e32 v27, 2, v25
	ds_store_b32 v27, v62 offset:10240
	s_and_saveexec_b32 s51, s56
	s_cbranch_execz .LBB114_58
; %bb.64:                               ;   in Loop: Header=BB114_60 Depth=2
	v_mul_lo_u32 v28, v24, s18
	v_mul_lo_u32 v29, v23, s19
	v_mad_u64_u32 v[25:26], null, v23, s18, 0
	v_or3_b32 v27, v27, v42, v7
	s_mov_b32 s61, 0
	s_delay_alu instid0(VALU_DEP_2) | instskip(NEXT) | instid1(VALU_DEP_2)
	v_add3_u32 v26, v26, v29, v28
	v_lshlrev_b32_e32 v29, 3, v27
	s_delay_alu instid0(VALU_DEP_2)
	v_lshlrev_b64 v[25:26], 3, v[25:26]
	ds_load_b64 v[27:28], v29
	v_add_co_u32 v25, vcc_lo, v57, v25
	v_add_co_ci_u32_e32 v26, vcc_lo, v56, v26, vcc_lo
	global_load_b64 v[25:26], v[25:26], off
	s_waitcnt vmcnt(0)
	v_mul_f64 v[25:26], v[3:4], v[25:26]
.LBB114_65:                             ;   Parent Loop BB114_13 Depth=1
                                        ;     Parent Loop BB114_60 Depth=2
                                        ; =>    This Inner Loop Header: Depth=3
	s_waitcnt lgkmcnt(0)
	s_delay_alu instid0(VALU_DEP_1)
	v_add_f64 v[30:31], v[27:28], v[25:26]
	ds_cmpstore_rtn_b64 v[30:31], v29, v[30:31], v[27:28]
	s_waitcnt lgkmcnt(0)
	v_cmp_eq_u64_e32 vcc_lo, v[30:31], v[27:28]
	v_dual_mov_b32 v27, v30 :: v_dual_mov_b32 v28, v31
	s_or_b32 s61, vcc_lo, s61
	s_delay_alu instid0(SALU_CYCLE_1)
	s_and_not1_b32 exec_lo, exec_lo, s61
	s_cbranch_execnz .LBB114_65
	s_branch .LBB114_58
.LBB114_66:                             ;   in Loop: Header=BB114_13 Depth=1
	s_or_b32 exec_lo, exec_lo, s43
.LBB114_67:                             ;   in Loop: Header=BB114_13 Depth=1
	s_delay_alu instid0(SALU_CYCLE_1)
	s_or_b32 exec_lo, exec_lo, s42
.LBB114_68:                             ;   in Loop: Header=BB114_13 Depth=1
	s_and_saveexec_b32 s11, s2
	s_cbranch_execz .LBB114_73
; %bb.69:                               ;   in Loop: Header=BB114_13 Depth=1
	s_mov_b32 s42, exec_lo
	s_mov_b64 s[12:13], -1
.LBB114_70:                             ;   Parent Loop BB114_13 Depth=1
                                        ; =>  This Inner Loop Header: Depth=2
	s_ctz_i32_b32 s43, s42
	s_delay_alu instid0(SALU_CYCLE_1) | instskip(SKIP_1) | instid1(VALU_DEP_1)
	v_readlane_b32 s51, v22, s43
	v_readlane_b32 s50, v21, s43
	v_cmp_lt_u64_e64 s61, s[12:13], s[50:51]
	s_delay_alu instid0(VALU_DEP_1) | instskip(SKIP_3) | instid1(SALU_CYCLE_1)
	s_and_b32 s61, s61, exec_lo
	s_cselect_b32 s13, s13, s51
	s_cselect_b32 s12, s12, s50
	s_lshl_b32 s43, 1, s43
	s_and_not1_b32 s42, s42, s43
	s_delay_alu instid0(SALU_CYCLE_1)
	s_cmp_lg_u32 s42, 0
	s_cbranch_scc1 .LBB114_70
; %bb.71:                               ;   in Loop: Header=BB114_13 Depth=1
	v_mbcnt_lo_u32_b32 v19, exec_lo, 0
	s_mov_b32 s42, exec_lo
	s_delay_alu instid0(VALU_DEP_1)
	v_cmpx_eq_u32_e32 0, v19
	s_xor_b32 s42, exec_lo, s42
	s_cbranch_execz .LBB114_73
; %bb.72:                               ;   in Loop: Header=BB114_13 Depth=1
	v_dual_mov_b32 v20, s13 :: v_dual_mov_b32 v19, s12
	ds_min_u64 v6, v[19:20] offset:11264
.LBB114_73:                             ;   in Loop: Header=BB114_13 Depth=1
	s_or_b32 exec_lo, exec_lo, s11
	s_waitcnt lgkmcnt(0)
	s_waitcnt_vscnt null, 0x0
	s_barrier
	buffer_gl0_inv
	ds_load_b32 v19, v45
	s_waitcnt lgkmcnt(0)
	s_barrier
	buffer_gl0_inv
	s_and_saveexec_b32 s11, s3
	s_cbranch_execz .LBB114_75
; %bb.74:                               ;   in Loop: Header=BB114_13 Depth=1
	ds_load_b32 v20, v46
	s_waitcnt lgkmcnt(0)
	v_add_nc_u32_e32 v19, v20, v19
.LBB114_75:                             ;   in Loop: Header=BB114_13 Depth=1
	s_or_b32 exec_lo, exec_lo, s11
	s_barrier
	buffer_gl0_inv
	ds_store_b32 v45, v19
	s_waitcnt lgkmcnt(0)
	s_barrier
	buffer_gl0_inv
	s_and_saveexec_b32 s11, s4
	s_cbranch_execz .LBB114_77
; %bb.76:                               ;   in Loop: Header=BB114_13 Depth=1
	ds_load_b32 v20, v47
	s_waitcnt lgkmcnt(0)
	v_add_nc_u32_e32 v19, v20, v19
.LBB114_77:                             ;   in Loop: Header=BB114_13 Depth=1
	s_or_b32 exec_lo, exec_lo, s11
	s_barrier
	buffer_gl0_inv
	ds_store_b32 v45, v19
	;; [unrolled: 14-line block ×8, first 2 shown]
	s_waitcnt lgkmcnt(0)
	s_barrier
	buffer_gl0_inv
	ds_load_b32 v20, v6 offset:11260
	v_mov_b32_e32 v21, 0
	s_and_saveexec_b32 s11, s31
	s_cbranch_execz .LBB114_91
; %bb.90:                               ;   in Loop: Header=BB114_13 Depth=1
	ds_load_b32 v21, v46
.LBB114_91:                             ;   in Loop: Header=BB114_13 Depth=1
	s_or_b32 exec_lo, exec_lo, s11
	s_waitcnt lgkmcnt(0)
	v_cmp_eq_u32_e32 vcc_lo, v19, v21
	s_barrier
	buffer_gl0_inv
	s_and_b32 s12, s31, vcc_lo
	s_delay_alu instid0(SALU_CYCLE_1)
	s_and_saveexec_b32 s11, s12
	s_cbranch_execz .LBB114_93
; %bb.92:                               ;   in Loop: Header=BB114_13 Depth=1
	ds_store_b32 v45, v6
.LBB114_93:                             ;   in Loop: Header=BB114_13 Depth=1
	s_or_b32 exec_lo, exec_lo, s11
	v_add_co_u32 v19, vcc_lo, v13, -1
	v_add_co_ci_u32_e32 v21, vcc_lo, -1, v14, vcc_lo
	v_add_co_u32 v22, vcc_lo, s30, v17
	v_add_co_ci_u32_e32 v23, vcc_lo, 0, v18, vcc_lo
	v_dual_mov_b32 v24, v61 :: v_dual_mov_b32 v25, v60
	v_dual_mov_b32 v18, v6 :: v_dual_mov_b32 v17, v5
	s_mov_b32 s11, 0
	s_waitcnt lgkmcnt(0)
	s_barrier
	buffer_gl0_inv
	s_branch .LBB114_95
.LBB114_94:                             ;   in Loop: Header=BB114_95 Depth=2
	s_or_b32 exec_lo, exec_lo, s12
	v_add_co_u32 v17, vcc_lo, v17, 64
	v_add_co_ci_u32_e32 v18, vcc_lo, 0, v18, vcc_lo
	v_add_nc_u32_e32 v25, 0x800, v25
	s_delay_alu instid0(VALU_DEP_3) | instskip(SKIP_1) | instid1(VALU_DEP_2)
	v_subrev_nc_u32_e32 v26, 64, v17
	v_add_nc_u32_e32 v24, 0x100, v24
	v_cmp_lt_u32_e32 vcc_lo, 0xbf, v26
	s_or_b32 s11, vcc_lo, s11
	s_delay_alu instid0(SALU_CYCLE_1)
	s_and_not1_b32 exec_lo, exec_lo, s11
	s_cbranch_execz .LBB114_12
.LBB114_95:                             ;   Parent Loop BB114_13 Depth=1
                                        ; =>  This Inner Loop Header: Depth=2
	ds_load_b32 v26, v24
	s_mov_b32 s12, exec_lo
	s_waitcnt lgkmcnt(0)
	v_cmpx_ne_u32_e32 0, v26
	s_cbranch_execz .LBB114_94
; %bb.96:                               ;   in Loop: Header=BB114_95 Depth=2
	v_ashrrev_i32_e32 v27, 31, v26
	v_add_co_u32 v28, vcc_lo, v13, v26
	s_delay_alu instid0(VALU_DEP_2) | instskip(SKIP_2) | instid1(VALU_DEP_3)
	v_add_co_ci_u32_e32 v29, vcc_lo, v14, v27, vcc_lo
	v_add_co_u32 v30, vcc_lo, v22, v17
	v_add_co_ci_u32_e32 v31, vcc_lo, v23, v18, vcc_lo
	v_lshlrev_b64 v[28:29], 3, v[28:29]
	s_delay_alu instid0(VALU_DEP_1) | instskip(NEXT) | instid1(VALU_DEP_2)
	v_add_co_u32 v28, vcc_lo, s59, v28
	v_add_co_ci_u32_e32 v29, vcc_lo, s60, v29, vcc_lo
	global_store_b64 v[28:29], v[30:31], off
	s_and_b32 exec_lo, exec_lo, s56
	s_cbranch_execz .LBB114_94
; %bb.97:                               ;   in Loop: Header=BB114_95 Depth=2
	v_add_co_u32 v28, vcc_lo, v19, v26
	v_add_co_ci_u32_e32 v26, vcc_lo, v21, v27, vcc_lo
	s_delay_alu instid0(VALU_DEP_2) | instskip(NEXT) | instid1(VALU_DEP_2)
	v_mul_lo_u32 v31, v28, s19
	v_mul_lo_u32 v30, v26, s18
	v_mad_u64_u32 v[26:27], null, v28, s18, 0
	ds_load_b64 v[28:29], v25
	v_add3_u32 v27, v27, v31, v30
	s_delay_alu instid0(VALU_DEP_1) | instskip(NEXT) | instid1(VALU_DEP_1)
	v_lshlrev_b64 v[26:27], 3, v[26:27]
	v_add_co_u32 v26, vcc_lo, v55, v26
	s_delay_alu instid0(VALU_DEP_2)
	v_add_co_ci_u32_e32 v27, vcc_lo, v54, v27, vcc_lo
	s_waitcnt lgkmcnt(0)
	global_store_b64 v[26:27], v[28:29], off
	s_branch .LBB114_94
.LBB114_98:
	s_endpgm
	.section	.rodata,"a",@progbits
	.p2align	6, 0x0
	.amdhsa_kernel _ZN9rocsparseL38bsrgemm_block_per_row_atomic_multipassILj256ELj256ELj2ElldEEv20rocsparse_direction_T3_S2_PKS2_S4_NS_24const_host_device_scalarIT4_EEPKT2_S4_PKS6_SA_S4_SC_S7_SA_S4_SC_SA_PS2_PS6_PS8_21rocsparse_index_base_SG_SG_SG_bbb
		.amdhsa_group_segment_fixed_size 11272
		.amdhsa_private_segment_fixed_size 0
		.amdhsa_kernarg_size 180
		.amdhsa_user_sgpr_count 15
		.amdhsa_user_sgpr_dispatch_ptr 0
		.amdhsa_user_sgpr_queue_ptr 0
		.amdhsa_user_sgpr_kernarg_segment_ptr 1
		.amdhsa_user_sgpr_dispatch_id 0
		.amdhsa_user_sgpr_private_segment_size 0
		.amdhsa_wavefront_size32 1
		.amdhsa_uses_dynamic_stack 0
		.amdhsa_enable_private_segment 0
		.amdhsa_system_sgpr_workgroup_id_x 1
		.amdhsa_system_sgpr_workgroup_id_y 0
		.amdhsa_system_sgpr_workgroup_id_z 0
		.amdhsa_system_sgpr_workgroup_info 0
		.amdhsa_system_vgpr_workitem_id 0
		.amdhsa_next_free_vgpr 69
		.amdhsa_next_free_sgpr 68
		.amdhsa_reserve_vcc 1
		.amdhsa_float_round_mode_32 0
		.amdhsa_float_round_mode_16_64 0
		.amdhsa_float_denorm_mode_32 3
		.amdhsa_float_denorm_mode_16_64 3
		.amdhsa_dx10_clamp 1
		.amdhsa_ieee_mode 1
		.amdhsa_fp16_overflow 0
		.amdhsa_workgroup_processor_mode 1
		.amdhsa_memory_ordered 1
		.amdhsa_forward_progress 0
		.amdhsa_shared_vgpr_count 0
		.amdhsa_exception_fp_ieee_invalid_op 0
		.amdhsa_exception_fp_denorm_src 0
		.amdhsa_exception_fp_ieee_div_zero 0
		.amdhsa_exception_fp_ieee_overflow 0
		.amdhsa_exception_fp_ieee_underflow 0
		.amdhsa_exception_fp_ieee_inexact 0
		.amdhsa_exception_int_div_zero 0
	.end_amdhsa_kernel
	.section	.text._ZN9rocsparseL38bsrgemm_block_per_row_atomic_multipassILj256ELj256ELj2ElldEEv20rocsparse_direction_T3_S2_PKS2_S4_NS_24const_host_device_scalarIT4_EEPKT2_S4_PKS6_SA_S4_SC_S7_SA_S4_SC_SA_PS2_PS6_PS8_21rocsparse_index_base_SG_SG_SG_bbb,"axG",@progbits,_ZN9rocsparseL38bsrgemm_block_per_row_atomic_multipassILj256ELj256ELj2ElldEEv20rocsparse_direction_T3_S2_PKS2_S4_NS_24const_host_device_scalarIT4_EEPKT2_S4_PKS6_SA_S4_SC_S7_SA_S4_SC_SA_PS2_PS6_PS8_21rocsparse_index_base_SG_SG_SG_bbb,comdat
.Lfunc_end114:
	.size	_ZN9rocsparseL38bsrgemm_block_per_row_atomic_multipassILj256ELj256ELj2ElldEEv20rocsparse_direction_T3_S2_PKS2_S4_NS_24const_host_device_scalarIT4_EEPKT2_S4_PKS6_SA_S4_SC_S7_SA_S4_SC_SA_PS2_PS6_PS8_21rocsparse_index_base_SG_SG_SG_bbb, .Lfunc_end114-_ZN9rocsparseL38bsrgemm_block_per_row_atomic_multipassILj256ELj256ELj2ElldEEv20rocsparse_direction_T3_S2_PKS2_S4_NS_24const_host_device_scalarIT4_EEPKT2_S4_PKS6_SA_S4_SC_S7_SA_S4_SC_SA_PS2_PS6_PS8_21rocsparse_index_base_SG_SG_SG_bbb
                                        ; -- End function
	.section	.AMDGPU.csdata,"",@progbits
; Kernel info:
; codeLenInByte = 4332
; NumSgprs: 70
; NumVgprs: 69
; ScratchSize: 0
; MemoryBound: 0
; FloatMode: 240
; IeeeMode: 1
; LDSByteSize: 11272 bytes/workgroup (compile time only)
; SGPRBlocks: 8
; VGPRBlocks: 8
; NumSGPRsForWavesPerEU: 70
; NumVGPRsForWavesPerEU: 69
; Occupancy: 16
; WaveLimiterHint : 1
; COMPUTE_PGM_RSRC2:SCRATCH_EN: 0
; COMPUTE_PGM_RSRC2:USER_SGPR: 15
; COMPUTE_PGM_RSRC2:TRAP_HANDLER: 0
; COMPUTE_PGM_RSRC2:TGID_X_EN: 1
; COMPUTE_PGM_RSRC2:TGID_Y_EN: 0
; COMPUTE_PGM_RSRC2:TGID_Z_EN: 0
; COMPUTE_PGM_RSRC2:TIDIG_COMP_CNT: 0
	.section	.text._ZN9rocsparseL23bsrgemm_fill_wf_per_rowILj256ELj64ELj8ELj137ELj4ElldEEv20rocsparse_direction_T5_S2_S2_PKS2_S4_NS_24const_host_device_scalarIT6_EEPKT4_S4_PKS6_SA_S4_SC_S7_SA_S4_SC_SA_PS2_PS6_21rocsparse_index_base_SF_SF_SF_bbb,"axG",@progbits,_ZN9rocsparseL23bsrgemm_fill_wf_per_rowILj256ELj64ELj8ELj137ELj4ElldEEv20rocsparse_direction_T5_S2_S2_PKS2_S4_NS_24const_host_device_scalarIT6_EEPKT4_S4_PKS6_SA_S4_SC_S7_SA_S4_SC_SA_PS2_PS6_21rocsparse_index_base_SF_SF_SF_bbb,comdat
	.globl	_ZN9rocsparseL23bsrgemm_fill_wf_per_rowILj256ELj64ELj8ELj137ELj4ElldEEv20rocsparse_direction_T5_S2_S2_PKS2_S4_NS_24const_host_device_scalarIT6_EEPKT4_S4_PKS6_SA_S4_SC_S7_SA_S4_SC_SA_PS2_PS6_21rocsparse_index_base_SF_SF_SF_bbb ; -- Begin function _ZN9rocsparseL23bsrgemm_fill_wf_per_rowILj256ELj64ELj8ELj137ELj4ElldEEv20rocsparse_direction_T5_S2_S2_PKS2_S4_NS_24const_host_device_scalarIT6_EEPKT4_S4_PKS6_SA_S4_SC_S7_SA_S4_SC_SA_PS2_PS6_21rocsparse_index_base_SF_SF_SF_bbb
	.p2align	8
	.type	_ZN9rocsparseL23bsrgemm_fill_wf_per_rowILj256ELj64ELj8ELj137ELj4ElldEEv20rocsparse_direction_T5_S2_S2_PKS2_S4_NS_24const_host_device_scalarIT6_EEPKT4_S4_PKS6_SA_S4_SC_S7_SA_S4_SC_SA_PS2_PS6_21rocsparse_index_base_SF_SF_SF_bbb,@function
_ZN9rocsparseL23bsrgemm_fill_wf_per_rowILj256ELj64ELj8ELj137ELj4ElldEEv20rocsparse_direction_T5_S2_S2_PKS2_S4_NS_24const_host_device_scalarIT6_EEPKT4_S4_PKS6_SA_S4_SC_S7_SA_S4_SC_SA_PS2_PS6_21rocsparse_index_base_SF_SF_SF_bbb: ; @_ZN9rocsparseL23bsrgemm_fill_wf_per_rowILj256ELj64ELj8ELj137ELj4ElldEEv20rocsparse_direction_T5_S2_S2_PKS2_S4_NS_24const_host_device_scalarIT6_EEPKT4_S4_PKS6_SA_S4_SC_S7_SA_S4_SC_SA_PS2_PS6_21rocsparse_index_base_SF_SF_SF_bbb
; %bb.0:
	s_clause 0x2
	s_load_b32 s6, s[0:1], 0xb0
	s_load_b64 s[4:5], s[0:1], 0x30
	s_load_b64 s[2:3], s[0:1], 0x68
	s_waitcnt lgkmcnt(0)
	s_and_b32 s8, 1, s6
	s_bitcmp1_b32 s6, 16
	s_cselect_b32 s7, -1, 0
	s_cmp_eq_u32 s8, 1
	s_cselect_b32 s12, -1, 0
	s_delay_alu instid0(SALU_CYCLE_1)
	s_and_b32 s8, s12, exec_lo
	s_cselect_b32 s9, s5, 0
	s_cselect_b32 s8, s4, 0
	s_xor_b32 s10, s12, -1
	v_dual_mov_b32 v13, s9 :: v_dual_mov_b32 v12, s8
	s_or_b32 s10, s10, s7
	s_delay_alu instid0(SALU_CYCLE_1)
	s_and_b32 vcc_lo, exec_lo, s10
	s_cbranch_vccnz .LBB115_2
; %bb.1:
	v_dual_mov_b32 v1, s4 :: v_dual_mov_b32 v2, s5
	flat_load_b64 v[12:13], v[1:2]
.LBB115_2:
	s_load_b128 s[36:39], s[0:1], 0xa0
	s_bitcmp1_b32 s6, 8
	s_cselect_b32 s34, -1, 0
	s_delay_alu instid0(SALU_CYCLE_1)
	s_and_b32 s4, s34, exec_lo
	s_cselect_b32 s5, s3, 0
	s_cselect_b32 s4, s2, 0
	s_xor_b32 s6, s34, -1
	v_dual_mov_b32 v4, s4 :: v_dual_mov_b32 v5, s5
	s_or_b32 s6, s6, s7
	s_delay_alu instid0(SALU_CYCLE_1)
	s_and_b32 vcc_lo, exec_lo, s6
	s_cbranch_vccnz .LBB115_4
; %bb.3:
	v_dual_mov_b32 v1, s2 :: v_dual_mov_b32 v2, s3
	flat_load_b64 v[4:5], v[1:2]
.LBB115_4:
	s_clause 0x5
	s_load_b128 s[40:43], s[0:1], 0x90
	s_load_b256 s[16:23], s[0:1], 0x70
	s_load_b128 s[44:47], s[0:1], 0x58
	s_load_b256 s[4:11], s[0:1], 0x8
	s_load_b64 s[2:3], s[0:1], 0x28
	s_load_b256 s[24:31], s[0:1], 0x38
	s_movk_i32 s13, 0xc0
	v_and_b32_e32 v3, 63, v0
	v_lshrrev_b32_e32 v39, 6, v0
	v_and_or_b32 v38, v0, s13, 0x1000
	s_mov_b32 s13, exec_lo
	s_delay_alu instid0(VALU_DEP_3)
	v_cmpx_gt_u32_e32 8, v3
	s_cbranch_execz .LBB115_6
; %bb.5:
	s_delay_alu instid0(VALU_DEP_2)
	v_lshl_add_u32 v6, v3, 3, v38
	s_waitcnt lgkmcnt(0)
	v_dual_mov_b32 v1, s6 :: v_dual_mov_b32 v2, s7
	ds_store_b64 v6, v[1:2]
.LBB115_6:
	s_or_b32 exec_lo, exec_lo, s13
	v_dual_mov_b32 v1, 0 :: v_dual_lshlrev_b32 v40, 10, v39
	v_or_b32_e32 v6, 0xffffffc0, v3
	s_mov_b32 s13, 0
	s_delay_alu instid0(VALU_DEP_2) | instskip(NEXT) | instid1(VALU_DEP_3)
	v_lshl_or_b32 v7, v3, 3, v40
	v_mov_b32_e32 v2, v1
.LBB115_7:                              ; =>This Inner Loop Header: Depth=1
	s_delay_alu instid0(VALU_DEP_3) | instskip(NEXT) | instid1(VALU_DEP_1)
	v_add_co_u32 v6, s14, v6, 64
	s_xor_b32 s14, s14, -1
	ds_store_b64 v7, v[1:2]
	v_add_nc_u32_e32 v7, 0x200, v7
	s_and_b32 s14, exec_lo, s14
	s_delay_alu instid0(SALU_CYCLE_1) | instskip(NEXT) | instid1(SALU_CYCLE_1)
	s_or_b32 s13, s14, s13
	s_and_not1_b32 exec_lo, exec_lo, s13
	s_cbranch_execnz .LBB115_7
; %bb.8:
	s_or_b32 exec_lo, exec_lo, s13
	v_lshl_or_b32 v1, s15, 2, v39
	v_mov_b32_e32 v2, 0
	s_waitcnt vmcnt(0) lgkmcnt(0)
	s_barrier
	buffer_gl0_inv
	v_cmp_gt_i64_e32 vcc_lo, s[4:5], v[1:2]
	s_and_saveexec_b32 s4, vcc_lo
	s_cbranch_execz .LBB115_70
; %bb.9:
	s_cmp_eq_u64 s[2:3], 0
	s_cbranch_scc1 .LBB115_11
; %bb.10:
	s_load_b64 s[4:5], s[10:11], 0x0
	v_lshlrev_b64 v[1:2], 3, v[1:2]
	s_waitcnt lgkmcnt(0)
	s_lshl_b64 s[4:5], s[4:5], 3
	s_delay_alu instid0(SALU_CYCLE_1) | instskip(SKIP_1) | instid1(VALU_DEP_1)
	s_add_u32 s2, s2, s4
	s_addc_u32 s3, s3, s5
	v_add_co_u32 v1, vcc_lo, s2, v1
	v_add_co_ci_u32_e32 v2, vcc_lo, s3, v2, vcc_lo
	global_load_b64 v[1:2], v[1:2], off
.LBB115_11:
	s_load_b32 s33, s[0:1], 0x0
	s_waitcnt vmcnt(0)
	v_lshlrev_b64 v[10:11], 3, v[1:2]
	v_lshrrev_b32_e32 v41, 4, v3
	v_and_b32_e32 v8, 3, v0
	v_bfe_u32 v6, v0, 2, 2
	s_and_not1_b32 vcc_lo, exec_lo, s12
	s_mul_i32 s14, s8, s9
	s_mul_hi_u32 s15, s8, s8
	s_mul_i32 s2, s8, s8
	s_cbranch_vccnz .LBB115_43
; %bb.12:
	v_add_co_u32 v0, vcc_lo, s24, v10
	v_add_co_ci_u32_e32 v1, vcc_lo, s25, v11, vcc_lo
	v_sub_co_u32 v7, s0, v41, s36
	s_delay_alu instid0(VALU_DEP_1)
	v_sub_co_ci_u32_e64 v9, null, 0, 0, s0
	global_load_b128 v[0:3], v[0:1], off
	s_mov_b32 s25, 0
	s_mov_b32 s24, exec_lo
	s_waitcnt vmcnt(0)
	v_sub_co_u32 v14, vcc_lo, v2, s36
	v_subrev_co_ci_u32_e32 v15, vcc_lo, 0, v3, vcc_lo
	v_add_co_u32 v16, vcc_lo, v0, v7
	v_add_co_ci_u32_e32 v17, vcc_lo, v1, v9, vcc_lo
	s_delay_alu instid0(VALU_DEP_1)
	v_cmpx_lt_i64_e64 v[16:17], v[14:15]
	s_cbranch_execz .LBB115_42
; %bb.13:
	v_mul_lo_u32 v2, s9, v16
	v_mul_lo_u32 v3, s8, v17
	v_mad_u64_u32 v[0:1], null, s8, v16, 0
	s_waitcnt lgkmcnt(0)
	s_cmp_lg_u32 s33, 0
	v_mul_lo_u32 v20, s2, v17
	s_cselect_b32 s35, -1, 0
	s_add_i32 s0, s15, s14
	v_dual_mov_b32 v9, 0 :: v_dual_lshlrev_b32 v18, 3, v8
	s_add_i32 s3, s0, s14
	v_add3_u32 v1, v1, v3, v2
	v_mul_lo_u32 v19, s3, v16
	v_mad_u64_u32 v[2:3], null, s2, v16, 0
	v_dual_mov_b32 v7, v9 :: v_dual_lshlrev_b32 v22, 3, v6
	s_delay_alu instid0(VALU_DEP_4) | instskip(SKIP_2) | instid1(VALU_DEP_3)
	v_lshlrev_b64 v[0:1], 3, v[0:1]
	v_cmp_gt_i64_e32 vcc_lo, s[8:9], v[8:9]
	s_lshl_b64 s[4:5], s[8:9], 3
	v_cmp_gt_u64_e64 s0, s[8:9], v[6:7]
	v_add3_u32 v3, v3, v20, v19
	v_lshlrev_b32_e32 v7, 5, v6
	v_add_co_u32 v19, s1, v0, v22
	s_delay_alu instid0(VALU_DEP_1) | instskip(NEXT) | instid1(VALU_DEP_4)
	v_add_co_ci_u32_e64 v20, s1, 0, v1, s1
	v_lshlrev_b64 v[0:1], 3, v[2:3]
	s_delay_alu instid0(VALU_DEP_3) | instskip(SKIP_1) | instid1(VALU_DEP_3)
	v_mul_lo_u32 v3, s9, v19
	s_and_b32 s48, vcc_lo, s0
	v_mul_lo_u32 v2, s8, v20
	v_mad_u64_u32 v[20:21], null, s8, v19, s[28:29]
	s_delay_alu instid0(VALU_DEP_4) | instskip(SKIP_2) | instid1(VALU_DEP_3)
	v_add_co_u32 v0, vcc_lo, v0, v22
	v_add_co_ci_u32_e32 v1, vcc_lo, 0, v1, vcc_lo
	v_add_co_u32 v24, s0, s46, v18
	v_add_co_u32 v22, vcc_lo, s28, v0
	v_add3_u32 v7, v40, v18, v7
	v_mov_b32_e32 v19, v9
	v_add_co_ci_u32_e32 v23, vcc_lo, s29, v1, vcc_lo
	v_add3_u32 v21, v3, v21, v2
	v_add_co_ci_u32_e64 v25, null, s47, 0, s0
	s_lshl_b64 s[10:11], s[2:3], 3
	s_lshl_b64 s[12:13], s[2:3], 5
	s_branch .LBB115_15
.LBB115_14:                             ;   in Loop: Header=BB115_15 Depth=1
	s_or_b32 exec_lo, exec_lo, s3
	v_add_co_u32 v16, vcc_lo, v16, 4
	v_add_co_ci_u32_e32 v17, vcc_lo, 0, v17, vcc_lo
	v_add_co_u32 v22, vcc_lo, v22, s12
	v_add_co_ci_u32_e32 v23, vcc_lo, s13, v23, vcc_lo
	s_delay_alu instid0(VALU_DEP_3) | instskip(SKIP_1) | instid1(VALU_DEP_1)
	v_cmp_ge_i64_e32 vcc_lo, v[16:17], v[14:15]
	v_add_co_u32 v20, s0, v20, s12
	v_add_co_ci_u32_e64 v21, s0, s13, v21, s0
	s_or_b32 s25, vcc_lo, s25
	s_delay_alu instid0(SALU_CYCLE_1)
	s_and_not1_b32 exec_lo, exec_lo, s25
	s_cbranch_execz .LBB115_42
.LBB115_15:                             ; =>This Loop Header: Depth=1
                                        ;     Child Loop BB115_18 Depth 2
                                        ;       Child Loop BB115_25 Depth 3
                                        ;       Child Loop BB115_21 Depth 3
	;; [unrolled: 1-line block ×3, first 2 shown]
                                        ;         Child Loop BB115_34 Depth 4
                                        ;         Child Loop BB115_40 Depth 4
	v_lshlrev_b64 v[0:1], 3, v[16:17]
	s_mov_b32 s3, exec_lo
	s_delay_alu instid0(VALU_DEP_1) | instskip(NEXT) | instid1(VALU_DEP_2)
	v_add_co_u32 v0, vcc_lo, s26, v0
	v_add_co_ci_u32_e32 v1, vcc_lo, s27, v1, vcc_lo
	global_load_b64 v[0:1], v[0:1], off
	s_waitcnt vmcnt(0)
	v_sub_co_u32 v0, vcc_lo, v0, s36
	v_subrev_co_ci_u32_e32 v1, vcc_lo, 0, v1, vcc_lo
	s_delay_alu instid0(VALU_DEP_1) | instskip(NEXT) | instid1(VALU_DEP_1)
	v_lshlrev_b64 v[0:1], 3, v[0:1]
	v_add_co_u32 v0, vcc_lo, s30, v0
	s_delay_alu instid0(VALU_DEP_2)
	v_add_co_ci_u32_e32 v1, vcc_lo, s31, v1, vcc_lo
	global_load_b128 v[0:3], v[0:1], off
	s_waitcnt vmcnt(0)
	v_cmpx_lt_i64_e64 v[0:1], v[2:3]
	s_cbranch_execz .LBB115_14
; %bb.16:                               ;   in Loop: Header=BB115_15 Depth=1
	v_sub_co_u32 v0, vcc_lo, v0, s37
	v_subrev_co_ci_u32_e32 v1, vcc_lo, 0, v1, vcc_lo
	v_sub_co_u32 v2, vcc_lo, v2, s37
	s_delay_alu instid0(VALU_DEP_3) | instskip(NEXT) | instid1(VALU_DEP_3)
	v_mul_lo_u32 v26, s5, v0
	v_mul_lo_u32 v9, s4, v1
	v_mad_u64_u32 v[28:29], null, s4, v0, v[18:19]
	v_mul_lo_u32 v30, s10, v1
	v_mul_lo_u32 v31, s11, v0
	v_subrev_co_ci_u32_e32 v3, vcc_lo, 0, v3, vcc_lo
	s_mov_b32 s28, 0
	s_delay_alu instid0(VALU_DEP_4) | instskip(SKIP_3) | instid1(VALU_DEP_4)
	v_add3_u32 v9, v26, v29, v9
	v_mul_lo_u32 v32, s9, v28
	v_mad_u64_u32 v[26:27], null, s8, v28, s[46:47]
	v_mad_u64_u32 v[28:29], null, s10, v0, v[24:25]
	v_mul_lo_u32 v9, s8, v9
	s_delay_alu instid0(VALU_DEP_2) | instskip(NEXT) | instid1(VALU_DEP_2)
	v_add3_u32 v29, v31, v29, v30
	v_add3_u32 v27, v32, v27, v9
	s_branch .LBB115_18
.LBB115_17:                             ;   in Loop: Header=BB115_18 Depth=2
	s_or_b32 exec_lo, exec_lo, s29
	v_add_co_u32 v0, vcc_lo, v0, 1
	v_add_co_ci_u32_e32 v1, vcc_lo, 0, v1, vcc_lo
	v_add_co_u32 v26, vcc_lo, v26, s10
	v_add_co_ci_u32_e32 v27, vcc_lo, s11, v27, vcc_lo
	s_delay_alu instid0(VALU_DEP_3) | instskip(SKIP_1) | instid1(VALU_DEP_1)
	v_cmp_ge_i64_e32 vcc_lo, v[0:1], v[2:3]
	v_add_co_u32 v28, s0, v28, s10
	v_add_co_ci_u32_e64 v29, s0, s11, v29, s0
	s_or_b32 s28, vcc_lo, s28
	s_delay_alu instid0(SALU_CYCLE_1)
	s_and_not1_b32 exec_lo, exec_lo, s28
	s_cbranch_execz .LBB115_14
.LBB115_18:                             ;   Parent Loop BB115_15 Depth=1
                                        ; =>  This Loop Header: Depth=2
                                        ;       Child Loop BB115_25 Depth 3
                                        ;       Child Loop BB115_21 Depth 3
	;; [unrolled: 1-line block ×3, first 2 shown]
                                        ;         Child Loop BB115_34 Depth 4
                                        ;         Child Loop BB115_40 Depth 4
	s_and_saveexec_b32 s29, s48
	s_cbranch_execz .LBB115_17
; %bb.19:                               ;   in Loop: Header=BB115_18 Depth=2
	v_lshlrev_b64 v[30:31], 3, v[0:1]
	s_delay_alu instid0(VALU_DEP_1) | instskip(NEXT) | instid1(VALU_DEP_2)
	v_add_co_u32 v30, vcc_lo, s44, v30
	v_add_co_ci_u32_e32 v31, vcc_lo, s45, v31, vcc_lo
	s_and_not1_b32 vcc_lo, exec_lo, s35
	global_load_b64 v[32:33], v[30:31], off
	s_cbranch_vccnz .LBB115_23
; %bb.20:                               ;   in Loop: Header=BB115_18 Depth=2
	v_dual_mov_b32 v30, 0 :: v_dual_mov_b32 v35, v23
	v_dual_mov_b32 v31, 0 :: v_dual_mov_b32 v34, v22
	;; [unrolled: 1-line block ×3, first 2 shown]
	s_mov_b64 s[0:1], s[8:9]
.LBB115_21:                             ;   Parent Loop BB115_15 Depth=1
                                        ;     Parent Loop BB115_18 Depth=2
                                        ; =>    This Inner Loop Header: Depth=3
	global_load_b64 v[42:43], v[34:35], off
	global_load_b64 v[44:45], v[36:37], off
	v_add_co_u32 v36, vcc_lo, v36, 8
	v_add_co_ci_u32_e32 v37, vcc_lo, 0, v37, vcc_lo
	v_add_co_u32 v34, vcc_lo, v34, s4
	s_add_u32 s0, s0, -1
	v_add_co_ci_u32_e32 v35, vcc_lo, s5, v35, vcc_lo
	s_addc_u32 s1, s1, -1
	s_delay_alu instid0(SALU_CYCLE_1)
	s_cmp_lg_u64 s[0:1], 0
	s_waitcnt vmcnt(0)
	v_fma_f64 v[30:31], v[42:43], v[44:45], v[30:31]
	s_cbranch_scc1 .LBB115_21
; %bb.22:                               ;   in Loop: Header=BB115_18 Depth=2
	s_branch .LBB115_26
.LBB115_23:                             ;   in Loop: Header=BB115_18 Depth=2
                                        ; implicit-def: $vgpr30_vgpr31
	s_cbranch_execz .LBB115_26
; %bb.24:                               ;   in Loop: Header=BB115_18 Depth=2
	v_dual_mov_b32 v30, 0 :: v_dual_mov_b32 v35, v29
	v_dual_mov_b32 v31, 0 :: v_dual_mov_b32 v34, v28
	;; [unrolled: 1-line block ×3, first 2 shown]
	s_mov_b64 s[0:1], s[8:9]
.LBB115_25:                             ;   Parent Loop BB115_15 Depth=1
                                        ;     Parent Loop BB115_18 Depth=2
                                        ; =>    This Inner Loop Header: Depth=3
	global_load_b64 v[42:43], v[36:37], off
	global_load_b64 v[44:45], v[34:35], off
	v_add_co_u32 v36, vcc_lo, v36, 8
	v_add_co_ci_u32_e32 v37, vcc_lo, 0, v37, vcc_lo
	v_add_co_u32 v34, vcc_lo, v34, s4
	s_add_u32 s0, s0, -1
	v_add_co_ci_u32_e32 v35, vcc_lo, s5, v35, vcc_lo
	s_addc_u32 s1, s1, -1
	s_delay_alu instid0(SALU_CYCLE_1)
	s_cmp_eq_u64 s[0:1], 0
	s_waitcnt vmcnt(0)
	v_fma_f64 v[30:31], v[42:43], v[44:45], v[30:31]
	s_cbranch_scc0 .LBB115_25
.LBB115_26:                             ;   in Loop: Header=BB115_18 Depth=2
	s_delay_alu instid0(VALU_DEP_1) | instskip(SKIP_4) | instid1(VALU_DEP_2)
	v_mul_f64 v[30:31], v[12:13], v[30:31]
	s_waitcnt vmcnt(0)
	v_sub_co_u32 v32, vcc_lo, v32, s37
	v_subrev_co_ci_u32_e32 v33, vcc_lo, 0, v33, vcc_lo
	s_mov_b32 s0, 0
	v_and_b32_e32 v9, 7, v32
	s_branch .LBB115_28
.LBB115_27:                             ;   in Loop: Header=BB115_28 Depth=3
	s_or_b32 exec_lo, exec_lo, s1
	s_xor_b32 s1, s49, -1
	s_delay_alu instid0(SALU_CYCLE_1) | instskip(NEXT) | instid1(SALU_CYCLE_1)
	s_and_b32 s1, exec_lo, s1
	s_or_b32 s0, s1, s0
	s_delay_alu instid0(SALU_CYCLE_1)
	s_and_not1_b32 exec_lo, exec_lo, s0
	s_cbranch_execz .LBB115_17
.LBB115_28:                             ;   Parent Loop BB115_15 Depth=1
                                        ;     Parent Loop BB115_18 Depth=2
                                        ; =>    This Loop Header: Depth=3
                                        ;         Child Loop BB115_34 Depth 4
                                        ;         Child Loop BB115_40 Depth 4
	s_delay_alu instid0(VALU_DEP_1)
	v_lshl_add_u32 v36, v9, 3, v38
	s_mov_b32 s1, exec_lo
                                        ; implicit-def: $sgpr49
	ds_load_b64 v[34:35], v36
	s_waitcnt lgkmcnt(0)
	v_cmpx_ne_u64_e64 v[34:35], v[32:33]
	s_xor_b32 s1, exec_lo, s1
	s_cbranch_execz .LBB115_38
; %bb.29:                               ;   in Loop: Header=BB115_28 Depth=3
	s_mov_b32 s50, exec_lo
                                        ; implicit-def: $sgpr49
	v_cmpx_ne_u64_e64 s[6:7], v[34:35]
	s_xor_b32 s50, exec_lo, s50
; %bb.30:                               ;   in Loop: Header=BB115_28 Depth=3
	v_add_nc_u32_e32 v9, 1, v9
	s_mov_b32 s49, -1
                                        ; implicit-def: $vgpr36
	s_delay_alu instid0(VALU_DEP_1)
	v_and_b32_e32 v9, 7, v9
; %bb.31:                               ;   in Loop: Header=BB115_28 Depth=3
	s_and_not1_saveexec_b32 s50, s50
	s_cbranch_execz .LBB115_37
; %bb.32:                               ;   in Loop: Header=BB115_28 Depth=3
	v_dual_mov_b32 v35, s7 :: v_dual_mov_b32 v34, s6
	s_mov_b32 s52, -1
	s_mov_b32 s51, exec_lo
	ds_cmpstore_rtn_b64 v[34:35], v36, v[32:33], v[34:35]
	s_waitcnt lgkmcnt(0)
	v_cmpx_eq_u64_e64 s[6:7], v[34:35]
	s_cbranch_execz .LBB115_36
; %bb.33:                               ;   in Loop: Header=BB115_28 Depth=3
	v_lshlrev_b32_e32 v34, 7, v9
	s_mov_b32 s52, 0
	s_delay_alu instid0(VALU_DEP_1)
	v_add_nc_u32_e32 v36, v7, v34
	ds_load_b64 v[34:35], v36
.LBB115_34:                             ;   Parent Loop BB115_15 Depth=1
                                        ;     Parent Loop BB115_18 Depth=2
                                        ;       Parent Loop BB115_28 Depth=3
                                        ; =>      This Inner Loop Header: Depth=4
	s_waitcnt lgkmcnt(0)
	v_add_f64 v[42:43], v[34:35], v[30:31]
	ds_cmpstore_rtn_b64 v[42:43], v36, v[42:43], v[34:35]
	s_waitcnt lgkmcnt(0)
	v_cmp_eq_u64_e32 vcc_lo, v[42:43], v[34:35]
	v_dual_mov_b32 v34, v42 :: v_dual_mov_b32 v35, v43
	s_or_b32 s52, vcc_lo, s52
	s_delay_alu instid0(SALU_CYCLE_1)
	s_and_not1_b32 exec_lo, exec_lo, s52
	s_cbranch_execnz .LBB115_34
; %bb.35:                               ;   in Loop: Header=BB115_28 Depth=3
	s_or_b32 exec_lo, exec_lo, s52
	s_delay_alu instid0(SALU_CYCLE_1)
	s_xor_b32 s52, exec_lo, -1
.LBB115_36:                             ;   in Loop: Header=BB115_28 Depth=3
	s_or_b32 exec_lo, exec_lo, s51
	s_delay_alu instid0(SALU_CYCLE_1) | instskip(SKIP_1) | instid1(SALU_CYCLE_1)
	s_and_not1_b32 s49, s49, exec_lo
	s_and_b32 s51, s52, exec_lo
	s_or_b32 s49, s49, s51
.LBB115_37:                             ;   in Loop: Header=BB115_28 Depth=3
	s_or_b32 exec_lo, exec_lo, s50
	s_delay_alu instid0(SALU_CYCLE_1)
	s_and_b32 s49, s49, exec_lo
.LBB115_38:                             ;   in Loop: Header=BB115_28 Depth=3
	s_and_not1_saveexec_b32 s1, s1
	s_cbranch_execz .LBB115_27
; %bb.39:                               ;   in Loop: Header=BB115_28 Depth=3
	v_lshlrev_b32_e32 v34, 7, v9
	s_mov_b32 s50, 0
	s_delay_alu instid0(VALU_DEP_1)
	v_add_nc_u32_e32 v36, v7, v34
	ds_load_b64 v[34:35], v36
.LBB115_40:                             ;   Parent Loop BB115_15 Depth=1
                                        ;     Parent Loop BB115_18 Depth=2
                                        ;       Parent Loop BB115_28 Depth=3
                                        ; =>      This Inner Loop Header: Depth=4
	s_waitcnt lgkmcnt(0)
	v_add_f64 v[42:43], v[34:35], v[30:31]
	ds_cmpstore_rtn_b64 v[42:43], v36, v[42:43], v[34:35]
	s_waitcnt lgkmcnt(0)
	v_cmp_eq_u64_e32 vcc_lo, v[42:43], v[34:35]
	v_dual_mov_b32 v34, v42 :: v_dual_mov_b32 v35, v43
	s_or_b32 s50, vcc_lo, s50
	s_delay_alu instid0(SALU_CYCLE_1)
	s_and_not1_b32 exec_lo, exec_lo, s50
	s_cbranch_execnz .LBB115_40
; %bb.41:                               ;   in Loop: Header=BB115_28 Depth=3
	s_or_b32 exec_lo, exec_lo, s50
	s_delay_alu instid0(SALU_CYCLE_1)
	s_and_not1_b32 s49, s49, exec_lo
	s_branch .LBB115_27
.LBB115_42:
	s_or_b32 exec_lo, exec_lo, s24
.LBB115_43:
	s_delay_alu instid0(SALU_CYCLE_1)
	s_and_not1_b32 vcc_lo, exec_lo, s34
	s_waitcnt lgkmcnt(0)
	s_barrier
	buffer_gl0_inv
	s_cbranch_vccnz .LBB115_65
; %bb.44:
	v_add_co_u32 v0, vcc_lo, s16, v10
	v_add_co_ci_u32_e32 v1, vcc_lo, s17, v11, vcc_lo
	v_sub_co_u32 v2, s0, v41, s39
	s_delay_alu instid0(VALU_DEP_1)
	v_sub_co_ci_u32_e64 v3, null, 0, 0, s0
	global_load_b128 v[12:15], v[0:1], off
	s_mov_b32 s3, 0
	s_mov_b32 s4, exec_lo
	s_waitcnt vmcnt(0)
	v_sub_co_u32 v0, vcc_lo, v14, s39
	v_subrev_co_ci_u32_e32 v1, vcc_lo, 0, v15, vcc_lo
	v_add_co_u32 v2, vcc_lo, v12, v2
	v_add_co_ci_u32_e32 v3, vcc_lo, v13, v3, vcc_lo
	s_delay_alu instid0(VALU_DEP_1)
	v_cmpx_lt_i64_e64 v[2:3], v[0:1]
	s_cbranch_execz .LBB115_64
; %bb.45:
	v_mad_u64_u32 v[12:13], null, v8, s8, 0
	v_mad_u64_u32 v[14:15], null, v6, s8, 0
	v_lshlrev_b32_e32 v19, 5, v6
	s_cmp_eq_u32 s33, 0
	s_mov_b32 s5, s39
	s_cselect_b32 s1, -1, 0
	s_delay_alu instid0(VALU_DEP_3) | instskip(NEXT) | instid1(VALU_DEP_3)
	v_dual_mov_b32 v7, v13 :: v_dual_lshlrev_b32 v18, 3, v8
	v_mov_b32_e32 v9, v15
	s_add_i32 s10, s15, s14
	s_delay_alu instid0(VALU_DEP_2) | instskip(NEXT) | instid1(VALU_DEP_2)
	v_mad_u64_u32 v[15:16], null, v8, s9, v[7:8]
	v_mad_u64_u32 v[16:17], null, v6, s9, v[9:10]
	v_mov_b32_e32 v9, 0
	s_delay_alu instid0(VALU_DEP_3) | instskip(NEXT) | instid1(VALU_DEP_2)
	v_mov_b32_e32 v13, v15
	v_mov_b32_e32 v7, v9
	s_delay_alu instid0(VALU_DEP_4) | instskip(SKIP_1) | instid1(VALU_DEP_4)
	v_mov_b32_e32 v15, v16
	v_cmp_gt_i64_e32 vcc_lo, s[8:9], v[8:9]
	v_lshlrev_b64 v[12:13], 3, v[12:13]
	s_delay_alu instid0(VALU_DEP_4) | instskip(NEXT) | instid1(VALU_DEP_4)
	v_lshlrev_b64 v[16:17], 3, v[6:7]
	v_lshlrev_b64 v[14:15], 3, v[14:15]
	s_delay_alu instid0(VALU_DEP_3) | instskip(NEXT) | instid1(VALU_DEP_1)
	v_add_co_u32 v9, s0, s20, v12
	v_add_co_ci_u32_e64 v12, s0, s21, v13, s0
	s_delay_alu instid0(VALU_DEP_3) | instskip(NEXT) | instid1(VALU_DEP_1)
	v_add_co_u32 v13, s0, s20, v14
	v_add_co_ci_u32_e64 v14, s0, s21, v15, s0
	s_delay_alu instid0(VALU_DEP_4) | instskip(NEXT) | instid1(VALU_DEP_1)
	v_add_co_u32 v15, s0, v9, v16
	v_add_co_ci_u32_e64 v12, s0, v12, v17, s0
	s_delay_alu instid0(VALU_DEP_4) | instskip(NEXT) | instid1(VALU_DEP_1)
	v_add_co_u32 v13, s0, v13, v18
	v_add_co_ci_u32_e64 v14, s0, 0, v14, s0
	v_cmp_gt_u64_e64 s0, s[8:9], v[6:7]
	v_add3_u32 v9, v40, v18, v19
	s_delay_alu instid0(VALU_DEP_4) | instskip(NEXT) | instid1(VALU_DEP_4)
	v_cndmask_b32_e64 v18, v15, v13, s1
	v_cndmask_b32_e64 v7, v12, v14, s1
	s_add_i32 s1, s10, s14
	s_delay_alu instid0(VALU_DEP_4)
	s_and_b32 s0, vcc_lo, s0
	s_branch .LBB115_47
.LBB115_46:                             ;   in Loop: Header=BB115_47 Depth=1
	s_or_b32 exec_lo, exec_lo, s10
	v_add_co_u32 v2, vcc_lo, v2, 4
	v_add_co_ci_u32_e32 v3, vcc_lo, 0, v3, vcc_lo
	s_delay_alu instid0(VALU_DEP_1) | instskip(SKIP_1) | instid1(SALU_CYCLE_1)
	v_cmp_ge_i64_e32 vcc_lo, v[2:3], v[0:1]
	s_or_b32 s3, vcc_lo, s3
	s_and_not1_b32 exec_lo, exec_lo, s3
	s_cbranch_execz .LBB115_64
.LBB115_47:                             ; =>This Loop Header: Depth=1
                                        ;     Child Loop BB115_50 Depth 2
                                        ;       Child Loop BB115_56 Depth 3
                                        ;       Child Loop BB115_62 Depth 3
	s_and_saveexec_b32 s10, s0
	s_cbranch_execz .LBB115_46
; %bb.48:                               ;   in Loop: Header=BB115_47 Depth=1
	v_mul_lo_u32 v14, s1, v2
	v_mul_lo_u32 v15, s2, v3
	v_mad_u64_u32 v[12:13], null, s2, v2, 0
	s_mov_b32 s11, 0
	s_delay_alu instid0(VALU_DEP_1) | instskip(SKIP_1) | instid1(VALU_DEP_2)
	v_add3_u32 v13, v13, v15, v14
	v_lshlrev_b64 v[14:15], 3, v[2:3]
	v_lshlrev_b64 v[12:13], 3, v[12:13]
	s_delay_alu instid0(VALU_DEP_1) | instskip(NEXT) | instid1(VALU_DEP_2)
	v_add_co_u32 v12, vcc_lo, v18, v12
	v_add_co_ci_u32_e32 v13, vcc_lo, v7, v13, vcc_lo
	s_delay_alu instid0(VALU_DEP_4)
	v_add_co_u32 v14, vcc_lo, s18, v14
	v_add_co_ci_u32_e32 v15, vcc_lo, s19, v15, vcc_lo
	global_load_b64 v[12:13], v[12:13], off
	global_load_b64 v[14:15], v[14:15], off
	s_waitcnt vmcnt(1)
	v_mul_f64 v[12:13], v[4:5], v[12:13]
	s_waitcnt vmcnt(0)
	v_sub_co_u32 v14, vcc_lo, v14, s5
	v_subrev_co_ci_u32_e32 v15, vcc_lo, 0, v15, vcc_lo
	s_delay_alu instid0(VALU_DEP_2)
	v_and_b32_e32 v19, 7, v14
	s_branch .LBB115_50
.LBB115_49:                             ;   in Loop: Header=BB115_50 Depth=2
	s_or_b32 exec_lo, exec_lo, s12
	s_xor_b32 s12, s13, -1
	s_delay_alu instid0(SALU_CYCLE_1) | instskip(NEXT) | instid1(SALU_CYCLE_1)
	s_and_b32 s12, exec_lo, s12
	s_or_b32 s11, s12, s11
	s_delay_alu instid0(SALU_CYCLE_1)
	s_and_not1_b32 exec_lo, exec_lo, s11
	s_cbranch_execz .LBB115_46
.LBB115_50:                             ;   Parent Loop BB115_47 Depth=1
                                        ; =>  This Loop Header: Depth=2
                                        ;       Child Loop BB115_56 Depth 3
                                        ;       Child Loop BB115_62 Depth 3
	s_delay_alu instid0(VALU_DEP_1)
	v_lshl_add_u32 v20, v19, 3, v38
	s_mov_b32 s12, exec_lo
                                        ; implicit-def: $sgpr13
	ds_load_b64 v[16:17], v20
	s_waitcnt lgkmcnt(0)
	v_cmpx_ne_u64_e64 v[16:17], v[14:15]
	s_xor_b32 s12, exec_lo, s12
	s_cbranch_execz .LBB115_60
; %bb.51:                               ;   in Loop: Header=BB115_50 Depth=2
	s_mov_b32 s16, exec_lo
                                        ; implicit-def: $sgpr13
	v_cmpx_ne_u64_e64 s[6:7], v[16:17]
	s_xor_b32 s16, exec_lo, s16
; %bb.52:                               ;   in Loop: Header=BB115_50 Depth=2
	v_add_nc_u32_e32 v16, 1, v19
	s_mov_b32 s13, -1
                                        ; implicit-def: $vgpr20
	s_delay_alu instid0(VALU_DEP_1)
	v_and_b32_e32 v19, 7, v16
; %bb.53:                               ;   in Loop: Header=BB115_50 Depth=2
	s_and_not1_saveexec_b32 s16, s16
	s_cbranch_execz .LBB115_59
; %bb.54:                               ;   in Loop: Header=BB115_50 Depth=2
	v_dual_mov_b32 v17, s7 :: v_dual_mov_b32 v16, s6
	s_mov_b32 s20, -1
	s_mov_b32 s17, exec_lo
	ds_cmpstore_rtn_b64 v[16:17], v20, v[14:15], v[16:17]
	s_waitcnt lgkmcnt(0)
	v_cmpx_eq_u64_e64 s[6:7], v[16:17]
	s_cbranch_execz .LBB115_58
; %bb.55:                               ;   in Loop: Header=BB115_50 Depth=2
	v_lshlrev_b32_e32 v16, 7, v19
	s_mov_b32 s20, 0
	s_delay_alu instid0(VALU_DEP_1)
	v_add_nc_u32_e32 v20, v9, v16
	ds_load_b64 v[16:17], v20
.LBB115_56:                             ;   Parent Loop BB115_47 Depth=1
                                        ;     Parent Loop BB115_50 Depth=2
                                        ; =>    This Inner Loop Header: Depth=3
	s_waitcnt lgkmcnt(0)
	v_add_f64 v[21:22], v[16:17], v[12:13]
	ds_cmpstore_rtn_b64 v[21:22], v20, v[21:22], v[16:17]
	s_waitcnt lgkmcnt(0)
	v_cmp_eq_u64_e32 vcc_lo, v[21:22], v[16:17]
	v_dual_mov_b32 v16, v21 :: v_dual_mov_b32 v17, v22
	s_or_b32 s20, vcc_lo, s20
	s_delay_alu instid0(SALU_CYCLE_1)
	s_and_not1_b32 exec_lo, exec_lo, s20
	s_cbranch_execnz .LBB115_56
; %bb.57:                               ;   in Loop: Header=BB115_50 Depth=2
	s_or_b32 exec_lo, exec_lo, s20
	s_delay_alu instid0(SALU_CYCLE_1)
	s_xor_b32 s20, exec_lo, -1
.LBB115_58:                             ;   in Loop: Header=BB115_50 Depth=2
	s_or_b32 exec_lo, exec_lo, s17
	s_delay_alu instid0(SALU_CYCLE_1) | instskip(SKIP_1) | instid1(SALU_CYCLE_1)
	s_and_not1_b32 s13, s13, exec_lo
	s_and_b32 s17, s20, exec_lo
	s_or_b32 s13, s13, s17
.LBB115_59:                             ;   in Loop: Header=BB115_50 Depth=2
	s_or_b32 exec_lo, exec_lo, s16
	s_delay_alu instid0(SALU_CYCLE_1)
	s_and_b32 s13, s13, exec_lo
.LBB115_60:                             ;   in Loop: Header=BB115_50 Depth=2
	s_and_not1_saveexec_b32 s12, s12
	s_cbranch_execz .LBB115_49
; %bb.61:                               ;   in Loop: Header=BB115_50 Depth=2
	v_lshlrev_b32_e32 v16, 7, v19
	s_mov_b32 s16, 0
	s_delay_alu instid0(VALU_DEP_1)
	v_add_nc_u32_e32 v20, v9, v16
	ds_load_b64 v[16:17], v20
.LBB115_62:                             ;   Parent Loop BB115_47 Depth=1
                                        ;     Parent Loop BB115_50 Depth=2
                                        ; =>    This Inner Loop Header: Depth=3
	s_waitcnt lgkmcnt(0)
	v_add_f64 v[21:22], v[16:17], v[12:13]
	ds_cmpstore_rtn_b64 v[21:22], v20, v[21:22], v[16:17]
	s_waitcnt lgkmcnt(0)
	v_cmp_eq_u64_e32 vcc_lo, v[21:22], v[16:17]
	v_dual_mov_b32 v16, v21 :: v_dual_mov_b32 v17, v22
	s_or_b32 s16, vcc_lo, s16
	s_delay_alu instid0(SALU_CYCLE_1)
	s_and_not1_b32 exec_lo, exec_lo, s16
	s_cbranch_execnz .LBB115_62
; %bb.63:                               ;   in Loop: Header=BB115_50 Depth=2
	s_or_b32 exec_lo, exec_lo, s16
	s_delay_alu instid0(SALU_CYCLE_1)
	s_and_not1_b32 s13, s13, exec_lo
	s_branch .LBB115_49
.LBB115_64:
	s_or_b32 exec_lo, exec_lo, s4
.LBB115_65:
	v_add_co_u32 v0, vcc_lo, s22, v10
	v_add_co_ci_u32_e32 v1, vcc_lo, s23, v11, vcc_lo
	s_barrier
	buffer_gl0_inv
	global_load_b64 v[0:1], v[0:1], off
	v_mad_u64_u32 v[2:3], null, v6, s8, 0
	s_cmp_eq_u32 s33, 0
	v_mov_b32_e32 v9, 0
	s_cselect_b32 vcc_lo, -1, 0
	v_lshlrev_b32_e32 v13, 3, v41
	s_add_i32 s3, s15, s14
	s_delay_alu instid0(VALU_DEP_3)
	v_mad_u64_u32 v[10:11], null, v6, s9, v[3:4]
	v_cndmask_b32_e32 v3, v6, v8, vcc_lo
	v_cndmask_b32_e32 v5, v8, v6, vcc_lo
	v_lshlrev_b32_e32 v11, 3, v8
	v_mov_b32_e32 v7, v9
	v_cmp_gt_i64_e32 vcc_lo, s[8:9], v[8:9]
	v_dual_mov_b32 v3, v10 :: v_dual_lshlrev_b32 v12, 3, v3
	v_lshlrev_b32_e32 v10, 6, v39
	s_delay_alu instid0(VALU_DEP_4) | instskip(SKIP_1) | instid1(VALU_DEP_4)
	v_cmp_gt_u64_e64 s0, s[8:9], v[6:7]
	v_or_b32_e32 v4, -4, v41
	v_lshl_or_b32 v12, v41, 7, v12
	v_lshlrev_b64 v[2:3], 3, v[2:3]
	v_or3_b32 v10, v10, v13, 0x1000
	s_add_i32 s3, s3, s14
	s_and_b32 s0, vcc_lo, s0
	v_lshl_or_b32 v5, v5, 5, v12
	s_delay_alu instid0(VALU_DEP_3) | instskip(NEXT) | instid1(VALU_DEP_1)
	v_add_co_u32 v2, s1, s42, v2
	v_add_co_ci_u32_e64 v3, s1, s43, v3, s1
	s_delay_alu instid0(VALU_DEP_3) | instskip(NEXT) | instid1(VALU_DEP_3)
	v_add_nc_u32_e32 v5, v40, v5
	v_add_co_u32 v6, s1, v2, v11
	s_delay_alu instid0(VALU_DEP_1) | instskip(SKIP_2) | instid1(VALU_DEP_1)
	v_add_co_ci_u32_e64 v7, s1, 0, v3, s1
	s_waitcnt vmcnt(0)
	v_sub_co_u32 v8, s1, v0, s38
	v_subrev_co_ci_u32_e64 v9, s1, 0, v1, s1
	s_mov_b32 s1, 0
	s_branch .LBB115_67
.LBB115_66:                             ;   in Loop: Header=BB115_67 Depth=1
	s_or_b32 exec_lo, exec_lo, s4
	v_add_co_u32 v4, s4, v4, 4
	s_delay_alu instid0(VALU_DEP_1) | instskip(SKIP_3) | instid1(SALU_CYCLE_1)
	s_xor_b32 s4, s4, -1
	v_add_nc_u32_e32 v5, 0x200, v5
	v_add_nc_u32_e32 v10, 32, v10
	s_and_b32 s4, exec_lo, s4
	s_or_b32 s1, s4, s1
	s_delay_alu instid0(SALU_CYCLE_1)
	s_and_not1_b32 exec_lo, exec_lo, s1
	s_cbranch_execz .LBB115_70
.LBB115_67:                             ; =>This Inner Loop Header: Depth=1
	ds_load_b64 v[0:1], v10
	s_mov_b32 s4, exec_lo
	s_waitcnt lgkmcnt(0)
	v_cmpx_gt_i64_e64 s[6:7], v[0:1]
	s_cbranch_execz .LBB115_66
; %bb.68:                               ;   in Loop: Header=BB115_67 Depth=1
	ds_load_b128 v[11:14], v38
	ds_load_b128 v[15:18], v38 offset:16
	ds_load_b128 v[19:22], v38 offset:32
	;; [unrolled: 1-line block ×3, first 2 shown]
	s_waitcnt lgkmcnt(3)
	v_cmp_gt_i64_e32 vcc_lo, v[0:1], v[11:12]
	v_cndmask_b32_e64 v2, 0, 1, vcc_lo
	v_cmp_gt_i64_e32 vcc_lo, v[0:1], v[13:14]
	v_cndmask_b32_e64 v3, 0, 1, vcc_lo
	s_delay_alu instid0(VALU_DEP_3)
	v_add_co_u32 v2, vcc_lo, v8, v2
	v_add_co_ci_u32_e32 v11, vcc_lo, 0, v9, vcc_lo
	s_waitcnt lgkmcnt(2)
	v_cmp_gt_i64_e32 vcc_lo, v[0:1], v[15:16]
	v_cndmask_b32_e64 v12, 0, 1, vcc_lo
	v_add_co_u32 v2, vcc_lo, v2, v3
	v_add_co_ci_u32_e32 v3, vcc_lo, 0, v11, vcc_lo
	v_cmp_gt_i64_e32 vcc_lo, v[0:1], v[17:18]
	v_cndmask_b32_e64 v11, 0, 1, vcc_lo
	s_delay_alu instid0(VALU_DEP_4) | instskip(NEXT) | instid1(VALU_DEP_4)
	v_add_co_u32 v2, vcc_lo, v2, v12
	v_add_co_ci_u32_e32 v3, vcc_lo, 0, v3, vcc_lo
	s_waitcnt lgkmcnt(1)
	v_cmp_gt_i64_e32 vcc_lo, v[0:1], v[19:20]
	v_cndmask_b32_e64 v12, 0, 1, vcc_lo
	v_add_co_u32 v2, vcc_lo, v2, v11
	v_add_co_ci_u32_e32 v3, vcc_lo, 0, v3, vcc_lo
	v_cmp_gt_i64_e32 vcc_lo, v[0:1], v[21:22]
	v_cndmask_b32_e64 v11, 0, 1, vcc_lo
	s_delay_alu instid0(VALU_DEP_4) | instskip(NEXT) | instid1(VALU_DEP_4)
	;; [unrolled: 10-line block ×3, first 2 shown]
	v_add_co_u32 v2, vcc_lo, v2, v12
	v_add_co_ci_u32_e32 v3, vcc_lo, 0, v3, vcc_lo
	s_delay_alu instid0(VALU_DEP_2) | instskip(NEXT) | instid1(VALU_DEP_2)
	v_add_co_u32 v2, vcc_lo, v2, v11
	v_add_co_ci_u32_e32 v3, vcc_lo, 0, v3, vcc_lo
	v_add_co_u32 v0, vcc_lo, v0, s38
	v_add_co_ci_u32_e32 v1, vcc_lo, 0, v1, vcc_lo
	s_delay_alu instid0(VALU_DEP_3) | instskip(NEXT) | instid1(VALU_DEP_1)
	v_lshlrev_b64 v[11:12], 3, v[2:3]
	v_add_co_u32 v11, vcc_lo, s40, v11
	s_delay_alu instid0(VALU_DEP_2)
	v_add_co_ci_u32_e32 v12, vcc_lo, s41, v12, vcc_lo
	global_store_b64 v[11:12], v[0:1], off
	s_and_b32 exec_lo, exec_lo, s0
	s_cbranch_execz .LBB115_66
; %bb.69:                               ;   in Loop: Header=BB115_67 Depth=1
	v_mul_lo_u32 v11, s3, v2
	v_mul_lo_u32 v12, s2, v3
	v_mad_u64_u32 v[0:1], null, s2, v2, 0
	ds_load_b64 v[2:3], v5
	v_add3_u32 v1, v1, v12, v11
	s_delay_alu instid0(VALU_DEP_1) | instskip(NEXT) | instid1(VALU_DEP_1)
	v_lshlrev_b64 v[0:1], 3, v[0:1]
	v_add_co_u32 v0, vcc_lo, v6, v0
	s_delay_alu instid0(VALU_DEP_2)
	v_add_co_ci_u32_e32 v1, vcc_lo, v7, v1, vcc_lo
	s_waitcnt lgkmcnt(0)
	global_store_b64 v[0:1], v[2:3], off
	s_branch .LBB115_66
.LBB115_70:
	s_nop 0
	s_sendmsg sendmsg(MSG_DEALLOC_VGPRS)
	s_endpgm
	.section	.rodata,"a",@progbits
	.p2align	6, 0x0
	.amdhsa_kernel _ZN9rocsparseL23bsrgemm_fill_wf_per_rowILj256ELj64ELj8ELj137ELj4ElldEEv20rocsparse_direction_T5_S2_S2_PKS2_S4_NS_24const_host_device_scalarIT6_EEPKT4_S4_PKS6_SA_S4_SC_S7_SA_S4_SC_SA_PS2_PS6_21rocsparse_index_base_SF_SF_SF_bbb
		.amdhsa_group_segment_fixed_size 4352
		.amdhsa_private_segment_fixed_size 0
		.amdhsa_kernarg_size 180
		.amdhsa_user_sgpr_count 15
		.amdhsa_user_sgpr_dispatch_ptr 0
		.amdhsa_user_sgpr_queue_ptr 0
		.amdhsa_user_sgpr_kernarg_segment_ptr 1
		.amdhsa_user_sgpr_dispatch_id 0
		.amdhsa_user_sgpr_private_segment_size 0
		.amdhsa_wavefront_size32 1
		.amdhsa_uses_dynamic_stack 0
		.amdhsa_enable_private_segment 0
		.amdhsa_system_sgpr_workgroup_id_x 1
		.amdhsa_system_sgpr_workgroup_id_y 0
		.amdhsa_system_sgpr_workgroup_id_z 0
		.amdhsa_system_sgpr_workgroup_info 0
		.amdhsa_system_vgpr_workitem_id 0
		.amdhsa_next_free_vgpr 46
		.amdhsa_next_free_sgpr 53
		.amdhsa_reserve_vcc 1
		.amdhsa_float_round_mode_32 0
		.amdhsa_float_round_mode_16_64 0
		.amdhsa_float_denorm_mode_32 3
		.amdhsa_float_denorm_mode_16_64 3
		.amdhsa_dx10_clamp 1
		.amdhsa_ieee_mode 1
		.amdhsa_fp16_overflow 0
		.amdhsa_workgroup_processor_mode 1
		.amdhsa_memory_ordered 1
		.amdhsa_forward_progress 0
		.amdhsa_shared_vgpr_count 0
		.amdhsa_exception_fp_ieee_invalid_op 0
		.amdhsa_exception_fp_denorm_src 0
		.amdhsa_exception_fp_ieee_div_zero 0
		.amdhsa_exception_fp_ieee_overflow 0
		.amdhsa_exception_fp_ieee_underflow 0
		.amdhsa_exception_fp_ieee_inexact 0
		.amdhsa_exception_int_div_zero 0
	.end_amdhsa_kernel
	.section	.text._ZN9rocsparseL23bsrgemm_fill_wf_per_rowILj256ELj64ELj8ELj137ELj4ElldEEv20rocsparse_direction_T5_S2_S2_PKS2_S4_NS_24const_host_device_scalarIT6_EEPKT4_S4_PKS6_SA_S4_SC_S7_SA_S4_SC_SA_PS2_PS6_21rocsparse_index_base_SF_SF_SF_bbb,"axG",@progbits,_ZN9rocsparseL23bsrgemm_fill_wf_per_rowILj256ELj64ELj8ELj137ELj4ElldEEv20rocsparse_direction_T5_S2_S2_PKS2_S4_NS_24const_host_device_scalarIT6_EEPKT4_S4_PKS6_SA_S4_SC_S7_SA_S4_SC_SA_PS2_PS6_21rocsparse_index_base_SF_SF_SF_bbb,comdat
.Lfunc_end115:
	.size	_ZN9rocsparseL23bsrgemm_fill_wf_per_rowILj256ELj64ELj8ELj137ELj4ElldEEv20rocsparse_direction_T5_S2_S2_PKS2_S4_NS_24const_host_device_scalarIT6_EEPKT4_S4_PKS6_SA_S4_SC_S7_SA_S4_SC_SA_PS2_PS6_21rocsparse_index_base_SF_SF_SF_bbb, .Lfunc_end115-_ZN9rocsparseL23bsrgemm_fill_wf_per_rowILj256ELj64ELj8ELj137ELj4ElldEEv20rocsparse_direction_T5_S2_S2_PKS2_S4_NS_24const_host_device_scalarIT6_EEPKT4_S4_PKS6_SA_S4_SC_S7_SA_S4_SC_SA_PS2_PS6_21rocsparse_index_base_SF_SF_SF_bbb
                                        ; -- End function
	.section	.AMDGPU.csdata,"",@progbits
; Kernel info:
; codeLenInByte = 3664
; NumSgprs: 55
; NumVgprs: 46
; ScratchSize: 0
; MemoryBound: 0
; FloatMode: 240
; IeeeMode: 1
; LDSByteSize: 4352 bytes/workgroup (compile time only)
; SGPRBlocks: 6
; VGPRBlocks: 5
; NumSGPRsForWavesPerEU: 55
; NumVGPRsForWavesPerEU: 46
; Occupancy: 16
; WaveLimiterHint : 1
; COMPUTE_PGM_RSRC2:SCRATCH_EN: 0
; COMPUTE_PGM_RSRC2:USER_SGPR: 15
; COMPUTE_PGM_RSRC2:TRAP_HANDLER: 0
; COMPUTE_PGM_RSRC2:TGID_X_EN: 1
; COMPUTE_PGM_RSRC2:TGID_Y_EN: 0
; COMPUTE_PGM_RSRC2:TGID_Z_EN: 0
; COMPUTE_PGM_RSRC2:TIDIG_COMP_CNT: 0
	.section	.text._ZN9rocsparseL23bsrgemm_fill_wf_per_rowILj256ELj64ELj16ELj137ELj4ElldEEv20rocsparse_direction_T5_S2_S2_PKS2_S4_NS_24const_host_device_scalarIT6_EEPKT4_S4_PKS6_SA_S4_SC_S7_SA_S4_SC_SA_PS2_PS6_21rocsparse_index_base_SF_SF_SF_bbb,"axG",@progbits,_ZN9rocsparseL23bsrgemm_fill_wf_per_rowILj256ELj64ELj16ELj137ELj4ElldEEv20rocsparse_direction_T5_S2_S2_PKS2_S4_NS_24const_host_device_scalarIT6_EEPKT4_S4_PKS6_SA_S4_SC_S7_SA_S4_SC_SA_PS2_PS6_21rocsparse_index_base_SF_SF_SF_bbb,comdat
	.globl	_ZN9rocsparseL23bsrgemm_fill_wf_per_rowILj256ELj64ELj16ELj137ELj4ElldEEv20rocsparse_direction_T5_S2_S2_PKS2_S4_NS_24const_host_device_scalarIT6_EEPKT4_S4_PKS6_SA_S4_SC_S7_SA_S4_SC_SA_PS2_PS6_21rocsparse_index_base_SF_SF_SF_bbb ; -- Begin function _ZN9rocsparseL23bsrgemm_fill_wf_per_rowILj256ELj64ELj16ELj137ELj4ElldEEv20rocsparse_direction_T5_S2_S2_PKS2_S4_NS_24const_host_device_scalarIT6_EEPKT4_S4_PKS6_SA_S4_SC_S7_SA_S4_SC_SA_PS2_PS6_21rocsparse_index_base_SF_SF_SF_bbb
	.p2align	8
	.type	_ZN9rocsparseL23bsrgemm_fill_wf_per_rowILj256ELj64ELj16ELj137ELj4ElldEEv20rocsparse_direction_T5_S2_S2_PKS2_S4_NS_24const_host_device_scalarIT6_EEPKT4_S4_PKS6_SA_S4_SC_S7_SA_S4_SC_SA_PS2_PS6_21rocsparse_index_base_SF_SF_SF_bbb,@function
_ZN9rocsparseL23bsrgemm_fill_wf_per_rowILj256ELj64ELj16ELj137ELj4ElldEEv20rocsparse_direction_T5_S2_S2_PKS2_S4_NS_24const_host_device_scalarIT6_EEPKT4_S4_PKS6_SA_S4_SC_S7_SA_S4_SC_SA_PS2_PS6_21rocsparse_index_base_SF_SF_SF_bbb: ; @_ZN9rocsparseL23bsrgemm_fill_wf_per_rowILj256ELj64ELj16ELj137ELj4ElldEEv20rocsparse_direction_T5_S2_S2_PKS2_S4_NS_24const_host_device_scalarIT6_EEPKT4_S4_PKS6_SA_S4_SC_S7_SA_S4_SC_SA_PS2_PS6_21rocsparse_index_base_SF_SF_SF_bbb
; %bb.0:
	s_clause 0x2
	s_load_b32 s6, s[0:1], 0xb0
	s_load_b64 s[4:5], s[0:1], 0x30
	s_load_b64 s[2:3], s[0:1], 0x68
	s_waitcnt lgkmcnt(0)
	s_and_b32 s8, 1, s6
	s_bitcmp1_b32 s6, 16
	s_cselect_b32 s7, -1, 0
	s_cmp_eq_u32 s8, 1
	s_cselect_b32 s12, -1, 0
	s_delay_alu instid0(SALU_CYCLE_1)
	s_and_b32 s8, s12, exec_lo
	s_cselect_b32 s9, s5, 0
	s_cselect_b32 s8, s4, 0
	s_xor_b32 s10, s12, -1
	v_dual_mov_b32 v13, s9 :: v_dual_mov_b32 v12, s8
	s_or_b32 s10, s10, s7
	s_delay_alu instid0(SALU_CYCLE_1)
	s_and_b32 vcc_lo, exec_lo, s10
	s_cbranch_vccnz .LBB116_2
; %bb.1:
	v_dual_mov_b32 v1, s4 :: v_dual_mov_b32 v2, s5
	flat_load_b64 v[12:13], v[1:2]
.LBB116_2:
	s_load_b128 s[36:39], s[0:1], 0xa0
	s_bitcmp1_b32 s6, 8
	s_cselect_b32 s34, -1, 0
	s_delay_alu instid0(SALU_CYCLE_1)
	s_and_b32 s4, s34, exec_lo
	s_cselect_b32 s5, s3, 0
	s_cselect_b32 s4, s2, 0
	s_xor_b32 s6, s34, -1
	v_dual_mov_b32 v4, s4 :: v_dual_mov_b32 v5, s5
	s_or_b32 s6, s6, s7
	s_delay_alu instid0(SALU_CYCLE_1)
	s_and_b32 vcc_lo, exec_lo, s6
	s_cbranch_vccnz .LBB116_4
; %bb.3:
	v_dual_mov_b32 v1, s2 :: v_dual_mov_b32 v2, s3
	flat_load_b64 v[4:5], v[1:2]
.LBB116_4:
	s_clause 0x5
	s_load_b128 s[40:43], s[0:1], 0x90
	s_load_b256 s[16:23], s[0:1], 0x70
	s_load_b128 s[44:47], s[0:1], 0x58
	s_load_b256 s[4:11], s[0:1], 0x8
	s_load_b64 s[2:3], s[0:1], 0x28
	s_load_b256 s[24:31], s[0:1], 0x38
	v_lshrrev_b32_e32 v39, 6, v0
	v_and_b32_e32 v3, 63, v0
	s_mov_b32 s13, exec_lo
	s_delay_alu instid0(VALU_DEP_2) | instskip(NEXT) | instid1(VALU_DEP_2)
	v_lshl_or_b32 v38, v39, 7, 0x2000
	v_cmpx_gt_u32_e32 16, v3
	s_cbranch_execz .LBB116_6
; %bb.5:
	s_delay_alu instid0(VALU_DEP_2)
	v_lshl_add_u32 v6, v3, 3, v38
	s_waitcnt lgkmcnt(0)
	v_dual_mov_b32 v1, s6 :: v_dual_mov_b32 v2, s7
	ds_store_b64 v6, v[1:2]
.LBB116_6:
	s_or_b32 exec_lo, exec_lo, s13
	v_dual_mov_b32 v1, 0 :: v_dual_lshlrev_b32 v40, 11, v39
	v_or_b32_e32 v6, 0xffffffc0, v3
	s_mov_b32 s13, 0
	s_delay_alu instid0(VALU_DEP_2) | instskip(NEXT) | instid1(VALU_DEP_3)
	v_lshl_or_b32 v7, v3, 3, v40
	v_mov_b32_e32 v2, v1
.LBB116_7:                              ; =>This Inner Loop Header: Depth=1
	s_delay_alu instid0(VALU_DEP_3) | instskip(SKIP_4) | instid1(SALU_CYCLE_1)
	v_add_nc_u32_e32 v6, 64, v6
	ds_store_b64 v7, v[1:2]
	v_add_nc_u32_e32 v7, 0x200, v7
	v_cmp_lt_u32_e32 vcc_lo, 0xbf, v6
	s_or_b32 s13, vcc_lo, s13
	s_and_not1_b32 exec_lo, exec_lo, s13
	s_cbranch_execnz .LBB116_7
; %bb.8:
	s_or_b32 exec_lo, exec_lo, s13
	v_lshl_or_b32 v1, s15, 2, v39
	v_mov_b32_e32 v2, 0
	s_waitcnt vmcnt(0) lgkmcnt(0)
	s_barrier
	buffer_gl0_inv
	v_cmp_gt_i64_e32 vcc_lo, s[4:5], v[1:2]
	s_and_saveexec_b32 s4, vcc_lo
	s_cbranch_execz .LBB116_70
; %bb.9:
	s_cmp_eq_u64 s[2:3], 0
	s_cbranch_scc1 .LBB116_11
; %bb.10:
	s_load_b64 s[4:5], s[10:11], 0x0
	v_lshlrev_b64 v[1:2], 3, v[1:2]
	s_waitcnt lgkmcnt(0)
	s_lshl_b64 s[4:5], s[4:5], 3
	s_delay_alu instid0(SALU_CYCLE_1) | instskip(SKIP_1) | instid1(VALU_DEP_1)
	s_add_u32 s2, s2, s4
	s_addc_u32 s3, s3, s5
	v_add_co_u32 v1, vcc_lo, s2, v1
	v_add_co_ci_u32_e32 v2, vcc_lo, s3, v2, vcc_lo
	global_load_b64 v[1:2], v[1:2], off
.LBB116_11:
	s_load_b32 s33, s[0:1], 0x0
	s_waitcnt vmcnt(0)
	v_lshlrev_b64 v[10:11], 3, v[1:2]
	v_lshrrev_b32_e32 v41, 4, v3
	v_and_b32_e32 v8, 3, v0
	v_bfe_u32 v6, v0, 2, 2
	s_and_not1_b32 vcc_lo, exec_lo, s12
	s_mul_i32 s14, s8, s9
	s_mul_hi_u32 s15, s8, s8
	s_mul_i32 s2, s8, s8
	s_cbranch_vccnz .LBB116_43
; %bb.12:
	v_add_co_u32 v0, vcc_lo, s24, v10
	v_add_co_ci_u32_e32 v1, vcc_lo, s25, v11, vcc_lo
	v_sub_co_u32 v7, s0, v41, s36
	s_delay_alu instid0(VALU_DEP_1)
	v_sub_co_ci_u32_e64 v9, null, 0, 0, s0
	global_load_b128 v[0:3], v[0:1], off
	s_mov_b32 s25, 0
	s_mov_b32 s24, exec_lo
	s_waitcnt vmcnt(0)
	v_sub_co_u32 v14, vcc_lo, v2, s36
	v_subrev_co_ci_u32_e32 v15, vcc_lo, 0, v3, vcc_lo
	v_add_co_u32 v16, vcc_lo, v0, v7
	v_add_co_ci_u32_e32 v17, vcc_lo, v1, v9, vcc_lo
	s_delay_alu instid0(VALU_DEP_1)
	v_cmpx_lt_i64_e64 v[16:17], v[14:15]
	s_cbranch_execz .LBB116_42
; %bb.13:
	v_mul_lo_u32 v2, s9, v16
	v_mul_lo_u32 v3, s8, v17
	v_mad_u64_u32 v[0:1], null, s8, v16, 0
	s_waitcnt lgkmcnt(0)
	s_cmp_lg_u32 s33, 0
	v_mul_lo_u32 v20, s2, v17
	s_cselect_b32 s35, -1, 0
	s_add_i32 s0, s15, s14
	v_dual_mov_b32 v9, 0 :: v_dual_lshlrev_b32 v18, 3, v8
	s_add_i32 s3, s0, s14
	v_add3_u32 v1, v1, v3, v2
	v_mul_lo_u32 v19, s3, v16
	v_mad_u64_u32 v[2:3], null, s2, v16, 0
	v_dual_mov_b32 v7, v9 :: v_dual_lshlrev_b32 v22, 3, v6
	s_delay_alu instid0(VALU_DEP_4) | instskip(SKIP_2) | instid1(VALU_DEP_3)
	v_lshlrev_b64 v[0:1], 3, v[0:1]
	v_cmp_gt_i64_e32 vcc_lo, s[8:9], v[8:9]
	s_lshl_b64 s[4:5], s[8:9], 3
	v_cmp_gt_u64_e64 s0, s[8:9], v[6:7]
	v_add3_u32 v3, v3, v20, v19
	v_lshlrev_b32_e32 v7, 5, v6
	v_add_co_u32 v19, s1, v0, v22
	s_delay_alu instid0(VALU_DEP_1) | instskip(NEXT) | instid1(VALU_DEP_4)
	v_add_co_ci_u32_e64 v20, s1, 0, v1, s1
	v_lshlrev_b64 v[0:1], 3, v[2:3]
	s_delay_alu instid0(VALU_DEP_3) | instskip(SKIP_1) | instid1(VALU_DEP_3)
	v_mul_lo_u32 v3, s9, v19
	s_and_b32 s48, vcc_lo, s0
	v_mul_lo_u32 v2, s8, v20
	v_mad_u64_u32 v[20:21], null, s8, v19, s[28:29]
	s_delay_alu instid0(VALU_DEP_4) | instskip(SKIP_2) | instid1(VALU_DEP_3)
	v_add_co_u32 v0, vcc_lo, v0, v22
	v_add_co_ci_u32_e32 v1, vcc_lo, 0, v1, vcc_lo
	v_add_co_u32 v24, s0, s46, v18
	v_add_co_u32 v22, vcc_lo, s28, v0
	v_add3_u32 v7, v40, v18, v7
	v_mov_b32_e32 v19, v9
	v_add_co_ci_u32_e32 v23, vcc_lo, s29, v1, vcc_lo
	v_add3_u32 v21, v3, v21, v2
	v_add_co_ci_u32_e64 v25, null, s47, 0, s0
	s_lshl_b64 s[10:11], s[2:3], 3
	s_lshl_b64 s[12:13], s[2:3], 5
	s_branch .LBB116_15
.LBB116_14:                             ;   in Loop: Header=BB116_15 Depth=1
	s_or_b32 exec_lo, exec_lo, s3
	v_add_co_u32 v16, vcc_lo, v16, 4
	v_add_co_ci_u32_e32 v17, vcc_lo, 0, v17, vcc_lo
	v_add_co_u32 v22, vcc_lo, v22, s12
	v_add_co_ci_u32_e32 v23, vcc_lo, s13, v23, vcc_lo
	s_delay_alu instid0(VALU_DEP_3) | instskip(SKIP_1) | instid1(VALU_DEP_1)
	v_cmp_ge_i64_e32 vcc_lo, v[16:17], v[14:15]
	v_add_co_u32 v20, s0, v20, s12
	v_add_co_ci_u32_e64 v21, s0, s13, v21, s0
	s_or_b32 s25, vcc_lo, s25
	s_delay_alu instid0(SALU_CYCLE_1)
	s_and_not1_b32 exec_lo, exec_lo, s25
	s_cbranch_execz .LBB116_42
.LBB116_15:                             ; =>This Loop Header: Depth=1
                                        ;     Child Loop BB116_18 Depth 2
                                        ;       Child Loop BB116_25 Depth 3
                                        ;       Child Loop BB116_21 Depth 3
	;; [unrolled: 1-line block ×3, first 2 shown]
                                        ;         Child Loop BB116_34 Depth 4
                                        ;         Child Loop BB116_40 Depth 4
	v_lshlrev_b64 v[0:1], 3, v[16:17]
	s_mov_b32 s3, exec_lo
	s_delay_alu instid0(VALU_DEP_1) | instskip(NEXT) | instid1(VALU_DEP_2)
	v_add_co_u32 v0, vcc_lo, s26, v0
	v_add_co_ci_u32_e32 v1, vcc_lo, s27, v1, vcc_lo
	global_load_b64 v[0:1], v[0:1], off
	s_waitcnt vmcnt(0)
	v_sub_co_u32 v0, vcc_lo, v0, s36
	v_subrev_co_ci_u32_e32 v1, vcc_lo, 0, v1, vcc_lo
	s_delay_alu instid0(VALU_DEP_1) | instskip(NEXT) | instid1(VALU_DEP_1)
	v_lshlrev_b64 v[0:1], 3, v[0:1]
	v_add_co_u32 v0, vcc_lo, s30, v0
	s_delay_alu instid0(VALU_DEP_2)
	v_add_co_ci_u32_e32 v1, vcc_lo, s31, v1, vcc_lo
	global_load_b128 v[0:3], v[0:1], off
	s_waitcnt vmcnt(0)
	v_cmpx_lt_i64_e64 v[0:1], v[2:3]
	s_cbranch_execz .LBB116_14
; %bb.16:                               ;   in Loop: Header=BB116_15 Depth=1
	v_sub_co_u32 v0, vcc_lo, v0, s37
	v_subrev_co_ci_u32_e32 v1, vcc_lo, 0, v1, vcc_lo
	v_sub_co_u32 v2, vcc_lo, v2, s37
	s_delay_alu instid0(VALU_DEP_3) | instskip(NEXT) | instid1(VALU_DEP_3)
	v_mul_lo_u32 v26, s5, v0
	v_mul_lo_u32 v9, s4, v1
	v_mad_u64_u32 v[28:29], null, s4, v0, v[18:19]
	v_mul_lo_u32 v30, s10, v1
	v_mul_lo_u32 v31, s11, v0
	v_subrev_co_ci_u32_e32 v3, vcc_lo, 0, v3, vcc_lo
	s_mov_b32 s28, 0
	s_delay_alu instid0(VALU_DEP_4) | instskip(SKIP_3) | instid1(VALU_DEP_4)
	v_add3_u32 v9, v26, v29, v9
	v_mul_lo_u32 v32, s9, v28
	v_mad_u64_u32 v[26:27], null, s8, v28, s[46:47]
	v_mad_u64_u32 v[28:29], null, s10, v0, v[24:25]
	v_mul_lo_u32 v9, s8, v9
	s_delay_alu instid0(VALU_DEP_2) | instskip(NEXT) | instid1(VALU_DEP_2)
	v_add3_u32 v29, v31, v29, v30
	v_add3_u32 v27, v32, v27, v9
	s_branch .LBB116_18
.LBB116_17:                             ;   in Loop: Header=BB116_18 Depth=2
	s_or_b32 exec_lo, exec_lo, s29
	v_add_co_u32 v0, vcc_lo, v0, 1
	v_add_co_ci_u32_e32 v1, vcc_lo, 0, v1, vcc_lo
	v_add_co_u32 v26, vcc_lo, v26, s10
	v_add_co_ci_u32_e32 v27, vcc_lo, s11, v27, vcc_lo
	s_delay_alu instid0(VALU_DEP_3) | instskip(SKIP_1) | instid1(VALU_DEP_1)
	v_cmp_ge_i64_e32 vcc_lo, v[0:1], v[2:3]
	v_add_co_u32 v28, s0, v28, s10
	v_add_co_ci_u32_e64 v29, s0, s11, v29, s0
	s_or_b32 s28, vcc_lo, s28
	s_delay_alu instid0(SALU_CYCLE_1)
	s_and_not1_b32 exec_lo, exec_lo, s28
	s_cbranch_execz .LBB116_14
.LBB116_18:                             ;   Parent Loop BB116_15 Depth=1
                                        ; =>  This Loop Header: Depth=2
                                        ;       Child Loop BB116_25 Depth 3
                                        ;       Child Loop BB116_21 Depth 3
	;; [unrolled: 1-line block ×3, first 2 shown]
                                        ;         Child Loop BB116_34 Depth 4
                                        ;         Child Loop BB116_40 Depth 4
	s_and_saveexec_b32 s29, s48
	s_cbranch_execz .LBB116_17
; %bb.19:                               ;   in Loop: Header=BB116_18 Depth=2
	v_lshlrev_b64 v[30:31], 3, v[0:1]
	s_delay_alu instid0(VALU_DEP_1) | instskip(NEXT) | instid1(VALU_DEP_2)
	v_add_co_u32 v30, vcc_lo, s44, v30
	v_add_co_ci_u32_e32 v31, vcc_lo, s45, v31, vcc_lo
	s_and_not1_b32 vcc_lo, exec_lo, s35
	global_load_b64 v[32:33], v[30:31], off
	s_cbranch_vccnz .LBB116_23
; %bb.20:                               ;   in Loop: Header=BB116_18 Depth=2
	v_dual_mov_b32 v30, 0 :: v_dual_mov_b32 v35, v23
	v_dual_mov_b32 v31, 0 :: v_dual_mov_b32 v34, v22
	;; [unrolled: 1-line block ×3, first 2 shown]
	s_mov_b64 s[0:1], s[8:9]
.LBB116_21:                             ;   Parent Loop BB116_15 Depth=1
                                        ;     Parent Loop BB116_18 Depth=2
                                        ; =>    This Inner Loop Header: Depth=3
	global_load_b64 v[42:43], v[34:35], off
	global_load_b64 v[44:45], v[36:37], off
	v_add_co_u32 v36, vcc_lo, v36, 8
	v_add_co_ci_u32_e32 v37, vcc_lo, 0, v37, vcc_lo
	v_add_co_u32 v34, vcc_lo, v34, s4
	s_add_u32 s0, s0, -1
	v_add_co_ci_u32_e32 v35, vcc_lo, s5, v35, vcc_lo
	s_addc_u32 s1, s1, -1
	s_delay_alu instid0(SALU_CYCLE_1)
	s_cmp_lg_u64 s[0:1], 0
	s_waitcnt vmcnt(0)
	v_fma_f64 v[30:31], v[42:43], v[44:45], v[30:31]
	s_cbranch_scc1 .LBB116_21
; %bb.22:                               ;   in Loop: Header=BB116_18 Depth=2
	s_branch .LBB116_26
.LBB116_23:                             ;   in Loop: Header=BB116_18 Depth=2
                                        ; implicit-def: $vgpr30_vgpr31
	s_cbranch_execz .LBB116_26
; %bb.24:                               ;   in Loop: Header=BB116_18 Depth=2
	v_dual_mov_b32 v30, 0 :: v_dual_mov_b32 v35, v29
	v_dual_mov_b32 v31, 0 :: v_dual_mov_b32 v34, v28
	;; [unrolled: 1-line block ×3, first 2 shown]
	s_mov_b64 s[0:1], s[8:9]
.LBB116_25:                             ;   Parent Loop BB116_15 Depth=1
                                        ;     Parent Loop BB116_18 Depth=2
                                        ; =>    This Inner Loop Header: Depth=3
	global_load_b64 v[42:43], v[36:37], off
	global_load_b64 v[44:45], v[34:35], off
	v_add_co_u32 v36, vcc_lo, v36, 8
	v_add_co_ci_u32_e32 v37, vcc_lo, 0, v37, vcc_lo
	v_add_co_u32 v34, vcc_lo, v34, s4
	s_add_u32 s0, s0, -1
	v_add_co_ci_u32_e32 v35, vcc_lo, s5, v35, vcc_lo
	s_addc_u32 s1, s1, -1
	s_delay_alu instid0(SALU_CYCLE_1)
	s_cmp_eq_u64 s[0:1], 0
	s_waitcnt vmcnt(0)
	v_fma_f64 v[30:31], v[42:43], v[44:45], v[30:31]
	s_cbranch_scc0 .LBB116_25
.LBB116_26:                             ;   in Loop: Header=BB116_18 Depth=2
	s_delay_alu instid0(VALU_DEP_1) | instskip(SKIP_4) | instid1(VALU_DEP_2)
	v_mul_f64 v[30:31], v[12:13], v[30:31]
	s_waitcnt vmcnt(0)
	v_sub_co_u32 v32, vcc_lo, v32, s37
	v_subrev_co_ci_u32_e32 v33, vcc_lo, 0, v33, vcc_lo
	s_mov_b32 s0, 0
	v_lshl_add_u32 v9, v32, 3, v32
	s_delay_alu instid0(VALU_DEP_1)
	v_and_b32_e32 v9, 15, v9
	s_branch .LBB116_28
.LBB116_27:                             ;   in Loop: Header=BB116_28 Depth=3
	s_or_b32 exec_lo, exec_lo, s1
	s_xor_b32 s1, s49, -1
	s_delay_alu instid0(SALU_CYCLE_1) | instskip(NEXT) | instid1(SALU_CYCLE_1)
	s_and_b32 s1, exec_lo, s1
	s_or_b32 s0, s1, s0
	s_delay_alu instid0(SALU_CYCLE_1)
	s_and_not1_b32 exec_lo, exec_lo, s0
	s_cbranch_execz .LBB116_17
.LBB116_28:                             ;   Parent Loop BB116_15 Depth=1
                                        ;     Parent Loop BB116_18 Depth=2
                                        ; =>    This Loop Header: Depth=3
                                        ;         Child Loop BB116_34 Depth 4
                                        ;         Child Loop BB116_40 Depth 4
	s_delay_alu instid0(VALU_DEP_1)
	v_lshl_add_u32 v36, v9, 3, v38
	s_mov_b32 s1, exec_lo
                                        ; implicit-def: $sgpr49
	ds_load_b64 v[34:35], v36
	s_waitcnt lgkmcnt(0)
	v_cmpx_ne_u64_e64 v[34:35], v[32:33]
	s_xor_b32 s1, exec_lo, s1
	s_cbranch_execz .LBB116_38
; %bb.29:                               ;   in Loop: Header=BB116_28 Depth=3
	s_mov_b32 s50, exec_lo
                                        ; implicit-def: $sgpr49
	v_cmpx_ne_u64_e64 s[6:7], v[34:35]
	s_xor_b32 s50, exec_lo, s50
; %bb.30:                               ;   in Loop: Header=BB116_28 Depth=3
	v_add_nc_u32_e32 v9, 1, v9
	s_mov_b32 s49, -1
                                        ; implicit-def: $vgpr36
	s_delay_alu instid0(VALU_DEP_1)
	v_and_b32_e32 v9, 15, v9
; %bb.31:                               ;   in Loop: Header=BB116_28 Depth=3
	s_and_not1_saveexec_b32 s50, s50
	s_cbranch_execz .LBB116_37
; %bb.32:                               ;   in Loop: Header=BB116_28 Depth=3
	v_dual_mov_b32 v35, s7 :: v_dual_mov_b32 v34, s6
	s_mov_b32 s52, -1
	s_mov_b32 s51, exec_lo
	ds_cmpstore_rtn_b64 v[34:35], v36, v[32:33], v[34:35]
	s_waitcnt lgkmcnt(0)
	v_cmpx_eq_u64_e64 s[6:7], v[34:35]
	s_cbranch_execz .LBB116_36
; %bb.33:                               ;   in Loop: Header=BB116_28 Depth=3
	v_lshlrev_b32_e32 v34, 7, v9
	s_mov_b32 s52, 0
	s_delay_alu instid0(VALU_DEP_1)
	v_add_nc_u32_e32 v36, v7, v34
	ds_load_b64 v[34:35], v36
.LBB116_34:                             ;   Parent Loop BB116_15 Depth=1
                                        ;     Parent Loop BB116_18 Depth=2
                                        ;       Parent Loop BB116_28 Depth=3
                                        ; =>      This Inner Loop Header: Depth=4
	s_waitcnt lgkmcnt(0)
	v_add_f64 v[42:43], v[34:35], v[30:31]
	ds_cmpstore_rtn_b64 v[42:43], v36, v[42:43], v[34:35]
	s_waitcnt lgkmcnt(0)
	v_cmp_eq_u64_e32 vcc_lo, v[42:43], v[34:35]
	v_dual_mov_b32 v34, v42 :: v_dual_mov_b32 v35, v43
	s_or_b32 s52, vcc_lo, s52
	s_delay_alu instid0(SALU_CYCLE_1)
	s_and_not1_b32 exec_lo, exec_lo, s52
	s_cbranch_execnz .LBB116_34
; %bb.35:                               ;   in Loop: Header=BB116_28 Depth=3
	s_or_b32 exec_lo, exec_lo, s52
	s_delay_alu instid0(SALU_CYCLE_1)
	s_xor_b32 s52, exec_lo, -1
.LBB116_36:                             ;   in Loop: Header=BB116_28 Depth=3
	s_or_b32 exec_lo, exec_lo, s51
	s_delay_alu instid0(SALU_CYCLE_1) | instskip(SKIP_1) | instid1(SALU_CYCLE_1)
	s_and_not1_b32 s49, s49, exec_lo
	s_and_b32 s51, s52, exec_lo
	s_or_b32 s49, s49, s51
.LBB116_37:                             ;   in Loop: Header=BB116_28 Depth=3
	s_or_b32 exec_lo, exec_lo, s50
	s_delay_alu instid0(SALU_CYCLE_1)
	s_and_b32 s49, s49, exec_lo
.LBB116_38:                             ;   in Loop: Header=BB116_28 Depth=3
	s_and_not1_saveexec_b32 s1, s1
	s_cbranch_execz .LBB116_27
; %bb.39:                               ;   in Loop: Header=BB116_28 Depth=3
	v_lshlrev_b32_e32 v34, 7, v9
	s_mov_b32 s50, 0
	s_delay_alu instid0(VALU_DEP_1)
	v_add_nc_u32_e32 v36, v7, v34
	ds_load_b64 v[34:35], v36
.LBB116_40:                             ;   Parent Loop BB116_15 Depth=1
                                        ;     Parent Loop BB116_18 Depth=2
                                        ;       Parent Loop BB116_28 Depth=3
                                        ; =>      This Inner Loop Header: Depth=4
	s_waitcnt lgkmcnt(0)
	v_add_f64 v[42:43], v[34:35], v[30:31]
	ds_cmpstore_rtn_b64 v[42:43], v36, v[42:43], v[34:35]
	s_waitcnt lgkmcnt(0)
	v_cmp_eq_u64_e32 vcc_lo, v[42:43], v[34:35]
	v_dual_mov_b32 v34, v42 :: v_dual_mov_b32 v35, v43
	s_or_b32 s50, vcc_lo, s50
	s_delay_alu instid0(SALU_CYCLE_1)
	s_and_not1_b32 exec_lo, exec_lo, s50
	s_cbranch_execnz .LBB116_40
; %bb.41:                               ;   in Loop: Header=BB116_28 Depth=3
	s_or_b32 exec_lo, exec_lo, s50
	s_delay_alu instid0(SALU_CYCLE_1)
	s_and_not1_b32 s49, s49, exec_lo
	s_branch .LBB116_27
.LBB116_42:
	s_or_b32 exec_lo, exec_lo, s24
.LBB116_43:
	s_delay_alu instid0(SALU_CYCLE_1)
	s_and_not1_b32 vcc_lo, exec_lo, s34
	s_waitcnt lgkmcnt(0)
	s_barrier
	buffer_gl0_inv
	s_cbranch_vccnz .LBB116_65
; %bb.44:
	v_add_co_u32 v0, vcc_lo, s16, v10
	v_add_co_ci_u32_e32 v1, vcc_lo, s17, v11, vcc_lo
	v_sub_co_u32 v2, s0, v41, s39
	s_delay_alu instid0(VALU_DEP_1)
	v_sub_co_ci_u32_e64 v3, null, 0, 0, s0
	global_load_b128 v[12:15], v[0:1], off
	s_mov_b32 s3, 0
	s_mov_b32 s4, exec_lo
	s_waitcnt vmcnt(0)
	v_sub_co_u32 v0, vcc_lo, v14, s39
	v_subrev_co_ci_u32_e32 v1, vcc_lo, 0, v15, vcc_lo
	v_add_co_u32 v2, vcc_lo, v12, v2
	v_add_co_ci_u32_e32 v3, vcc_lo, v13, v3, vcc_lo
	s_delay_alu instid0(VALU_DEP_1)
	v_cmpx_lt_i64_e64 v[2:3], v[0:1]
	s_cbranch_execz .LBB116_64
; %bb.45:
	v_mad_u64_u32 v[12:13], null, v8, s8, 0
	v_mad_u64_u32 v[14:15], null, v6, s8, 0
	v_lshlrev_b32_e32 v19, 5, v6
	s_cmp_eq_u32 s33, 0
	s_mov_b32 s5, s39
	s_cselect_b32 s1, -1, 0
	s_delay_alu instid0(VALU_DEP_3) | instskip(NEXT) | instid1(VALU_DEP_3)
	v_dual_mov_b32 v7, v13 :: v_dual_lshlrev_b32 v18, 3, v8
	v_mov_b32_e32 v9, v15
	s_add_i32 s10, s15, s14
	s_delay_alu instid0(VALU_DEP_2) | instskip(NEXT) | instid1(VALU_DEP_2)
	v_mad_u64_u32 v[15:16], null, v8, s9, v[7:8]
	v_mad_u64_u32 v[16:17], null, v6, s9, v[9:10]
	v_mov_b32_e32 v9, 0
	s_delay_alu instid0(VALU_DEP_3) | instskip(NEXT) | instid1(VALU_DEP_2)
	v_mov_b32_e32 v13, v15
	v_mov_b32_e32 v7, v9
	s_delay_alu instid0(VALU_DEP_4) | instskip(SKIP_1) | instid1(VALU_DEP_4)
	v_mov_b32_e32 v15, v16
	v_cmp_gt_i64_e32 vcc_lo, s[8:9], v[8:9]
	v_lshlrev_b64 v[12:13], 3, v[12:13]
	s_delay_alu instid0(VALU_DEP_4) | instskip(NEXT) | instid1(VALU_DEP_4)
	v_lshlrev_b64 v[16:17], 3, v[6:7]
	v_lshlrev_b64 v[14:15], 3, v[14:15]
	s_delay_alu instid0(VALU_DEP_3) | instskip(NEXT) | instid1(VALU_DEP_1)
	v_add_co_u32 v9, s0, s20, v12
	v_add_co_ci_u32_e64 v12, s0, s21, v13, s0
	s_delay_alu instid0(VALU_DEP_3) | instskip(NEXT) | instid1(VALU_DEP_1)
	v_add_co_u32 v13, s0, s20, v14
	v_add_co_ci_u32_e64 v14, s0, s21, v15, s0
	s_delay_alu instid0(VALU_DEP_4) | instskip(NEXT) | instid1(VALU_DEP_1)
	v_add_co_u32 v15, s0, v9, v16
	v_add_co_ci_u32_e64 v12, s0, v12, v17, s0
	s_delay_alu instid0(VALU_DEP_4) | instskip(NEXT) | instid1(VALU_DEP_1)
	v_add_co_u32 v13, s0, v13, v18
	v_add_co_ci_u32_e64 v14, s0, 0, v14, s0
	v_cmp_gt_u64_e64 s0, s[8:9], v[6:7]
	v_add3_u32 v9, v40, v18, v19
	s_delay_alu instid0(VALU_DEP_4) | instskip(NEXT) | instid1(VALU_DEP_4)
	v_cndmask_b32_e64 v18, v15, v13, s1
	v_cndmask_b32_e64 v7, v12, v14, s1
	s_add_i32 s1, s10, s14
	s_delay_alu instid0(VALU_DEP_4)
	s_and_b32 s0, vcc_lo, s0
	s_branch .LBB116_47
.LBB116_46:                             ;   in Loop: Header=BB116_47 Depth=1
	s_or_b32 exec_lo, exec_lo, s10
	v_add_co_u32 v2, vcc_lo, v2, 4
	v_add_co_ci_u32_e32 v3, vcc_lo, 0, v3, vcc_lo
	s_delay_alu instid0(VALU_DEP_1) | instskip(SKIP_1) | instid1(SALU_CYCLE_1)
	v_cmp_ge_i64_e32 vcc_lo, v[2:3], v[0:1]
	s_or_b32 s3, vcc_lo, s3
	s_and_not1_b32 exec_lo, exec_lo, s3
	s_cbranch_execz .LBB116_64
.LBB116_47:                             ; =>This Loop Header: Depth=1
                                        ;     Child Loop BB116_50 Depth 2
                                        ;       Child Loop BB116_56 Depth 3
                                        ;       Child Loop BB116_62 Depth 3
	s_and_saveexec_b32 s10, s0
	s_cbranch_execz .LBB116_46
; %bb.48:                               ;   in Loop: Header=BB116_47 Depth=1
	v_mul_lo_u32 v14, s1, v2
	v_mul_lo_u32 v15, s2, v3
	v_mad_u64_u32 v[12:13], null, s2, v2, 0
	s_mov_b32 s11, 0
	s_delay_alu instid0(VALU_DEP_1) | instskip(SKIP_1) | instid1(VALU_DEP_2)
	v_add3_u32 v13, v13, v15, v14
	v_lshlrev_b64 v[14:15], 3, v[2:3]
	v_lshlrev_b64 v[12:13], 3, v[12:13]
	s_delay_alu instid0(VALU_DEP_1) | instskip(NEXT) | instid1(VALU_DEP_2)
	v_add_co_u32 v12, vcc_lo, v18, v12
	v_add_co_ci_u32_e32 v13, vcc_lo, v7, v13, vcc_lo
	s_delay_alu instid0(VALU_DEP_4)
	v_add_co_u32 v14, vcc_lo, s18, v14
	v_add_co_ci_u32_e32 v15, vcc_lo, s19, v15, vcc_lo
	global_load_b64 v[12:13], v[12:13], off
	global_load_b64 v[14:15], v[14:15], off
	s_waitcnt vmcnt(1)
	v_mul_f64 v[12:13], v[4:5], v[12:13]
	s_waitcnt vmcnt(0)
	v_sub_co_u32 v14, vcc_lo, v14, s5
	v_subrev_co_ci_u32_e32 v15, vcc_lo, 0, v15, vcc_lo
	s_delay_alu instid0(VALU_DEP_2) | instskip(NEXT) | instid1(VALU_DEP_1)
	v_lshl_add_u32 v16, v14, 3, v14
	v_and_b32_e32 v19, 15, v16
	s_branch .LBB116_50
.LBB116_49:                             ;   in Loop: Header=BB116_50 Depth=2
	s_or_b32 exec_lo, exec_lo, s12
	s_xor_b32 s12, s13, -1
	s_delay_alu instid0(SALU_CYCLE_1) | instskip(NEXT) | instid1(SALU_CYCLE_1)
	s_and_b32 s12, exec_lo, s12
	s_or_b32 s11, s12, s11
	s_delay_alu instid0(SALU_CYCLE_1)
	s_and_not1_b32 exec_lo, exec_lo, s11
	s_cbranch_execz .LBB116_46
.LBB116_50:                             ;   Parent Loop BB116_47 Depth=1
                                        ; =>  This Loop Header: Depth=2
                                        ;       Child Loop BB116_56 Depth 3
                                        ;       Child Loop BB116_62 Depth 3
	s_delay_alu instid0(VALU_DEP_1)
	v_lshl_add_u32 v20, v19, 3, v38
	s_mov_b32 s12, exec_lo
                                        ; implicit-def: $sgpr13
	ds_load_b64 v[16:17], v20
	s_waitcnt lgkmcnt(0)
	v_cmpx_ne_u64_e64 v[16:17], v[14:15]
	s_xor_b32 s12, exec_lo, s12
	s_cbranch_execz .LBB116_60
; %bb.51:                               ;   in Loop: Header=BB116_50 Depth=2
	s_mov_b32 s16, exec_lo
                                        ; implicit-def: $sgpr13
	v_cmpx_ne_u64_e64 s[6:7], v[16:17]
	s_xor_b32 s16, exec_lo, s16
; %bb.52:                               ;   in Loop: Header=BB116_50 Depth=2
	v_add_nc_u32_e32 v16, 1, v19
	s_mov_b32 s13, -1
                                        ; implicit-def: $vgpr20
	s_delay_alu instid0(VALU_DEP_1)
	v_and_b32_e32 v19, 15, v16
; %bb.53:                               ;   in Loop: Header=BB116_50 Depth=2
	s_and_not1_saveexec_b32 s16, s16
	s_cbranch_execz .LBB116_59
; %bb.54:                               ;   in Loop: Header=BB116_50 Depth=2
	v_dual_mov_b32 v17, s7 :: v_dual_mov_b32 v16, s6
	s_mov_b32 s20, -1
	s_mov_b32 s17, exec_lo
	ds_cmpstore_rtn_b64 v[16:17], v20, v[14:15], v[16:17]
	s_waitcnt lgkmcnt(0)
	v_cmpx_eq_u64_e64 s[6:7], v[16:17]
	s_cbranch_execz .LBB116_58
; %bb.55:                               ;   in Loop: Header=BB116_50 Depth=2
	v_lshlrev_b32_e32 v16, 7, v19
	s_mov_b32 s20, 0
	s_delay_alu instid0(VALU_DEP_1)
	v_add_nc_u32_e32 v20, v9, v16
	ds_load_b64 v[16:17], v20
.LBB116_56:                             ;   Parent Loop BB116_47 Depth=1
                                        ;     Parent Loop BB116_50 Depth=2
                                        ; =>    This Inner Loop Header: Depth=3
	s_waitcnt lgkmcnt(0)
	v_add_f64 v[21:22], v[16:17], v[12:13]
	ds_cmpstore_rtn_b64 v[21:22], v20, v[21:22], v[16:17]
	s_waitcnt lgkmcnt(0)
	v_cmp_eq_u64_e32 vcc_lo, v[21:22], v[16:17]
	v_dual_mov_b32 v16, v21 :: v_dual_mov_b32 v17, v22
	s_or_b32 s20, vcc_lo, s20
	s_delay_alu instid0(SALU_CYCLE_1)
	s_and_not1_b32 exec_lo, exec_lo, s20
	s_cbranch_execnz .LBB116_56
; %bb.57:                               ;   in Loop: Header=BB116_50 Depth=2
	s_or_b32 exec_lo, exec_lo, s20
	s_delay_alu instid0(SALU_CYCLE_1)
	s_xor_b32 s20, exec_lo, -1
.LBB116_58:                             ;   in Loop: Header=BB116_50 Depth=2
	s_or_b32 exec_lo, exec_lo, s17
	s_delay_alu instid0(SALU_CYCLE_1) | instskip(SKIP_1) | instid1(SALU_CYCLE_1)
	s_and_not1_b32 s13, s13, exec_lo
	s_and_b32 s17, s20, exec_lo
	s_or_b32 s13, s13, s17
.LBB116_59:                             ;   in Loop: Header=BB116_50 Depth=2
	s_or_b32 exec_lo, exec_lo, s16
	s_delay_alu instid0(SALU_CYCLE_1)
	s_and_b32 s13, s13, exec_lo
.LBB116_60:                             ;   in Loop: Header=BB116_50 Depth=2
	s_and_not1_saveexec_b32 s12, s12
	s_cbranch_execz .LBB116_49
; %bb.61:                               ;   in Loop: Header=BB116_50 Depth=2
	v_lshlrev_b32_e32 v16, 7, v19
	s_mov_b32 s16, 0
	s_delay_alu instid0(VALU_DEP_1)
	v_add_nc_u32_e32 v20, v9, v16
	ds_load_b64 v[16:17], v20
.LBB116_62:                             ;   Parent Loop BB116_47 Depth=1
                                        ;     Parent Loop BB116_50 Depth=2
                                        ; =>    This Inner Loop Header: Depth=3
	s_waitcnt lgkmcnt(0)
	v_add_f64 v[21:22], v[16:17], v[12:13]
	ds_cmpstore_rtn_b64 v[21:22], v20, v[21:22], v[16:17]
	s_waitcnt lgkmcnt(0)
	v_cmp_eq_u64_e32 vcc_lo, v[21:22], v[16:17]
	v_dual_mov_b32 v16, v21 :: v_dual_mov_b32 v17, v22
	s_or_b32 s16, vcc_lo, s16
	s_delay_alu instid0(SALU_CYCLE_1)
	s_and_not1_b32 exec_lo, exec_lo, s16
	s_cbranch_execnz .LBB116_62
; %bb.63:                               ;   in Loop: Header=BB116_50 Depth=2
	s_or_b32 exec_lo, exec_lo, s16
	s_delay_alu instid0(SALU_CYCLE_1)
	s_and_not1_b32 s13, s13, exec_lo
	s_branch .LBB116_49
.LBB116_64:
	s_or_b32 exec_lo, exec_lo, s4
.LBB116_65:
	v_add_co_u32 v0, vcc_lo, s22, v10
	v_add_co_ci_u32_e32 v1, vcc_lo, s23, v11, vcc_lo
	s_barrier
	buffer_gl0_inv
	global_load_b64 v[0:1], v[0:1], off
	v_mad_u64_u32 v[2:3], null, v6, s8, 0
	s_cmp_eq_u32 s33, 0
	v_mov_b32_e32 v9, 0
	s_cselect_b32 vcc_lo, -1, 0
	v_lshlrev_b32_e32 v13, 3, v41
	s_add_i32 s3, s15, s14
	s_delay_alu instid0(VALU_DEP_3)
	v_mad_u64_u32 v[10:11], null, v6, s9, v[3:4]
	v_cndmask_b32_e32 v3, v6, v8, vcc_lo
	v_cndmask_b32_e32 v5, v8, v6, vcc_lo
	v_lshlrev_b32_e32 v11, 3, v8
	v_mov_b32_e32 v7, v9
	v_cmp_gt_i64_e32 vcc_lo, s[8:9], v[8:9]
	v_dual_mov_b32 v3, v10 :: v_dual_lshlrev_b32 v12, 3, v3
	v_lshlrev_b32_e32 v10, 7, v39
	s_delay_alu instid0(VALU_DEP_4) | instskip(SKIP_1) | instid1(VALU_DEP_4)
	v_cmp_gt_u64_e64 s0, s[8:9], v[6:7]
	v_or_b32_e32 v4, -4, v41
	v_lshl_or_b32 v12, v41, 7, v12
	v_lshlrev_b64 v[2:3], 3, v[2:3]
	v_or3_b32 v10, v10, v13, 0x2000
	s_add_i32 s3, s3, s14
	s_and_b32 s0, vcc_lo, s0
	v_lshl_or_b32 v5, v5, 5, v12
	s_delay_alu instid0(VALU_DEP_3) | instskip(NEXT) | instid1(VALU_DEP_1)
	v_add_co_u32 v2, s1, s42, v2
	v_add_co_ci_u32_e64 v3, s1, s43, v3, s1
	s_delay_alu instid0(VALU_DEP_3) | instskip(NEXT) | instid1(VALU_DEP_3)
	v_add_nc_u32_e32 v5, v40, v5
	v_add_co_u32 v6, s1, v2, v11
	s_delay_alu instid0(VALU_DEP_1) | instskip(SKIP_2) | instid1(VALU_DEP_1)
	v_add_co_ci_u32_e64 v7, s1, 0, v3, s1
	s_waitcnt vmcnt(0)
	v_sub_co_u32 v8, s1, v0, s38
	v_subrev_co_ci_u32_e64 v9, s1, 0, v1, s1
	s_mov_b32 s1, 0
	s_branch .LBB116_67
.LBB116_66:                             ;   in Loop: Header=BB116_67 Depth=1
	s_or_b32 exec_lo, exec_lo, s4
	v_add_nc_u32_e32 v4, 4, v4
	v_add_nc_u32_e32 v5, 0x200, v5
	;; [unrolled: 1-line block ×3, first 2 shown]
	s_delay_alu instid0(VALU_DEP_3) | instskip(SKIP_1) | instid1(SALU_CYCLE_1)
	v_cmp_lt_u32_e32 vcc_lo, 11, v4
	s_or_b32 s1, vcc_lo, s1
	s_and_not1_b32 exec_lo, exec_lo, s1
	s_cbranch_execz .LBB116_70
.LBB116_67:                             ; =>This Inner Loop Header: Depth=1
	ds_load_b64 v[0:1], v10
	s_mov_b32 s4, exec_lo
	s_waitcnt lgkmcnt(0)
	v_cmpx_gt_i64_e64 s[6:7], v[0:1]
	s_cbranch_execz .LBB116_66
; %bb.68:                               ;   in Loop: Header=BB116_67 Depth=1
	ds_load_b128 v[11:14], v38
	ds_load_b128 v[15:18], v38 offset:16
	ds_load_b128 v[19:22], v38 offset:32
	;; [unrolled: 1-line block ×7, first 2 shown]
	s_waitcnt lgkmcnt(7)
	v_cmp_gt_i64_e32 vcc_lo, v[0:1], v[11:12]
	v_cndmask_b32_e64 v2, 0, 1, vcc_lo
	v_cmp_gt_i64_e32 vcc_lo, v[0:1], v[13:14]
	v_cndmask_b32_e64 v3, 0, 1, vcc_lo
	s_delay_alu instid0(VALU_DEP_3)
	v_add_co_u32 v2, vcc_lo, v8, v2
	v_add_co_ci_u32_e32 v11, vcc_lo, 0, v9, vcc_lo
	s_waitcnt lgkmcnt(6)
	v_cmp_gt_i64_e32 vcc_lo, v[0:1], v[15:16]
	v_cndmask_b32_e64 v12, 0, 1, vcc_lo
	v_add_co_u32 v2, vcc_lo, v2, v3
	v_add_co_ci_u32_e32 v3, vcc_lo, 0, v11, vcc_lo
	v_cmp_gt_i64_e32 vcc_lo, v[0:1], v[17:18]
	v_cndmask_b32_e64 v11, 0, 1, vcc_lo
	s_delay_alu instid0(VALU_DEP_4) | instskip(NEXT) | instid1(VALU_DEP_4)
	v_add_co_u32 v2, vcc_lo, v2, v12
	v_add_co_ci_u32_e32 v3, vcc_lo, 0, v3, vcc_lo
	s_waitcnt lgkmcnt(5)
	v_cmp_gt_i64_e32 vcc_lo, v[0:1], v[19:20]
	v_cndmask_b32_e64 v12, 0, 1, vcc_lo
	v_add_co_u32 v2, vcc_lo, v2, v11
	v_add_co_ci_u32_e32 v3, vcc_lo, 0, v3, vcc_lo
	v_cmp_gt_i64_e32 vcc_lo, v[0:1], v[21:22]
	v_cndmask_b32_e64 v11, 0, 1, vcc_lo
	s_delay_alu instid0(VALU_DEP_4) | instskip(NEXT) | instid1(VALU_DEP_4)
	;; [unrolled: 10-line block ×7, first 2 shown]
	v_add_co_u32 v2, vcc_lo, v2, v12
	v_add_co_ci_u32_e32 v3, vcc_lo, 0, v3, vcc_lo
	s_delay_alu instid0(VALU_DEP_2) | instskip(NEXT) | instid1(VALU_DEP_2)
	v_add_co_u32 v2, vcc_lo, v2, v11
	v_add_co_ci_u32_e32 v3, vcc_lo, 0, v3, vcc_lo
	v_add_co_u32 v0, vcc_lo, v0, s38
	v_add_co_ci_u32_e32 v1, vcc_lo, 0, v1, vcc_lo
	s_delay_alu instid0(VALU_DEP_3) | instskip(NEXT) | instid1(VALU_DEP_1)
	v_lshlrev_b64 v[11:12], 3, v[2:3]
	v_add_co_u32 v11, vcc_lo, s40, v11
	s_delay_alu instid0(VALU_DEP_2)
	v_add_co_ci_u32_e32 v12, vcc_lo, s41, v12, vcc_lo
	global_store_b64 v[11:12], v[0:1], off
	s_and_b32 exec_lo, exec_lo, s0
	s_cbranch_execz .LBB116_66
; %bb.69:                               ;   in Loop: Header=BB116_67 Depth=1
	v_mul_lo_u32 v11, s3, v2
	v_mul_lo_u32 v12, s2, v3
	v_mad_u64_u32 v[0:1], null, s2, v2, 0
	ds_load_b64 v[2:3], v5
	v_add3_u32 v1, v1, v12, v11
	s_delay_alu instid0(VALU_DEP_1) | instskip(NEXT) | instid1(VALU_DEP_1)
	v_lshlrev_b64 v[0:1], 3, v[0:1]
	v_add_co_u32 v0, vcc_lo, v6, v0
	s_delay_alu instid0(VALU_DEP_2)
	v_add_co_ci_u32_e32 v1, vcc_lo, v7, v1, vcc_lo
	s_waitcnt lgkmcnt(0)
	global_store_b64 v[0:1], v[2:3], off
	s_branch .LBB116_66
.LBB116_70:
	s_nop 0
	s_sendmsg sendmsg(MSG_DEALLOC_VGPRS)
	s_endpgm
	.section	.rodata,"a",@progbits
	.p2align	6, 0x0
	.amdhsa_kernel _ZN9rocsparseL23bsrgemm_fill_wf_per_rowILj256ELj64ELj16ELj137ELj4ElldEEv20rocsparse_direction_T5_S2_S2_PKS2_S4_NS_24const_host_device_scalarIT6_EEPKT4_S4_PKS6_SA_S4_SC_S7_SA_S4_SC_SA_PS2_PS6_21rocsparse_index_base_SF_SF_SF_bbb
		.amdhsa_group_segment_fixed_size 8704
		.amdhsa_private_segment_fixed_size 0
		.amdhsa_kernarg_size 180
		.amdhsa_user_sgpr_count 15
		.amdhsa_user_sgpr_dispatch_ptr 0
		.amdhsa_user_sgpr_queue_ptr 0
		.amdhsa_user_sgpr_kernarg_segment_ptr 1
		.amdhsa_user_sgpr_dispatch_id 0
		.amdhsa_user_sgpr_private_segment_size 0
		.amdhsa_wavefront_size32 1
		.amdhsa_uses_dynamic_stack 0
		.amdhsa_enable_private_segment 0
		.amdhsa_system_sgpr_workgroup_id_x 1
		.amdhsa_system_sgpr_workgroup_id_y 0
		.amdhsa_system_sgpr_workgroup_id_z 0
		.amdhsa_system_sgpr_workgroup_info 0
		.amdhsa_system_vgpr_workitem_id 0
		.amdhsa_next_free_vgpr 47
		.amdhsa_next_free_sgpr 53
		.amdhsa_reserve_vcc 1
		.amdhsa_float_round_mode_32 0
		.amdhsa_float_round_mode_16_64 0
		.amdhsa_float_denorm_mode_32 3
		.amdhsa_float_denorm_mode_16_64 3
		.amdhsa_dx10_clamp 1
		.amdhsa_ieee_mode 1
		.amdhsa_fp16_overflow 0
		.amdhsa_workgroup_processor_mode 1
		.amdhsa_memory_ordered 1
		.amdhsa_forward_progress 0
		.amdhsa_shared_vgpr_count 0
		.amdhsa_exception_fp_ieee_invalid_op 0
		.amdhsa_exception_fp_denorm_src 0
		.amdhsa_exception_fp_ieee_div_zero 0
		.amdhsa_exception_fp_ieee_overflow 0
		.amdhsa_exception_fp_ieee_underflow 0
		.amdhsa_exception_fp_ieee_inexact 0
		.amdhsa_exception_int_div_zero 0
	.end_amdhsa_kernel
	.section	.text._ZN9rocsparseL23bsrgemm_fill_wf_per_rowILj256ELj64ELj16ELj137ELj4ElldEEv20rocsparse_direction_T5_S2_S2_PKS2_S4_NS_24const_host_device_scalarIT6_EEPKT4_S4_PKS6_SA_S4_SC_S7_SA_S4_SC_SA_PS2_PS6_21rocsparse_index_base_SF_SF_SF_bbb,"axG",@progbits,_ZN9rocsparseL23bsrgemm_fill_wf_per_rowILj256ELj64ELj16ELj137ELj4ElldEEv20rocsparse_direction_T5_S2_S2_PKS2_S4_NS_24const_host_device_scalarIT6_EEPKT4_S4_PKS6_SA_S4_SC_S7_SA_S4_SC_SA_PS2_PS6_21rocsparse_index_base_SF_SF_SF_bbb,comdat
.Lfunc_end116:
	.size	_ZN9rocsparseL23bsrgemm_fill_wf_per_rowILj256ELj64ELj16ELj137ELj4ElldEEv20rocsparse_direction_T5_S2_S2_PKS2_S4_NS_24const_host_device_scalarIT6_EEPKT4_S4_PKS6_SA_S4_SC_S7_SA_S4_SC_SA_PS2_PS6_21rocsparse_index_base_SF_SF_SF_bbb, .Lfunc_end116-_ZN9rocsparseL23bsrgemm_fill_wf_per_rowILj256ELj64ELj16ELj137ELj4ElldEEv20rocsparse_direction_T5_S2_S2_PKS2_S4_NS_24const_host_device_scalarIT6_EEPKT4_S4_PKS6_SA_S4_SC_S7_SA_S4_SC_SA_PS2_PS6_21rocsparse_index_base_SF_SF_SF_bbb
                                        ; -- End function
	.section	.AMDGPU.csdata,"",@progbits
; Kernel info:
; codeLenInByte = 3916
; NumSgprs: 55
; NumVgprs: 47
; ScratchSize: 0
; MemoryBound: 0
; FloatMode: 240
; IeeeMode: 1
; LDSByteSize: 8704 bytes/workgroup (compile time only)
; SGPRBlocks: 6
; VGPRBlocks: 5
; NumSGPRsForWavesPerEU: 55
; NumVGPRsForWavesPerEU: 47
; Occupancy: 16
; WaveLimiterHint : 1
; COMPUTE_PGM_RSRC2:SCRATCH_EN: 0
; COMPUTE_PGM_RSRC2:USER_SGPR: 15
; COMPUTE_PGM_RSRC2:TRAP_HANDLER: 0
; COMPUTE_PGM_RSRC2:TGID_X_EN: 1
; COMPUTE_PGM_RSRC2:TGID_Y_EN: 0
; COMPUTE_PGM_RSRC2:TGID_Z_EN: 0
; COMPUTE_PGM_RSRC2:TIDIG_COMP_CNT: 0
	.section	.text._ZN9rocsparseL38bsrgemm_block_per_row_atomic_multipassILj256ELj32ELj4ElldEEv20rocsparse_direction_T3_S2_PKS2_S4_NS_24const_host_device_scalarIT4_EEPKT2_S4_PKS6_SA_S4_SC_S7_SA_S4_SC_SA_PS2_PS6_PS8_21rocsparse_index_base_SG_SG_SG_bbb,"axG",@progbits,_ZN9rocsparseL38bsrgemm_block_per_row_atomic_multipassILj256ELj32ELj4ElldEEv20rocsparse_direction_T3_S2_PKS2_S4_NS_24const_host_device_scalarIT4_EEPKT2_S4_PKS6_SA_S4_SC_S7_SA_S4_SC_SA_PS2_PS6_PS8_21rocsparse_index_base_SG_SG_SG_bbb,comdat
	.globl	_ZN9rocsparseL38bsrgemm_block_per_row_atomic_multipassILj256ELj32ELj4ElldEEv20rocsparse_direction_T3_S2_PKS2_S4_NS_24const_host_device_scalarIT4_EEPKT2_S4_PKS6_SA_S4_SC_S7_SA_S4_SC_SA_PS2_PS6_PS8_21rocsparse_index_base_SG_SG_SG_bbb ; -- Begin function _ZN9rocsparseL38bsrgemm_block_per_row_atomic_multipassILj256ELj32ELj4ElldEEv20rocsparse_direction_T3_S2_PKS2_S4_NS_24const_host_device_scalarIT4_EEPKT2_S4_PKS6_SA_S4_SC_S7_SA_S4_SC_SA_PS2_PS6_PS8_21rocsparse_index_base_SG_SG_SG_bbb
	.p2align	8
	.type	_ZN9rocsparseL38bsrgemm_block_per_row_atomic_multipassILj256ELj32ELj4ElldEEv20rocsparse_direction_T3_S2_PKS2_S4_NS_24const_host_device_scalarIT4_EEPKT2_S4_PKS6_SA_S4_SC_S7_SA_S4_SC_SA_PS2_PS6_PS8_21rocsparse_index_base_SG_SG_SG_bbb,@function
_ZN9rocsparseL38bsrgemm_block_per_row_atomic_multipassILj256ELj32ELj4ElldEEv20rocsparse_direction_T3_S2_PKS2_S4_NS_24const_host_device_scalarIT4_EEPKT2_S4_PKS6_SA_S4_SC_S7_SA_S4_SC_SA_PS2_PS6_PS8_21rocsparse_index_base_SG_SG_SG_bbb: ; @_ZN9rocsparseL38bsrgemm_block_per_row_atomic_multipassILj256ELj32ELj4ElldEEv20rocsparse_direction_T3_S2_PKS2_S4_NS_24const_host_device_scalarIT4_EEPKT2_S4_PKS6_SA_S4_SC_S7_SA_S4_SC_SA_PS2_PS6_PS8_21rocsparse_index_base_SG_SG_SG_bbb
; %bb.0:
	s_clause 0x3
	s_load_b32 s3, s[0:1], 0xb0
	s_load_b64 s[6:7], s[0:1], 0x28
	s_load_b128 s[28:31], s[0:1], 0xa0
	s_load_b64 s[4:5], s[0:1], 0x60
	s_mov_b32 s2, s15
	s_waitcnt lgkmcnt(0)
	s_and_b32 s8, 1, s3
	s_bitcmp1_b32 s3, 16
	s_cselect_b32 s9, -1, 0
	s_cmp_eq_u32 s8, 1
	s_cselect_b32 s8, -1, 0
	s_delay_alu instid0(SALU_CYCLE_1)
	s_and_b32 s10, s8, exec_lo
	s_cselect_b32 s11, s7, 0
	s_cselect_b32 s10, s6, 0
	s_xor_b32 s12, s8, -1
	v_dual_mov_b32 v1, s10 :: v_dual_mov_b32 v2, s11
	s_or_b32 s12, s12, s9
	s_delay_alu instid0(SALU_CYCLE_1)
	s_and_b32 vcc_lo, exec_lo, s12
	s_cbranch_vccnz .LBB117_2
; %bb.1:
	v_dual_mov_b32 v1, s6 :: v_dual_mov_b32 v2, s7
	flat_load_b64 v[1:2], v[1:2]
.LBB117_2:
	s_load_b64 s[6:7], s[0:1], 0x20
	s_bitcmp1_b32 s3, 8
	s_cselect_b32 s33, -1, 0
	s_delay_alu instid0(SALU_CYCLE_1)
	s_and_b32 s3, s33, exec_lo
	s_cselect_b32 s11, s5, 0
	s_cselect_b32 s10, s4, 0
	s_xor_b32 s3, s33, -1
	v_dual_mov_b32 v3, s10 :: v_dual_mov_b32 v4, s11
	s_or_b32 s3, s3, s9
	s_delay_alu instid0(SALU_CYCLE_1)
	s_and_b32 vcc_lo, exec_lo, s3
	s_cbranch_vccnz .LBB117_4
; %bb.3:
	v_dual_mov_b32 v3, s4 :: v_dual_mov_b32 v4, s5
	flat_load_b64 v[3:4], v[3:4]
.LBB117_4:
	s_load_b64 s[4:5], s[0:1], 0x30
	s_mov_b64 s[34:35], 0
	s_waitcnt lgkmcnt(0)
	s_cmp_eq_u64 s[6:7], 0
	s_mov_b32 s3, 0
	s_cbranch_scc1 .LBB117_6
; %bb.5:
	s_load_b64 s[10:11], s[0:1], 0x18
	s_waitcnt lgkmcnt(0)
	s_load_b64 s[10:11], s[10:11], 0x0
	s_waitcnt lgkmcnt(0)
	s_lshl_b64 s[10:11], s[10:11], 3
	s_delay_alu instid0(SALU_CYCLE_1) | instskip(SKIP_2) | instid1(SALU_CYCLE_1)
	s_add_u32 s6, s6, s10
	s_addc_u32 s7, s7, s11
	s_lshl_b64 s[2:3], s[2:3], 3
	s_add_u32 s2, s6, s2
	s_addc_u32 s3, s7, s3
	s_load_b64 s[2:3], s[2:3], 0x0
.LBB117_6:
	s_and_not1_b32 vcc_lo, exec_lo, s8
	s_cbranch_vccz .LBB117_9
; %bb.7:
	s_and_not1_b32 vcc_lo, exec_lo, s8
	s_mov_b64 s[44:45], 0
	s_cbranch_vccz .LBB117_10
.LBB117_8:
	s_load_b128 s[36:39], s[0:1], 0x8
	s_waitcnt lgkmcnt(0)
	v_cmp_lt_i64_e64 s4, s[36:37], 1
	s_delay_alu instid0(VALU_DEP_1)
	s_and_b32 vcc_lo, exec_lo, s4
	s_cbranch_vccz .LBB117_11
	s_branch .LBB117_94
.LBB117_9:
	s_waitcnt lgkmcnt(0)
	s_lshl_b64 s[6:7], s[2:3], 3
	s_delay_alu instid0(SALU_CYCLE_1)
	s_add_u32 s6, s4, s6
	s_addc_u32 s7, s5, s7
	s_load_b64 s[6:7], s[6:7], 0x0
	s_waitcnt lgkmcnt(0)
	s_sub_u32 s34, s6, s28
	s_subb_u32 s35, s7, 0
	s_and_not1_b32 vcc_lo, exec_lo, s8
	s_mov_b64 s[44:45], 0
	s_cbranch_vccnz .LBB117_8
.LBB117_10:
	s_waitcnt lgkmcnt(0)
	s_lshl_b64 s[6:7], s[2:3], 3
	s_delay_alu instid0(SALU_CYCLE_1)
	s_add_u32 s4, s4, s6
	s_addc_u32 s5, s5, s7
	s_load_b64 s[4:5], s[4:5], 0x8
	s_waitcnt lgkmcnt(0)
	s_sub_u32 s44, s4, s28
	s_subb_u32 s45, s5, 0
	s_load_b128 s[36:39], s[0:1], 0x8
	s_waitcnt lgkmcnt(0)
	v_cmp_lt_i64_e64 s4, s[36:37], 1
	s_delay_alu instid0(VALU_DEP_1)
	s_and_b32 vcc_lo, exec_lo, s4
	s_cbranch_vccnz .LBB117_94
.LBB117_11:
	s_clause 0x4
	s_load_b256 s[12:19], s[0:1], 0x68
	s_load_b64 s[46:47], s[0:1], 0x98
	s_load_b128 s[40:43], s[0:1], 0x88
	s_load_b64 s[48:49], s[0:1], 0x58
	s_load_b256 s[20:27], s[0:1], 0x38
	v_bfe_u32 v13, v0, 2, 2
	s_lshl_b64 s[6:7], s[2:3], 3
	v_mov_b32_e32 v9, 0
	v_and_b32_e32 v7, 3, v0
	s_mul_i32 s3, s38, s39
	v_mad_u64_u32 v[10:11], null, v13, s38, 0
	v_and_b32_e32 v21, 15, v0
	s_mul_hi_u32 s9, s38, s38
	s_load_b32 s51, s[0:1], 0x0
	v_lshrrev_b32_e32 v5, 4, v0
	v_and_b32_e32 v24, 31, v0
	v_cmp_lt_i64_e64 s54, s[34:35], s[44:45]
	v_mov_b32_e32 v6, v11
	v_and_b32_e32 v42, 12, v0
	s_waitcnt lgkmcnt(0)
	s_add_u32 s4, s18, s6
	s_addc_u32 s5, s19, s7
	s_mov_b32 s52, s31
	s_load_b64 s[4:5], s[4:5], 0x0
	v_mad_u64_u32 v[11:12], null, v13, s39, v[6:7]
	v_mov_b32_e32 v6, v9
	v_mad_u64_u32 v[15:16], null, v7, s38, 0
	v_cmp_gt_u32_e64 s0, 32, v0
	v_cmp_gt_u32_e64 s1, 0x200, v0
	v_cmp_eq_u32_e64 s2, 0, v0
	v_lshl_or_b32 v47, v0, 2, 0x1800
	v_lshl_or_b32 v58, v5, 2, 0x1800
	s_mul_i32 s18, s38, s38
	v_dual_mov_b32 v12, v16 :: v_dual_lshlrev_b32 v39, 3, v0
	v_mov_b32_e32 v8, v9
	v_mov_b32_e32 v14, v9
	v_or_b32_e32 v0, 0xffffff00, v0
	s_delay_alu instid0(VALU_DEP_4)
	v_mad_u64_u32 v[16:17], null, v7, s39, v[12:13]
	v_lshlrev_b64 v[17:18], 3, v[10:11]
	v_lshlrev_b32_e32 v11, 3, v7
	s_waitcnt lgkmcnt(0)
	s_sub_u32 s10, s4, s30
	s_subb_u32 s11, s5, 0
	s_add_i32 s4, s9, s3
	v_cmp_gt_u64_e32 vcc_lo, s[38:39], v[13:14]
	s_add_i32 s19, s4, s3
	v_add_co_u32 v10, s3, s22, v17
	s_delay_alu instid0(VALU_DEP_1) | instskip(SKIP_4) | instid1(VALU_DEP_1)
	v_add_co_ci_u32_e64 v19, s3, s23, v18, s3
	v_cmp_gt_i64_e64 s4, s[38:39], v[7:8]
	v_cmp_gt_i64_e64 s3, s[38:39], v[13:14]
	v_lshlrev_b64 v[15:16], 3, v[15:16]
	v_add_co_u32 v8, s5, v10, v11
	v_add_co_ci_u32_e64 v41, s5, 0, v19, s5
	s_delay_alu instid0(VALU_DEP_4) | instskip(NEXT) | instid1(VALU_DEP_3)
	s_and_b32 s50, s4, s3
	v_add_co_u32 v10, s3, s16, v15
	v_lshlrev_b64 v[19:20], 3, v[13:14]
	v_add_co_u32 v15, s5, s42, v15
	v_add_co_ci_u32_e64 v22, s3, s17, v16, s3
	v_add_co_ci_u32_e64 v16, s5, s43, v16, s5
	v_add_co_u32 v14, s3, s16, v17
	v_add_co_u32 v17, s5, s42, v17
	v_add_co_ci_u32_e64 v23, s3, s17, v18, s3
	v_add_co_ci_u32_e64 v18, s5, s43, v18, s5
	v_add_co_u32 v15, s5, v15, v19
	v_add_co_u32 v10, s3, v10, v19
	v_add_co_ci_u32_e64 v16, s5, v16, v20, s5
	v_add_co_u32 v17, s5, v17, v11
	v_add_co_ci_u32_e64 v22, s3, v22, v20, s3
	;; [unrolled: 2-line block ×3, first 2 shown]
	v_lshlrev_b32_e32 v13, 3, v13
	s_cmp_eq_u32 s51, 0
	v_add_co_ci_u32_e64 v23, s3, 0, v23, s3
	s_cselect_b32 s9, -1, 0
	s_cmp_lg_u32 s51, 0
	v_cndmask_b32_e64 v53, v10, v14, s9
	v_cndmask_b32_e64 v54, v16, v18, s9
	;; [unrolled: 1-line block ×3, first 2 shown]
	v_mov_b32_e32 v16, s11
	v_lshl_or_b32 v10, v5, 7, v13
	v_dual_mov_b32 v17, 0 :: v_dual_mov_b32 v12, v9
	v_lshlrev_b32_e32 v25, 2, v24
	v_add_co_u32 v26, s53, v24, -1
	s_cselect_b32 s51, -1, 0
	s_add_u32 s12, s12, s6
	v_sub_co_u32 v43, s3, v5, s31
	v_cndmask_b32_e64 v52, v22, v23, s9
	s_movk_i32 s9, 0x7e0
	v_add_co_u32 v13, s16, s48, v11
	s_addc_u32 s13, s13, s7
	s_and_b32 s31, s8, s54
	s_and_b32 s54, s4, vcc_lo
	v_mov_b32_e32 v19, 32
	v_or_b32_e32 v40, 0x1000, v39
	v_sub_co_ci_u32_e64 v44, null, 0, 0, s3
	v_cmp_eq_u32_e64 s3, 15, v21
	v_or_b32_e32 v45, 0x1800, v25
	v_lshl_add_u32 v46, v26, 2, 0x1800
	v_cmp_ne_u32_e64 s4, 0, v24
	v_cmp_lt_u32_e64 s5, 1, v24
	v_dual_mov_b32 v15, s10 :: v_dual_add_nc_u32 v48, 0x17f8, v25
	v_cmp_lt_u32_e64 s6, 3, v24
	v_dual_mov_b32 v18, 0 :: v_dual_add_nc_u32 v49, 0x17f0, v25
	;; [unrolled: 2-line block ×4, first 2 shown]
	s_add_u32 s55, s24, 8
	v_add_nc_u32_e32 v56, 0x1000, v10
	v_add_co_ci_u32_e64 v14, null, s49, 0, s16
	v_and_or_b32 v57, v39, s9, 0x1000
	s_addc_u32 s56, s25, 0
	s_add_u32 s57, s40, -8
	s_addc_u32 s58, s41, -1
	s_lshl_b64 s[16:17], s[38:39], 3
	s_lshl_b64 s[22:23], s[18:19], 3
	s_branch .LBB117_13
.LBB117_12:                             ;   in Loop: Header=BB117_13 Depth=1
	s_or_b32 exec_lo, exec_lo, s9
	s_waitcnt_vscnt null, 0x0
	s_barrier
	buffer_gl0_inv
	ds_load_b64 v[17:18], v9 offset:6272
	v_ashrrev_i32_e32 v19, 31, v10
	v_add_co_u32 v15, vcc_lo, v15, v10
	s_waitcnt lgkmcnt(0)
	s_barrier
	s_delay_alu instid0(VALU_DEP_2) | instskip(SKIP_3) | instid1(VALU_DEP_1)
	v_add_co_ci_u32_e32 v16, vcc_lo, v16, v19, vcc_lo
	buffer_gl0_inv
	v_cmp_le_i64_e32 vcc_lo, s[36:37], v[17:18]
	v_add_co_u32 v19, s9, v17, 32
	v_add_co_ci_u32_e64 v20, s9, 0, v18, s9
	s_cbranch_vccnz .LBB117_94
.LBB117_13:                             ; =>This Loop Header: Depth=1
                                        ;     Child Loop BB117_17 Depth 2
                                        ;     Child Loop BB117_23 Depth 2
                                        ;       Child Loop BB117_37 Depth 3
                                        ;         Child Loop BB117_49 Depth 4
                                        ;         Child Loop BB117_45 Depth 4
	;; [unrolled: 1-line block ×3, first 2 shown]
                                        ;     Child Loop BB117_61 Depth 2
                                        ;       Child Loop BB117_66 Depth 3
                                        ;     Child Loop BB117_71 Depth 2
                                        ;     Child Loop BB117_91 Depth 2
	s_and_saveexec_b32 s9, s0
	s_cbranch_execz .LBB117_15
; %bb.14:                               ;   in Loop: Header=BB117_13 Depth=1
	ds_store_b32 v47, v9
.LBB117_15:                             ;   in Loop: Header=BB117_13 Depth=1
	s_or_b32 exec_lo, exec_lo, s9
	s_and_saveexec_b32 s9, s1
	s_cbranch_execz .LBB117_18
; %bb.16:                               ;   in Loop: Header=BB117_13 Depth=1
	v_dual_mov_b32 v21, v39 :: v_dual_mov_b32 v22, v0
	s_mov_b32 s10, 0
.LBB117_17:                             ;   Parent Loop BB117_13 Depth=1
                                        ; =>  This Inner Loop Header: Depth=2
	v_mov_b32_e32 v10, v9
	s_delay_alu instid0(VALU_DEP_2) | instskip(NEXT) | instid1(VALU_DEP_1)
	v_add_co_u32 v22, s11, 0x100, v22
	s_xor_b32 s11, s11, -1
	s_delay_alu instid0(SALU_CYCLE_1) | instskip(SKIP_3) | instid1(SALU_CYCLE_1)
	s_and_b32 s11, exec_lo, s11
	ds_store_b64 v21, v[9:10]
	v_add_nc_u32_e32 v21, 0x800, v21
	s_or_b32 s10, s11, s10
	s_and_not1_b32 exec_lo, exec_lo, s10
	s_cbranch_execnz .LBB117_17
.LBB117_18:                             ;   in Loop: Header=BB117_13 Depth=1
	s_or_b32 exec_lo, exec_lo, s9
	s_and_saveexec_b32 s9, s2
	s_cbranch_execz .LBB117_20
; %bb.19:                               ;   in Loop: Header=BB117_13 Depth=1
	v_dual_mov_b32 v21, s36 :: v_dual_mov_b32 v22, s37
	ds_store_b64 v9, v[21:22] offset:6272
.LBB117_20:                             ;   in Loop: Header=BB117_13 Depth=1
	s_or_b32 exec_lo, exec_lo, s9
	v_dual_mov_b32 v21, s36 :: v_dual_mov_b32 v22, s37
	s_and_not1_b32 vcc_lo, exec_lo, s31
	s_waitcnt vmcnt(0) lgkmcnt(0)
	s_barrier
	buffer_gl0_inv
	s_cbranch_vccnz .LBB117_56
; %bb.21:                               ;   in Loop: Header=BB117_13 Depth=1
	v_cmp_ne_u64_e64 s9, 0, v[17:18]
	v_dual_mov_b32 v21, s36 :: v_dual_mov_b32 v22, s37
	s_mov_b64 s[40:41], s[34:35]
	s_branch .LBB117_23
.LBB117_22:                             ;   in Loop: Header=BB117_23 Depth=2
	s_or_b32 exec_lo, exec_lo, s11
	s_add_u32 s40, s40, 16
	s_addc_u32 s41, s41, 0
	s_delay_alu instid0(SALU_CYCLE_1) | instskip(NEXT) | instid1(VALU_DEP_1)
	v_cmp_lt_i64_e64 s10, s[40:41], s[44:45]
	s_and_b32 vcc_lo, exec_lo, s10
	s_cbranch_vccz .LBB117_56
.LBB117_23:                             ;   Parent Loop BB117_13 Depth=1
                                        ; =>  This Loop Header: Depth=2
                                        ;       Child Loop BB117_37 Depth 3
                                        ;         Child Loop BB117_49 Depth 4
                                        ;         Child Loop BB117_45 Depth 4
	;; [unrolled: 1-line block ×3, first 2 shown]
	v_add_co_u32 v23, s10, s40, v5
	s_delay_alu instid0(VALU_DEP_1) | instskip(NEXT) | instid1(VALU_DEP_1)
	v_add_co_ci_u32_e64 v24, null, s41, 0, s10
	s_waitcnt_vscnt null, 0x0
	s_barrier
	buffer_gl0_inv
	v_cmp_gt_i64_e64 s10, s[44:45], v[23:24]
	s_delay_alu instid0(VALU_DEP_1)
	s_and_saveexec_b32 s11, s10
	s_cbranch_execz .LBB117_27
; %bb.24:                               ;   in Loop: Header=BB117_23 Depth=2
	v_mov_b32_e32 v25, 0
	v_mov_b32_e32 v26, 0
	s_and_saveexec_b32 s42, s54
	s_cbranch_execz .LBB117_26
; %bb.25:                               ;   in Loop: Header=BB117_23 Depth=2
	v_mul_lo_u32 v10, v24, s18
	v_mul_lo_u32 v27, v23, s19
	v_mad_u64_u32 v[25:26], null, v23, s18, 0
	s_delay_alu instid0(VALU_DEP_1) | instskip(NEXT) | instid1(VALU_DEP_1)
	v_add3_u32 v26, v26, v27, v10
	v_lshlrev_b64 v[25:26], 3, v[25:26]
	s_delay_alu instid0(VALU_DEP_1) | instskip(NEXT) | instid1(VALU_DEP_2)
	v_add_co_u32 v25, vcc_lo, v8, v25
	v_add_co_ci_u32_e32 v26, vcc_lo, v41, v26, vcc_lo
	global_load_b64 v[25:26], v[25:26], off
.LBB117_26:                             ;   in Loop: Header=BB117_23 Depth=2
	s_or_b32 exec_lo, exec_lo, s42
	s_waitcnt vmcnt(0)
	ds_store_b64 v40, v[25:26]
.LBB117_27:                             ;   in Loop: Header=BB117_23 Depth=2
	s_or_b32 exec_lo, exec_lo, s11
	v_mov_b32_e32 v25, 0
	v_lshlrev_b64 v[23:24], 3, v[23:24]
	v_mov_b32_e32 v26, 0
	s_waitcnt lgkmcnt(0)
	s_barrier
	buffer_gl0_inv
	s_and_saveexec_b32 s59, s10
	s_cbranch_execz .LBB117_54
; %bb.28:                               ;   in Loop: Header=BB117_23 Depth=2
	v_add_co_u32 v25, vcc_lo, s20, v23
	v_add_co_ci_u32_e32 v26, vcc_lo, s21, v24, vcc_lo
	s_and_b32 vcc_lo, exec_lo, s9
	global_load_b64 v[27:28], v[25:26], off
	s_cbranch_vccz .LBB117_30
; %bb.29:                               ;   in Loop: Header=BB117_23 Depth=2
	v_add_co_u32 v25, vcc_lo, s46, v23
	v_add_co_ci_u32_e32 v26, vcc_lo, s47, v24, vcc_lo
	s_mov_b32 s11, 0
	global_load_b64 v[25:26], v[25:26], off
	s_branch .LBB117_31
.LBB117_30:                             ;   in Loop: Header=BB117_23 Depth=2
	s_mov_b32 s11, -1
                                        ; implicit-def: $vgpr25_vgpr26
.LBB117_31:                             ;   in Loop: Header=BB117_23 Depth=2
	s_waitcnt vmcnt(0)
	v_sub_co_u32 v27, vcc_lo, v27, s28
	v_subrev_co_ci_u32_e32 v28, vcc_lo, 0, v28, vcc_lo
	s_and_not1_b32 vcc_lo, exec_lo, s11
	s_delay_alu instid0(VALU_DEP_1)
	v_lshlrev_b64 v[27:28], 3, v[27:28]
	s_cbranch_vccnz .LBB117_33
; %bb.32:                               ;   in Loop: Header=BB117_23 Depth=2
	s_delay_alu instid0(VALU_DEP_1) | instskip(NEXT) | instid1(VALU_DEP_2)
	v_add_co_u32 v25, vcc_lo, s24, v27
	v_add_co_ci_u32_e32 v26, vcc_lo, s25, v28, vcc_lo
	global_load_b64 v[25:26], v[25:26], off
	s_waitcnt vmcnt(0)
	v_sub_co_u32 v25, vcc_lo, v25, s29
	v_subrev_co_ci_u32_e32 v26, vcc_lo, 0, v26, vcc_lo
.LBB117_33:                             ;   in Loop: Header=BB117_23 Depth=2
	s_delay_alu instid0(VALU_DEP_1) | instskip(NEXT) | instid1(VALU_DEP_2)
	v_add_co_u32 v27, vcc_lo, s55, v27
	v_add_co_ci_u32_e32 v28, vcc_lo, s56, v28, vcc_lo
	s_mov_b32 s60, exec_lo
	global_load_b64 v[27:28], v[27:28], off
	s_waitcnt vmcnt(0)
	v_sub_co_u32 v27, vcc_lo, v27, s29
	v_subrev_co_ci_u32_e32 v28, vcc_lo, 0, v28, vcc_lo
	s_delay_alu instid0(VALU_DEP_1)
	v_cmpx_lt_i64_e64 v[25:26], v[27:28]
	s_cbranch_execz .LBB117_53
; %bb.34:                               ;   in Loop: Header=BB117_23 Depth=2
	v_mad_u64_u32 v[33:34], null, s16, v25, v[11:12]
	v_mul_lo_u32 v10, s16, v26
	v_mul_lo_u32 v31, s17, v25
	v_mad_u64_u32 v[29:30], null, s22, v25, v[13:14]
	v_mul_lo_u32 v35, s22, v26
	s_mov_b32 s61, 0
	v_mul_lo_u32 v36, s39, v33
	s_delay_alu instid0(VALU_DEP_4) | instskip(SKIP_2) | instid1(VALU_DEP_3)
	v_add3_u32 v10, v31, v34, v10
	v_mul_lo_u32 v34, s23, v25
	v_mad_u64_u32 v[31:32], null, s38, v33, s[48:49]
	v_mul_lo_u32 v10, s38, v10
	s_delay_alu instid0(VALU_DEP_3) | instskip(SKIP_1) | instid1(VALU_DEP_3)
	v_add3_u32 v30, v34, v30, v35
	v_dual_mov_b32 v34, v26 :: v_dual_mov_b32 v33, v25
	v_add3_u32 v32, v36, v32, v10
	s_branch .LBB117_37
.LBB117_35:                             ;   in Loop: Header=BB117_37 Depth=3
	s_or_b32 exec_lo, exec_lo, s63
	s_delay_alu instid0(SALU_CYCLE_1)
	s_or_b32 s11, s11, exec_lo
.LBB117_36:                             ;   in Loop: Header=BB117_37 Depth=3
	s_or_b32 exec_lo, exec_lo, s62
	v_add_co_u32 v25, vcc_lo, v25, 1
	v_add_co_ci_u32_e32 v26, vcc_lo, 0, v26, vcc_lo
	s_xor_b32 s42, s11, -1
	v_add_co_u32 v31, s11, v31, s22
	s_delay_alu instid0(VALU_DEP_2)
	v_cmp_ge_i64_e32 vcc_lo, v[25:26], v[27:28]
	v_add_co_ci_u32_e64 v32, s11, s23, v32, s11
	s_or_b32 s11, s42, vcc_lo
	v_add_co_u32 v29, vcc_lo, v29, s22
	v_add_co_ci_u32_e32 v30, vcc_lo, s23, v30, vcc_lo
	s_and_b32 s11, exec_lo, s11
	s_delay_alu instid0(SALU_CYCLE_1) | instskip(NEXT) | instid1(SALU_CYCLE_1)
	s_or_b32 s61, s11, s61
	s_and_not1_b32 exec_lo, exec_lo, s61
	s_cbranch_execz .LBB117_52
.LBB117_37:                             ;   Parent Loop BB117_13 Depth=1
                                        ;     Parent Loop BB117_23 Depth=2
                                        ; =>    This Loop Header: Depth=3
                                        ;         Child Loop BB117_49 Depth 4
                                        ;         Child Loop BB117_45 Depth 4
	;; [unrolled: 1-line block ×3, first 2 shown]
	v_lshlrev_b64 v[35:36], 3, v[25:26]
	s_delay_alu instid0(VALU_DEP_1) | instskip(NEXT) | instid1(VALU_DEP_2)
	v_add_co_u32 v35, vcc_lo, s26, v35
	v_add_co_ci_u32_e32 v36, vcc_lo, s27, v36, vcc_lo
	global_load_b64 v[35:36], v[35:36], off
	s_waitcnt vmcnt(0)
	v_sub_co_u32 v35, vcc_lo, v35, s29
	v_subrev_co_ci_u32_e32 v36, vcc_lo, 0, v36, vcc_lo
	s_delay_alu instid0(VALU_DEP_1) | instskip(SKIP_1) | instid1(VALU_DEP_2)
	v_cmp_lt_i64_e64 s11, v[35:36], v[17:18]
	v_cmp_ge_i64_e32 vcc_lo, v[35:36], v[19:20]
	s_or_b32 s42, s11, vcc_lo
                                        ; implicit-def: $sgpr11
	s_delay_alu instid0(SALU_CYCLE_1) | instskip(NEXT) | instid1(SALU_CYCLE_1)
	s_and_saveexec_b32 s43, s42
	s_xor_b32 s42, exec_lo, s43
	s_cbranch_execz .LBB117_41
; %bb.38:                               ;   in Loop: Header=BB117_37 Depth=3
	s_mov_b32 s43, -1
	s_and_saveexec_b32 s11, vcc_lo
; %bb.39:                               ;   in Loop: Header=BB117_37 Depth=3
	v_cmp_lt_i64_e32 vcc_lo, v[35:36], v[21:22]
	v_dual_mov_b32 v34, v26 :: v_dual_mov_b32 v33, v25
	s_xor_b32 s43, exec_lo, -1
	v_dual_cndmask_b32 v22, v22, v36 :: v_dual_cndmask_b32 v21, v21, v35
; %bb.40:                               ;   in Loop: Header=BB117_37 Depth=3
	s_or_b32 exec_lo, exec_lo, s11
	s_delay_alu instid0(SALU_CYCLE_1)
	s_and_b32 s11, s43, exec_lo
                                        ; implicit-def: $vgpr35_vgpr36
.LBB117_41:                             ;   in Loop: Header=BB117_37 Depth=3
	s_and_not1_saveexec_b32 s62, s42
	s_cbranch_execz .LBB117_36
; %bb.42:                               ;   in Loop: Header=BB117_37 Depth=3
	v_sub_nc_u32_e32 v10, v35, v17
	s_delay_alu instid0(VALU_DEP_1)
	v_lshlrev_b32_e32 v35, 2, v10
	ds_store_b32 v35, v59 offset:6144
	s_and_saveexec_b32 s63, s50
	s_cbranch_execz .LBB117_35
; %bb.43:                               ;   in Loop: Header=BB117_37 Depth=3
	s_and_not1_b32 vcc_lo, exec_lo, s51
	s_cbranch_vccnz .LBB117_47
; %bb.44:                               ;   in Loop: Header=BB117_37 Depth=3
	v_dual_mov_b32 v35, 0 :: v_dual_mov_b32 v60, v56
	v_mov_b32_e32 v38, v32
	v_dual_mov_b32 v36, 0 :: v_dual_mov_b32 v37, v31
	s_mov_b64 s[42:43], s[38:39]
.LBB117_45:                             ;   Parent Loop BB117_13 Depth=1
                                        ;     Parent Loop BB117_23 Depth=2
                                        ;       Parent Loop BB117_37 Depth=3
                                        ; =>      This Inner Loop Header: Depth=4
	global_load_b64 v[61:62], v[37:38], off
	ds_load_b64 v[63:64], v60
	v_add_co_u32 v37, vcc_lo, v37, 8
	v_add_co_ci_u32_e32 v38, vcc_lo, 0, v38, vcc_lo
	s_add_u32 s42, s42, -1
	v_add_nc_u32_e32 v60, 32, v60
	s_addc_u32 s43, s43, -1
	s_delay_alu instid0(SALU_CYCLE_1)
	s_cmp_lg_u64 s[42:43], 0
	s_waitcnt vmcnt(0) lgkmcnt(0)
	v_fma_f64 v[35:36], v[63:64], v[61:62], v[35:36]
	s_cbranch_scc1 .LBB117_45
; %bb.46:                               ;   in Loop: Header=BB117_37 Depth=3
	s_branch .LBB117_50
.LBB117_47:                             ;   in Loop: Header=BB117_37 Depth=3
                                        ; implicit-def: $vgpr35_vgpr36
	s_cbranch_execz .LBB117_50
; %bb.48:                               ;   in Loop: Header=BB117_37 Depth=3
	v_dual_mov_b32 v35, 0 :: v_dual_mov_b32 v60, v57
	v_mov_b32_e32 v38, v30
	v_dual_mov_b32 v36, 0 :: v_dual_mov_b32 v37, v29
	s_mov_b64 s[42:43], s[38:39]
.LBB117_49:                             ;   Parent Loop BB117_13 Depth=1
                                        ;     Parent Loop BB117_23 Depth=2
                                        ;       Parent Loop BB117_37 Depth=3
                                        ; =>      This Inner Loop Header: Depth=4
	global_load_b64 v[61:62], v[37:38], off
	ds_load_b64 v[63:64], v60
	v_add_co_u32 v37, vcc_lo, v37, s16
	s_add_u32 s42, s42, -1
	v_add_co_ci_u32_e32 v38, vcc_lo, s17, v38, vcc_lo
	v_add_nc_u32_e32 v60, 8, v60
	s_addc_u32 s43, s43, -1
	s_delay_alu instid0(SALU_CYCLE_1)
	s_cmp_eq_u64 s[42:43], 0
	s_waitcnt vmcnt(0) lgkmcnt(0)
	v_fma_f64 v[35:36], v[63:64], v[61:62], v[35:36]
	s_cbranch_scc0 .LBB117_49
.LBB117_50:                             ;   in Loop: Header=BB117_37 Depth=3
	s_delay_alu instid0(VALU_DEP_1) | instskip(SKIP_2) | instid1(VALU_DEP_1)
	v_mul_f64 v[35:36], v[1:2], v[35:36]
	v_lshlrev_b32_e32 v10, 4, v10
	s_mov_b32 s42, 0
	v_or3_b32 v10, v10, v42, v7
	s_delay_alu instid0(VALU_DEP_1)
	v_lshlrev_b32_e32 v10, 3, v10
	ds_load_b64 v[37:38], v10
.LBB117_51:                             ;   Parent Loop BB117_13 Depth=1
                                        ;     Parent Loop BB117_23 Depth=2
                                        ;       Parent Loop BB117_37 Depth=3
                                        ; =>      This Inner Loop Header: Depth=4
	s_waitcnt lgkmcnt(0)
	v_add_f64 v[60:61], v[37:38], v[35:36]
	ds_cmpstore_rtn_b64 v[60:61], v10, v[60:61], v[37:38]
	s_waitcnt lgkmcnt(0)
	v_cmp_eq_u64_e32 vcc_lo, v[60:61], v[37:38]
	v_dual_mov_b32 v37, v60 :: v_dual_mov_b32 v38, v61
	s_or_b32 s42, vcc_lo, s42
	s_delay_alu instid0(SALU_CYCLE_1)
	s_and_not1_b32 exec_lo, exec_lo, s42
	s_cbranch_execnz .LBB117_51
	s_branch .LBB117_35
.LBB117_52:                             ;   in Loop: Header=BB117_23 Depth=2
	s_or_b32 exec_lo, exec_lo, s61
	v_dual_mov_b32 v25, v33 :: v_dual_mov_b32 v26, v34
.LBB117_53:                             ;   in Loop: Header=BB117_23 Depth=2
	s_or_b32 exec_lo, exec_lo, s60
.LBB117_54:                             ;   in Loop: Header=BB117_23 Depth=2
	s_delay_alu instid0(SALU_CYCLE_1)
	s_or_b32 exec_lo, exec_lo, s59
	s_waitcnt lgkmcnt(0)
	s_barrier
	buffer_gl0_inv
	s_and_saveexec_b32 s11, s10
	s_cbranch_execz .LBB117_22
; %bb.55:                               ;   in Loop: Header=BB117_23 Depth=2
	v_add_co_u32 v23, vcc_lo, s46, v23
	v_add_co_ci_u32_e32 v24, vcc_lo, s47, v24, vcc_lo
	global_store_b64 v[23:24], v[25:26], off
	s_branch .LBB117_22
.LBB117_56:                             ;   in Loop: Header=BB117_13 Depth=1
	s_and_not1_b32 vcc_lo, exec_lo, s33
	s_cbranch_vccnz .LBB117_69
; %bb.57:                               ;   in Loop: Header=BB117_13 Depth=1
	s_load_b128 s[40:43], s[12:13], 0x0
	s_waitcnt lgkmcnt(0)
	v_add_co_u32 v23, vcc_lo, s40, v43
	v_add_co_ci_u32_e32 v24, vcc_lo, s41, v44, vcc_lo
	s_sub_u32 s10, s42, s52
	s_subb_u32 s11, s43, 0
	s_mov_b32 s40, exec_lo
	s_delay_alu instid0(VALU_DEP_1)
	v_cmpx_gt_i64_e64 s[10:11], v[23:24]
	s_cbranch_execz .LBB117_68
; %bb.58:                               ;   in Loop: Header=BB117_13 Depth=1
	s_mov_b32 s41, 0
	s_branch .LBB117_61
.LBB117_59:                             ;   in Loop: Header=BB117_61 Depth=2
	s_or_b32 exec_lo, exec_lo, s43
	s_delay_alu instid0(SALU_CYCLE_1)
	s_or_b32 s9, s9, exec_lo
.LBB117_60:                             ;   in Loop: Header=BB117_61 Depth=2
	s_or_b32 exec_lo, exec_lo, s42
	v_add_co_u32 v23, vcc_lo, v23, 16
	v_add_co_ci_u32_e32 v24, vcc_lo, 0, v24, vcc_lo
	s_xor_b32 s9, s9, -1
	s_delay_alu instid0(VALU_DEP_1) | instskip(SKIP_1) | instid1(SALU_CYCLE_1)
	v_cmp_le_i64_e32 vcc_lo, s[10:11], v[23:24]
	s_or_b32 s9, s9, vcc_lo
	s_and_b32 s9, exec_lo, s9
	s_delay_alu instid0(SALU_CYCLE_1) | instskip(NEXT) | instid1(SALU_CYCLE_1)
	s_or_b32 s41, s9, s41
	s_and_not1_b32 exec_lo, exec_lo, s41
	s_cbranch_execz .LBB117_67
.LBB117_61:                             ;   Parent Loop BB117_13 Depth=1
                                        ; =>  This Loop Header: Depth=2
                                        ;       Child Loop BB117_66 Depth 3
	v_lshlrev_b64 v[25:26], 3, v[23:24]
	s_delay_alu instid0(VALU_DEP_1) | instskip(NEXT) | instid1(VALU_DEP_2)
	v_add_co_u32 v25, vcc_lo, s14, v25
	v_add_co_ci_u32_e32 v26, vcc_lo, s15, v26, vcc_lo
	global_load_b64 v[25:26], v[25:26], off
	s_waitcnt vmcnt(0)
	v_sub_co_u32 v25, vcc_lo, v25, s52
	v_subrev_co_ci_u32_e32 v26, vcc_lo, 0, v26, vcc_lo
	s_delay_alu instid0(VALU_DEP_1)
	v_cmp_lt_i64_e32 vcc_lo, v[25:26], v[19:20]
	v_cmp_lt_i64_e64 s9, v[25:26], v[17:18]
	s_xor_b32 s42, vcc_lo, -1
	s_delay_alu instid0(VALU_DEP_1) | instid1(SALU_CYCLE_1)
	s_or_b32 s42, s9, s42
                                        ; implicit-def: $sgpr9
	s_delay_alu instid0(SALU_CYCLE_1) | instskip(NEXT) | instid1(SALU_CYCLE_1)
	s_and_saveexec_b32 s43, s42
	s_xor_b32 s42, exec_lo, s43
; %bb.62:                               ;   in Loop: Header=BB117_61 Depth=2
	v_cmp_lt_i64_e64 s9, v[25:26], v[21:22]
	s_delay_alu instid0(VALU_DEP_1) | instskip(SKIP_2) | instid1(VALU_DEP_1)
	v_cndmask_b32_e64 v10, v21, v25, s9
	v_cndmask_b32_e64 v25, v22, v26, s9
	s_and_b32 s9, vcc_lo, exec_lo
	v_dual_cndmask_b32 v21, v10, v21 :: v_dual_cndmask_b32 v22, v25, v22
                                        ; implicit-def: $vgpr25
; %bb.63:                               ;   in Loop: Header=BB117_61 Depth=2
	s_and_not1_saveexec_b32 s42, s42
	s_cbranch_execz .LBB117_60
; %bb.64:                               ;   in Loop: Header=BB117_61 Depth=2
	v_sub_nc_u32_e32 v10, v25, v17
	s_delay_alu instid0(VALU_DEP_1)
	v_lshlrev_b32_e32 v25, 2, v10
	ds_store_b32 v25, v59 offset:6144
	s_and_saveexec_b32 s43, s54
	s_cbranch_execz .LBB117_59
; %bb.65:                               ;   in Loop: Header=BB117_61 Depth=2
	v_mul_lo_u32 v27, v24, s18
	v_mul_lo_u32 v28, v23, s19
	v_mad_u64_u32 v[25:26], null, v23, s18, 0
	v_lshlrev_b32_e32 v10, 4, v10
	s_mov_b32 s59, 0
	s_delay_alu instid0(VALU_DEP_1) | instskip(NEXT) | instid1(VALU_DEP_3)
	v_or3_b32 v10, v10, v42, v7
	v_add3_u32 v26, v26, v28, v27
	s_delay_alu instid0(VALU_DEP_2) | instskip(NEXT) | instid1(VALU_DEP_2)
	v_lshlrev_b32_e32 v10, 3, v10
	v_lshlrev_b64 v[25:26], 3, v[25:26]
	ds_load_b64 v[27:28], v10
	v_add_co_u32 v25, vcc_lo, v53, v25
	v_add_co_ci_u32_e32 v26, vcc_lo, v52, v26, vcc_lo
	global_load_b64 v[25:26], v[25:26], off
	s_waitcnt vmcnt(0)
	v_mul_f64 v[25:26], v[3:4], v[25:26]
.LBB117_66:                             ;   Parent Loop BB117_13 Depth=1
                                        ;     Parent Loop BB117_61 Depth=2
                                        ; =>    This Inner Loop Header: Depth=3
	s_waitcnt lgkmcnt(0)
	s_delay_alu instid0(VALU_DEP_1)
	v_add_f64 v[29:30], v[27:28], v[25:26]
	ds_cmpstore_rtn_b64 v[29:30], v10, v[29:30], v[27:28]
	s_waitcnt lgkmcnt(0)
	v_cmp_eq_u64_e32 vcc_lo, v[29:30], v[27:28]
	v_dual_mov_b32 v27, v29 :: v_dual_mov_b32 v28, v30
	s_or_b32 s59, vcc_lo, s59
	s_delay_alu instid0(SALU_CYCLE_1)
	s_and_not1_b32 exec_lo, exec_lo, s59
	s_cbranch_execnz .LBB117_66
	s_branch .LBB117_59
.LBB117_67:                             ;   in Loop: Header=BB117_13 Depth=1
	s_or_b32 exec_lo, exec_lo, s41
.LBB117_68:                             ;   in Loop: Header=BB117_13 Depth=1
	s_delay_alu instid0(SALU_CYCLE_1)
	s_or_b32 exec_lo, exec_lo, s40
.LBB117_69:                             ;   in Loop: Header=BB117_13 Depth=1
	s_and_saveexec_b32 s9, s3
	s_cbranch_execz .LBB117_74
; %bb.70:                               ;   in Loop: Header=BB117_13 Depth=1
	s_mov_b32 s40, exec_lo
	s_mov_b64 s[10:11], -1
.LBB117_71:                             ;   Parent Loop BB117_13 Depth=1
                                        ; =>  This Inner Loop Header: Depth=2
	s_ctz_i32_b32 s41, s40
	s_delay_alu instid0(SALU_CYCLE_1) | instskip(SKIP_1) | instid1(VALU_DEP_1)
	v_readlane_b32 s43, v22, s41
	v_readlane_b32 s42, v21, s41
	v_cmp_lt_u64_e64 s59, s[10:11], s[42:43]
	s_delay_alu instid0(VALU_DEP_1) | instskip(SKIP_3) | instid1(SALU_CYCLE_1)
	s_and_b32 s59, s59, exec_lo
	s_cselect_b32 s11, s11, s43
	s_cselect_b32 s10, s10, s42
	s_lshl_b32 s41, 1, s41
	s_and_not1_b32 s40, s40, s41
	s_delay_alu instid0(SALU_CYCLE_1)
	s_cmp_lg_u32 s40, 0
	s_cbranch_scc1 .LBB117_71
; %bb.72:                               ;   in Loop: Header=BB117_13 Depth=1
	v_mbcnt_lo_u32_b32 v10, exec_lo, 0
	s_mov_b32 s40, exec_lo
	s_delay_alu instid0(VALU_DEP_1)
	v_cmpx_eq_u32_e32 0, v10
	s_xor_b32 s40, exec_lo, s40
	s_cbranch_execz .LBB117_74
; %bb.73:                               ;   in Loop: Header=BB117_13 Depth=1
	v_dual_mov_b32 v20, s11 :: v_dual_mov_b32 v19, s10
	ds_min_u64 v9, v[19:20] offset:6272
.LBB117_74:                             ;   in Loop: Header=BB117_13 Depth=1
	s_or_b32 exec_lo, exec_lo, s9
	s_waitcnt lgkmcnt(0)
	s_waitcnt_vscnt null, 0x0
	s_barrier
	buffer_gl0_inv
	ds_load_b32 v19, v45
	s_waitcnt lgkmcnt(0)
	s_barrier
	buffer_gl0_inv
	s_and_saveexec_b32 s9, s4
	s_cbranch_execz .LBB117_76
; %bb.75:                               ;   in Loop: Header=BB117_13 Depth=1
	ds_load_b32 v10, v46
	s_waitcnt lgkmcnt(0)
	v_add_nc_u32_e32 v19, v10, v19
.LBB117_76:                             ;   in Loop: Header=BB117_13 Depth=1
	s_or_b32 exec_lo, exec_lo, s9
	s_barrier
	buffer_gl0_inv
	ds_store_b32 v45, v19
	s_waitcnt lgkmcnt(0)
	s_barrier
	buffer_gl0_inv
	s_and_saveexec_b32 s9, s5
	s_cbranch_execz .LBB117_78
; %bb.77:                               ;   in Loop: Header=BB117_13 Depth=1
	ds_load_b32 v10, v48
	s_waitcnt lgkmcnt(0)
	v_add_nc_u32_e32 v19, v10, v19
.LBB117_78:                             ;   in Loop: Header=BB117_13 Depth=1
	s_or_b32 exec_lo, exec_lo, s9
	s_barrier
	buffer_gl0_inv
	ds_store_b32 v45, v19
	;; [unrolled: 14-line block ×5, first 2 shown]
	s_waitcnt lgkmcnt(0)
	s_barrier
	buffer_gl0_inv
	ds_load_b32 v10, v9 offset:6268
	v_mov_b32_e32 v20, 0
	s_and_saveexec_b32 s9, s53
	s_cbranch_execz .LBB117_86
; %bb.85:                               ;   in Loop: Header=BB117_13 Depth=1
	ds_load_b32 v20, v46
.LBB117_86:                             ;   in Loop: Header=BB117_13 Depth=1
	s_or_b32 exec_lo, exec_lo, s9
	s_waitcnt lgkmcnt(0)
	v_cmp_eq_u32_e32 vcc_lo, v19, v20
	s_barrier
	buffer_gl0_inv
	s_and_b32 s10, s53, vcc_lo
	s_delay_alu instid0(SALU_CYCLE_1)
	s_and_saveexec_b32 s9, s10
	s_cbranch_execz .LBB117_88
; %bb.87:                               ;   in Loop: Header=BB117_13 Depth=1
	ds_store_b32 v45, v9
.LBB117_88:                             ;   in Loop: Header=BB117_13 Depth=1
	s_or_b32 exec_lo, exec_lo, s9
	s_waitcnt lgkmcnt(0)
	s_barrier
	buffer_gl0_inv
	s_and_saveexec_b32 s9, s1
	s_cbranch_execz .LBB117_12
; %bb.89:                               ;   in Loop: Header=BB117_13 Depth=1
	v_add_co_u32 v19, vcc_lo, v15, -1
	v_add_co_ci_u32_e32 v20, vcc_lo, -1, v16, vcc_lo
	v_add_co_u32 v21, vcc_lo, s30, v17
	v_add_co_ci_u32_e32 v22, vcc_lo, 0, v18, vcc_lo
	v_dual_mov_b32 v23, v58 :: v_dual_mov_b32 v24, v39
	v_dual_mov_b32 v18, v6 :: v_dual_mov_b32 v17, v5
	s_mov_b32 s10, 0
	s_branch .LBB117_91
.LBB117_90:                             ;   in Loop: Header=BB117_91 Depth=2
	s_or_b32 exec_lo, exec_lo, s11
	v_add_co_u32 v17, vcc_lo, v17, 16
	v_add_co_ci_u32_e32 v18, vcc_lo, 0, v18, vcc_lo
	v_add_nc_u32_e32 v24, 0x800, v24
	s_delay_alu instid0(VALU_DEP_3) | instskip(SKIP_1) | instid1(VALU_DEP_2)
	v_add_nc_u32_e32 v25, -16, v17
	v_add_nc_u32_e32 v23, 64, v23
	v_cmp_lt_u32_e32 vcc_lo, 15, v25
	s_or_b32 s10, vcc_lo, s10
	s_delay_alu instid0(SALU_CYCLE_1)
	s_and_not1_b32 exec_lo, exec_lo, s10
	s_cbranch_execz .LBB117_12
.LBB117_91:                             ;   Parent Loop BB117_13 Depth=1
                                        ; =>  This Inner Loop Header: Depth=2
	ds_load_b32 v25, v23
	s_mov_b32 s11, exec_lo
	s_waitcnt lgkmcnt(0)
	v_cmpx_ne_u32_e32 0, v25
	s_cbranch_execz .LBB117_90
; %bb.92:                               ;   in Loop: Header=BB117_91 Depth=2
	v_ashrrev_i32_e32 v26, 31, v25
	v_add_co_u32 v27, vcc_lo, v15, v25
	s_delay_alu instid0(VALU_DEP_2) | instskip(SKIP_2) | instid1(VALU_DEP_3)
	v_add_co_ci_u32_e32 v28, vcc_lo, v16, v26, vcc_lo
	v_add_co_u32 v29, vcc_lo, v21, v17
	v_add_co_ci_u32_e32 v30, vcc_lo, v22, v18, vcc_lo
	v_lshlrev_b64 v[27:28], 3, v[27:28]
	s_delay_alu instid0(VALU_DEP_1) | instskip(NEXT) | instid1(VALU_DEP_2)
	v_add_co_u32 v27, vcc_lo, s57, v27
	v_add_co_ci_u32_e32 v28, vcc_lo, s58, v28, vcc_lo
	global_store_b64 v[27:28], v[29:30], off
	s_and_b32 exec_lo, exec_lo, s54
	s_cbranch_execz .LBB117_90
; %bb.93:                               ;   in Loop: Header=BB117_91 Depth=2
	v_add_co_u32 v27, vcc_lo, v19, v25
	v_add_co_ci_u32_e32 v25, vcc_lo, v20, v26, vcc_lo
	s_delay_alu instid0(VALU_DEP_2) | instskip(NEXT) | instid1(VALU_DEP_2)
	v_mul_lo_u32 v30, v27, s19
	v_mul_lo_u32 v29, v25, s18
	v_mad_u64_u32 v[25:26], null, v27, s18, 0
	ds_load_b64 v[27:28], v24
	v_add3_u32 v26, v26, v30, v29
	s_delay_alu instid0(VALU_DEP_1) | instskip(NEXT) | instid1(VALU_DEP_1)
	v_lshlrev_b64 v[25:26], 3, v[25:26]
	v_add_co_u32 v25, vcc_lo, v55, v25
	s_delay_alu instid0(VALU_DEP_2)
	v_add_co_ci_u32_e32 v26, vcc_lo, v54, v26, vcc_lo
	s_waitcnt lgkmcnt(0)
	global_store_b64 v[25:26], v[27:28], off
	s_branch .LBB117_90
.LBB117_94:
	s_endpgm
	.section	.rodata,"a",@progbits
	.p2align	6, 0x0
	.amdhsa_kernel _ZN9rocsparseL38bsrgemm_block_per_row_atomic_multipassILj256ELj32ELj4ElldEEv20rocsparse_direction_T3_S2_PKS2_S4_NS_24const_host_device_scalarIT4_EEPKT2_S4_PKS6_SA_S4_SC_S7_SA_S4_SC_SA_PS2_PS6_PS8_21rocsparse_index_base_SG_SG_SG_bbb
		.amdhsa_group_segment_fixed_size 6280
		.amdhsa_private_segment_fixed_size 0
		.amdhsa_kernarg_size 180
		.amdhsa_user_sgpr_count 15
		.amdhsa_user_sgpr_dispatch_ptr 0
		.amdhsa_user_sgpr_queue_ptr 0
		.amdhsa_user_sgpr_kernarg_segment_ptr 1
		.amdhsa_user_sgpr_dispatch_id 0
		.amdhsa_user_sgpr_private_segment_size 0
		.amdhsa_wavefront_size32 1
		.amdhsa_uses_dynamic_stack 0
		.amdhsa_enable_private_segment 0
		.amdhsa_system_sgpr_workgroup_id_x 1
		.amdhsa_system_sgpr_workgroup_id_y 0
		.amdhsa_system_sgpr_workgroup_id_z 0
		.amdhsa_system_sgpr_workgroup_info 0
		.amdhsa_system_vgpr_workitem_id 0
		.amdhsa_next_free_vgpr 65
		.amdhsa_next_free_sgpr 64
		.amdhsa_reserve_vcc 1
		.amdhsa_float_round_mode_32 0
		.amdhsa_float_round_mode_16_64 0
		.amdhsa_float_denorm_mode_32 3
		.amdhsa_float_denorm_mode_16_64 3
		.amdhsa_dx10_clamp 1
		.amdhsa_ieee_mode 1
		.amdhsa_fp16_overflow 0
		.amdhsa_workgroup_processor_mode 1
		.amdhsa_memory_ordered 1
		.amdhsa_forward_progress 0
		.amdhsa_shared_vgpr_count 0
		.amdhsa_exception_fp_ieee_invalid_op 0
		.amdhsa_exception_fp_denorm_src 0
		.amdhsa_exception_fp_ieee_div_zero 0
		.amdhsa_exception_fp_ieee_overflow 0
		.amdhsa_exception_fp_ieee_underflow 0
		.amdhsa_exception_fp_ieee_inexact 0
		.amdhsa_exception_int_div_zero 0
	.end_amdhsa_kernel
	.section	.text._ZN9rocsparseL38bsrgemm_block_per_row_atomic_multipassILj256ELj32ELj4ElldEEv20rocsparse_direction_T3_S2_PKS2_S4_NS_24const_host_device_scalarIT4_EEPKT2_S4_PKS6_SA_S4_SC_S7_SA_S4_SC_SA_PS2_PS6_PS8_21rocsparse_index_base_SG_SG_SG_bbb,"axG",@progbits,_ZN9rocsparseL38bsrgemm_block_per_row_atomic_multipassILj256ELj32ELj4ElldEEv20rocsparse_direction_T3_S2_PKS2_S4_NS_24const_host_device_scalarIT4_EEPKT2_S4_PKS6_SA_S4_SC_S7_SA_S4_SC_SA_PS2_PS6_PS8_21rocsparse_index_base_SG_SG_SG_bbb,comdat
.Lfunc_end117:
	.size	_ZN9rocsparseL38bsrgemm_block_per_row_atomic_multipassILj256ELj32ELj4ElldEEv20rocsparse_direction_T3_S2_PKS2_S4_NS_24const_host_device_scalarIT4_EEPKT2_S4_PKS6_SA_S4_SC_S7_SA_S4_SC_SA_PS2_PS6_PS8_21rocsparse_index_base_SG_SG_SG_bbb, .Lfunc_end117-_ZN9rocsparseL38bsrgemm_block_per_row_atomic_multipassILj256ELj32ELj4ElldEEv20rocsparse_direction_T3_S2_PKS2_S4_NS_24const_host_device_scalarIT4_EEPKT2_S4_PKS6_SA_S4_SC_S7_SA_S4_SC_SA_PS2_PS6_PS8_21rocsparse_index_base_SG_SG_SG_bbb
                                        ; -- End function
	.section	.AMDGPU.csdata,"",@progbits
; Kernel info:
; codeLenInByte = 4096
; NumSgprs: 66
; NumVgprs: 65
; ScratchSize: 0
; MemoryBound: 0
; FloatMode: 240
; IeeeMode: 1
; LDSByteSize: 6280 bytes/workgroup (compile time only)
; SGPRBlocks: 8
; VGPRBlocks: 8
; NumSGPRsForWavesPerEU: 66
; NumVGPRsForWavesPerEU: 65
; Occupancy: 16
; WaveLimiterHint : 1
; COMPUTE_PGM_RSRC2:SCRATCH_EN: 0
; COMPUTE_PGM_RSRC2:USER_SGPR: 15
; COMPUTE_PGM_RSRC2:TRAP_HANDLER: 0
; COMPUTE_PGM_RSRC2:TGID_X_EN: 1
; COMPUTE_PGM_RSRC2:TGID_Y_EN: 0
; COMPUTE_PGM_RSRC2:TGID_Z_EN: 0
; COMPUTE_PGM_RSRC2:TIDIG_COMP_CNT: 0
	.section	.text._ZN9rocsparseL38bsrgemm_block_per_row_atomic_multipassILj256ELj64ELj4ElldEEv20rocsparse_direction_T3_S2_PKS2_S4_NS_24const_host_device_scalarIT4_EEPKT2_S4_PKS6_SA_S4_SC_S7_SA_S4_SC_SA_PS2_PS6_PS8_21rocsparse_index_base_SG_SG_SG_bbb,"axG",@progbits,_ZN9rocsparseL38bsrgemm_block_per_row_atomic_multipassILj256ELj64ELj4ElldEEv20rocsparse_direction_T3_S2_PKS2_S4_NS_24const_host_device_scalarIT4_EEPKT2_S4_PKS6_SA_S4_SC_S7_SA_S4_SC_SA_PS2_PS6_PS8_21rocsparse_index_base_SG_SG_SG_bbb,comdat
	.globl	_ZN9rocsparseL38bsrgemm_block_per_row_atomic_multipassILj256ELj64ELj4ElldEEv20rocsparse_direction_T3_S2_PKS2_S4_NS_24const_host_device_scalarIT4_EEPKT2_S4_PKS6_SA_S4_SC_S7_SA_S4_SC_SA_PS2_PS6_PS8_21rocsparse_index_base_SG_SG_SG_bbb ; -- Begin function _ZN9rocsparseL38bsrgemm_block_per_row_atomic_multipassILj256ELj64ELj4ElldEEv20rocsparse_direction_T3_S2_PKS2_S4_NS_24const_host_device_scalarIT4_EEPKT2_S4_PKS6_SA_S4_SC_S7_SA_S4_SC_SA_PS2_PS6_PS8_21rocsparse_index_base_SG_SG_SG_bbb
	.p2align	8
	.type	_ZN9rocsparseL38bsrgemm_block_per_row_atomic_multipassILj256ELj64ELj4ElldEEv20rocsparse_direction_T3_S2_PKS2_S4_NS_24const_host_device_scalarIT4_EEPKT2_S4_PKS6_SA_S4_SC_S7_SA_S4_SC_SA_PS2_PS6_PS8_21rocsparse_index_base_SG_SG_SG_bbb,@function
_ZN9rocsparseL38bsrgemm_block_per_row_atomic_multipassILj256ELj64ELj4ElldEEv20rocsparse_direction_T3_S2_PKS2_S4_NS_24const_host_device_scalarIT4_EEPKT2_S4_PKS6_SA_S4_SC_S7_SA_S4_SC_SA_PS2_PS6_PS8_21rocsparse_index_base_SG_SG_SG_bbb: ; @_ZN9rocsparseL38bsrgemm_block_per_row_atomic_multipassILj256ELj64ELj4ElldEEv20rocsparse_direction_T3_S2_PKS2_S4_NS_24const_host_device_scalarIT4_EEPKT2_S4_PKS6_SA_S4_SC_S7_SA_S4_SC_SA_PS2_PS6_PS8_21rocsparse_index_base_SG_SG_SG_bbb
; %bb.0:
	s_clause 0x3
	s_load_b32 s3, s[0:1], 0xb0
	s_load_b64 s[6:7], s[0:1], 0x28
	s_load_b128 s[28:31], s[0:1], 0xa0
	s_load_b64 s[4:5], s[0:1], 0x60
	s_mov_b32 s2, s15
	s_waitcnt lgkmcnt(0)
	s_and_b32 s8, 1, s3
	s_bitcmp1_b32 s3, 16
	s_cselect_b32 s9, -1, 0
	s_cmp_eq_u32 s8, 1
	s_cselect_b32 s8, -1, 0
	s_delay_alu instid0(SALU_CYCLE_1)
	s_and_b32 s10, s8, exec_lo
	s_cselect_b32 s11, s7, 0
	s_cselect_b32 s10, s6, 0
	s_xor_b32 s12, s8, -1
	v_dual_mov_b32 v1, s10 :: v_dual_mov_b32 v2, s11
	s_or_b32 s12, s12, s9
	s_delay_alu instid0(SALU_CYCLE_1)
	s_and_b32 vcc_lo, exec_lo, s12
	s_cbranch_vccnz .LBB118_2
; %bb.1:
	v_dual_mov_b32 v1, s6 :: v_dual_mov_b32 v2, s7
	flat_load_b64 v[1:2], v[1:2]
.LBB118_2:
	s_load_b64 s[6:7], s[0:1], 0x20
	s_bitcmp1_b32 s3, 8
	s_cselect_b32 s33, -1, 0
	s_delay_alu instid0(SALU_CYCLE_1)
	s_and_b32 s3, s33, exec_lo
	s_cselect_b32 s11, s5, 0
	s_cselect_b32 s10, s4, 0
	s_xor_b32 s3, s33, -1
	v_dual_mov_b32 v3, s10 :: v_dual_mov_b32 v4, s11
	s_or_b32 s3, s3, s9
	s_delay_alu instid0(SALU_CYCLE_1)
	s_and_b32 vcc_lo, exec_lo, s3
	s_cbranch_vccnz .LBB118_4
; %bb.3:
	v_dual_mov_b32 v3, s4 :: v_dual_mov_b32 v4, s5
	flat_load_b64 v[3:4], v[3:4]
.LBB118_4:
	s_load_b64 s[4:5], s[0:1], 0x30
	s_mov_b64 s[34:35], 0
	s_waitcnt lgkmcnt(0)
	s_cmp_eq_u64 s[6:7], 0
	s_mov_b32 s3, 0
	s_cbranch_scc1 .LBB118_6
; %bb.5:
	s_load_b64 s[10:11], s[0:1], 0x18
	s_waitcnt lgkmcnt(0)
	s_load_b64 s[10:11], s[10:11], 0x0
	s_waitcnt lgkmcnt(0)
	s_lshl_b64 s[10:11], s[10:11], 3
	s_delay_alu instid0(SALU_CYCLE_1) | instskip(SKIP_2) | instid1(SALU_CYCLE_1)
	s_add_u32 s6, s6, s10
	s_addc_u32 s7, s7, s11
	s_lshl_b64 s[2:3], s[2:3], 3
	s_add_u32 s2, s6, s2
	s_addc_u32 s3, s7, s3
	s_load_b64 s[2:3], s[2:3], 0x0
.LBB118_6:
	s_and_not1_b32 vcc_lo, exec_lo, s8
	s_cbranch_vccz .LBB118_9
; %bb.7:
	s_and_not1_b32 vcc_lo, exec_lo, s8
	s_mov_b64 s[44:45], 0
	s_cbranch_vccz .LBB118_10
.LBB118_8:
	s_load_b128 s[36:39], s[0:1], 0x8
	s_waitcnt lgkmcnt(0)
	v_cmp_lt_i64_e64 s4, s[36:37], 1
	s_delay_alu instid0(VALU_DEP_1)
	s_and_b32 vcc_lo, exec_lo, s4
	s_cbranch_vccz .LBB118_11
	s_branch .LBB118_94
.LBB118_9:
	s_waitcnt lgkmcnt(0)
	s_lshl_b64 s[6:7], s[2:3], 3
	s_delay_alu instid0(SALU_CYCLE_1)
	s_add_u32 s6, s4, s6
	s_addc_u32 s7, s5, s7
	s_load_b64 s[6:7], s[6:7], 0x0
	s_waitcnt lgkmcnt(0)
	s_sub_u32 s34, s6, s28
	s_subb_u32 s35, s7, 0
	s_and_not1_b32 vcc_lo, exec_lo, s8
	s_mov_b64 s[44:45], 0
	s_cbranch_vccnz .LBB118_8
.LBB118_10:
	s_waitcnt lgkmcnt(0)
	s_lshl_b64 s[6:7], s[2:3], 3
	s_delay_alu instid0(SALU_CYCLE_1)
	s_add_u32 s4, s4, s6
	s_addc_u32 s5, s5, s7
	s_load_b64 s[4:5], s[4:5], 0x8
	s_waitcnt lgkmcnt(0)
	s_sub_u32 s44, s4, s28
	s_subb_u32 s45, s5, 0
	s_load_b128 s[36:39], s[0:1], 0x8
	s_waitcnt lgkmcnt(0)
	v_cmp_lt_i64_e64 s4, s[36:37], 1
	s_delay_alu instid0(VALU_DEP_1)
	s_and_b32 vcc_lo, exec_lo, s4
	s_cbranch_vccnz .LBB118_94
.LBB118_11:
	s_clause 0x4
	s_load_b256 s[12:19], s[0:1], 0x68
	s_load_b64 s[46:47], s[0:1], 0x98
	s_load_b128 s[40:43], s[0:1], 0x88
	s_load_b64 s[48:49], s[0:1], 0x58
	s_load_b256 s[20:27], s[0:1], 0x38
	v_bfe_u32 v11, v0, 2, 2
	v_dual_mov_b32 v6, 0 :: v_dual_and_b32 v7, 3, v0
	s_lshl_b64 s[6:7], s[2:3], 3
	s_mul_i32 s4, s38, s39
	s_delay_alu instid0(VALU_DEP_2)
	v_mad_u64_u32 v[9:10], null, v11, s38, 0
	v_and_b32_e32 v19, 15, v0
	v_mad_u64_u32 v[13:14], null, v7, s38, 0
	v_mov_b32_e32 v12, v6
	s_mul_hi_u32 s9, s38, s38
	s_load_b32 s5, s[0:1], 0x0
	s_delay_alu instid0(VALU_DEP_4)
	v_mov_b32_e32 v8, v10
	v_lshrrev_b32_e32 v5, 4, v0
	s_waitcnt lgkmcnt(0)
	s_add_u32 s2, s18, s6
	s_addc_u32 s3, s19, s7
	v_lshlrev_b32_e32 v39, 3, v0
	s_load_b64 s[2:3], s[2:3], 0x0
	v_mad_u64_u32 v[15:16], null, v11, s39, v[8:9]
	v_mov_b32_e32 v8, v14
	v_cmp_lt_i64_e64 s53, s[34:35], s[44:45]
	s_mov_b32 s52, s31
	v_and_b32_e32 v42, 12, v0
	v_cmp_gt_u32_e64 s0, 64, v0
	v_mad_u64_u32 v[16:17], null, v7, s39, v[8:9]
	v_mov_b32_e32 v10, v15
	v_mov_b32_e32 v8, v6
	v_cmp_eq_u32_e64 s1, 0, v0
	v_or_b32_e32 v40, 0x2000, v39
	v_lshl_or_b32 v47, v0, 2, 0x2800
	v_lshlrev_b64 v[17:18], 3, v[9:10]
	v_dual_mov_b32 v14, v16 :: v_dual_lshlrev_b32 v9, 3, v7
	v_cmp_gt_u64_e32 vcc_lo, s[38:39], v[11:12]
	v_mov_b32_e32 v10, v6
	s_waitcnt lgkmcnt(0)
	s_sub_u32 s10, s2, s30
	v_add_co_u32 v15, s2, s22, v17
	s_subb_u32 s11, s3, 0
	s_add_i32 s3, s9, s4
	v_add_co_ci_u32_e64 v16, s2, s23, v18, s2
	s_add_i32 s19, s3, s4
	v_cmp_gt_i64_e64 s3, s[38:39], v[7:8]
	v_cmp_gt_i64_e64 s2, s[38:39], v[11:12]
	v_lshlrev_b64 v[13:14], 3, v[13:14]
	v_add_co_u32 v8, s4, v15, v9
	s_delay_alu instid0(VALU_DEP_1) | instskip(NEXT) | instid1(VALU_DEP_4)
	v_add_co_ci_u32_e64 v41, s4, 0, v16, s4
	s_and_b32 s50, s3, s2
	v_lshlrev_b64 v[15:16], 3, v[11:12]
	v_lshlrev_b32_e32 v11, 3, v11
	v_add_co_u32 v12, s2, s42, v13
	s_delay_alu instid0(VALU_DEP_1) | instskip(SKIP_1) | instid1(VALU_DEP_1)
	v_add_co_ci_u32_e64 v20, s2, s43, v14, s2
	v_add_co_u32 v21, s2, s42, v17
	v_add_co_ci_u32_e64 v22, s2, s43, v18, s2
	s_delay_alu instid0(VALU_DEP_4) | instskip(NEXT) | instid1(VALU_DEP_1)
	v_add_co_u32 v12, s2, v12, v15
	v_add_co_ci_u32_e64 v20, s2, v20, v16, s2
	s_delay_alu instid0(VALU_DEP_4) | instskip(NEXT) | instid1(VALU_DEP_1)
	v_add_co_u32 v21, s2, v21, v9
	v_add_co_ci_u32_e64 v22, s2, 0, v22, s2
	v_add_co_u32 v13, s2, s16, v13
	s_delay_alu instid0(VALU_DEP_1) | instskip(SKIP_1) | instid1(VALU_DEP_1)
	v_add_co_ci_u32_e64 v14, s2, s17, v14, s2
	v_sub_co_u32 v43, s2, v5, s31
	v_sub_co_ci_u32_e64 v44, null, 0, 0, s2
	s_delay_alu instid0(VALU_DEP_4) | instskip(NEXT) | instid1(VALU_DEP_1)
	v_add_co_u32 v13, s2, v13, v15
	v_add_co_ci_u32_e64 v14, s2, v14, v16, s2
	v_add_co_u32 v16, s2, s16, v17
	s_delay_alu instid0(VALU_DEP_1) | instskip(SKIP_1) | instid1(VALU_DEP_3)
	v_add_co_ci_u32_e64 v17, s2, s17, v18, s2
	v_and_b32_e32 v15, 63, v0
	v_add_co_u32 v16, s2, v16, v9
	s_delay_alu instid0(VALU_DEP_1)
	v_add_co_ci_u32_e64 v17, s2, 0, v17, s2
	v_lshl_or_b32 v11, v5, 7, v11
	s_cmp_eq_u32 s5, 0
	v_lshlrev_b32_e32 v18, 2, v15
	v_add_co_u32 v23, s31, v15, -1
	s_cselect_b32 s9, -1, 0
	s_cmp_lg_u32 s5, 0
	v_cndmask_b32_e64 v53, v20, v22, s9
	s_cselect_b32 s51, -1, 0
	s_add_u32 s12, s12, s6
	v_cndmask_b32_e64 v54, v12, v21, s9
	v_cndmask_b32_e64 v55, v14, v17, s9
	;; [unrolled: 1-line block ×3, first 2 shown]
	v_add_nc_u32_e32 v57, 0x2000, v11
	s_movk_i32 s9, 0x7e0
	v_add_co_u32 v11, s16, s48, v9
	s_addc_u32 s13, s13, s7
	v_cmp_eq_u32_e64 s2, 15, v19
	s_and_b32 s53, s8, s53
	s_and_b32 s54, s3, vcc_lo
	v_mov_b32_e32 v19, 64
	v_or_b32_e32 v45, 0x2800, v18
	v_add_nc_u32_e32 v48, 0x27f8, v18
	v_add_nc_u32_e32 v49, 0x27f0, v18
	;; [unrolled: 1-line block ×4, first 2 shown]
	v_dual_mov_b32 v17, 0 :: v_dual_add_nc_u32 v52, 0x2780, v18
	v_mov_b32_e32 v14, s11
	v_lshl_add_u32 v46, v23, 2, 0x2800
	v_cmp_ne_u32_e64 s3, 0, v15
	v_cmp_lt_u32_e64 s4, 1, v15
	v_cmp_lt_u32_e64 s5, 3, v15
	;; [unrolled: 1-line block ×5, first 2 shown]
	v_mov_b32_e32 v15, v6
	s_add_u32 s55, s24, 8
	v_or_b32_e32 v0, 0xffffff00, v0
	v_add_co_ci_u32_e64 v12, null, s49, 0, s16
	v_and_or_b32 v58, v39, s9, 0x2000
	v_lshl_or_b32 v59, v5, 2, 0x2800
	v_mov_b32_e32 v18, 0
	v_dual_mov_b32 v20, 0 :: v_dual_mov_b32 v13, s10
	v_mov_b32_e32 v60, 1
	v_mov_b32_e32 v16, v6
	s_mul_i32 s18, s38, s38
	s_addc_u32 s56, s25, 0
	s_add_u32 s57, s40, -8
	s_addc_u32 s58, s41, -1
	s_lshl_b64 s[16:17], s[38:39], 3
	s_lshl_b64 s[22:23], s[18:19], 3
	s_branch .LBB118_13
.LBB118_12:                             ;   in Loop: Header=BB118_13 Depth=1
	s_or_b32 exec_lo, exec_lo, s9
	s_waitcnt_vscnt null, 0x0
	s_barrier
	buffer_gl0_inv
	ds_load_b64 v[17:18], v6 offset:10496
	v_ashrrev_i32_e32 v19, 31, v20
	v_add_co_u32 v13, vcc_lo, v13, v20
	s_waitcnt lgkmcnt(0)
	s_barrier
	s_delay_alu instid0(VALU_DEP_2) | instskip(SKIP_3) | instid1(VALU_DEP_1)
	v_add_co_ci_u32_e32 v14, vcc_lo, v14, v19, vcc_lo
	buffer_gl0_inv
	v_cmp_le_i64_e32 vcc_lo, s[36:37], v[17:18]
	v_add_co_u32 v19, s9, v17, 64
	v_add_co_ci_u32_e64 v20, s9, 0, v18, s9
	s_cbranch_vccnz .LBB118_94
.LBB118_13:                             ; =>This Loop Header: Depth=1
                                        ;     Child Loop BB118_16 Depth 2
                                        ;     Child Loop BB118_22 Depth 2
                                        ;       Child Loop BB118_36 Depth 3
                                        ;         Child Loop BB118_48 Depth 4
                                        ;         Child Loop BB118_44 Depth 4
	;; [unrolled: 1-line block ×3, first 2 shown]
                                        ;     Child Loop BB118_60 Depth 2
                                        ;       Child Loop BB118_65 Depth 3
                                        ;     Child Loop BB118_70 Depth 2
                                        ;     Child Loop BB118_91 Depth 2
	s_and_saveexec_b32 s9, s0
	s_cbranch_execz .LBB118_15
; %bb.14:                               ;   in Loop: Header=BB118_13 Depth=1
	ds_store_b32 v47, v6
.LBB118_15:                             ;   in Loop: Header=BB118_13 Depth=1
	s_or_b32 exec_lo, exec_lo, s9
	v_dual_mov_b32 v21, v39 :: v_dual_mov_b32 v22, v0
	s_mov_b32 s9, 0
.LBB118_16:                             ;   Parent Loop BB118_13 Depth=1
                                        ; =>  This Inner Loop Header: Depth=2
	s_delay_alu instid0(VALU_DEP_1) | instskip(SKIP_4) | instid1(SALU_CYCLE_1)
	v_add_nc_u32_e32 v22, 0x100, v22
	ds_store_b64 v21, v[15:16]
	v_add_nc_u32_e32 v21, 0x800, v21
	v_cmp_lt_u32_e32 vcc_lo, 0x2ff, v22
	s_or_b32 s9, vcc_lo, s9
	s_and_not1_b32 exec_lo, exec_lo, s9
	s_cbranch_execnz .LBB118_16
; %bb.17:                               ;   in Loop: Header=BB118_13 Depth=1
	s_or_b32 exec_lo, exec_lo, s9
	s_and_saveexec_b32 s9, s1
	s_cbranch_execz .LBB118_19
; %bb.18:                               ;   in Loop: Header=BB118_13 Depth=1
	v_dual_mov_b32 v21, s36 :: v_dual_mov_b32 v22, s37
	ds_store_b64 v6, v[21:22] offset:10496
.LBB118_19:                             ;   in Loop: Header=BB118_13 Depth=1
	s_or_b32 exec_lo, exec_lo, s9
	v_dual_mov_b32 v21, s36 :: v_dual_mov_b32 v22, s37
	s_and_not1_b32 vcc_lo, exec_lo, s53
	s_waitcnt vmcnt(0) lgkmcnt(0)
	s_barrier
	buffer_gl0_inv
	s_cbranch_vccnz .LBB118_55
; %bb.20:                               ;   in Loop: Header=BB118_13 Depth=1
	v_cmp_ne_u64_e64 s9, 0, v[17:18]
	v_dual_mov_b32 v21, s36 :: v_dual_mov_b32 v22, s37
	s_mov_b64 s[40:41], s[34:35]
	s_branch .LBB118_22
.LBB118_21:                             ;   in Loop: Header=BB118_22 Depth=2
	s_or_b32 exec_lo, exec_lo, s11
	s_add_u32 s40, s40, 16
	s_addc_u32 s41, s41, 0
	s_delay_alu instid0(SALU_CYCLE_1) | instskip(NEXT) | instid1(VALU_DEP_1)
	v_cmp_lt_i64_e64 s10, s[40:41], s[44:45]
	s_and_b32 vcc_lo, exec_lo, s10
	s_cbranch_vccz .LBB118_55
.LBB118_22:                             ;   Parent Loop BB118_13 Depth=1
                                        ; =>  This Loop Header: Depth=2
                                        ;       Child Loop BB118_36 Depth 3
                                        ;         Child Loop BB118_48 Depth 4
                                        ;         Child Loop BB118_44 Depth 4
	;; [unrolled: 1-line block ×3, first 2 shown]
	v_add_co_u32 v23, s10, s40, v5
	s_delay_alu instid0(VALU_DEP_1) | instskip(NEXT) | instid1(VALU_DEP_1)
	v_add_co_ci_u32_e64 v24, null, s41, 0, s10
	s_waitcnt_vscnt null, 0x0
	s_barrier
	buffer_gl0_inv
	v_cmp_gt_i64_e64 s10, s[44:45], v[23:24]
	s_delay_alu instid0(VALU_DEP_1)
	s_and_saveexec_b32 s11, s10
	s_cbranch_execz .LBB118_26
; %bb.23:                               ;   in Loop: Header=BB118_22 Depth=2
	v_mov_b32_e32 v25, 0
	v_mov_b32_e32 v26, 0
	s_and_saveexec_b32 s42, s54
	s_cbranch_execz .LBB118_25
; %bb.24:                               ;   in Loop: Header=BB118_22 Depth=2
	v_mul_lo_u32 v27, v24, s18
	v_mul_lo_u32 v28, v23, s19
	v_mad_u64_u32 v[25:26], null, v23, s18, 0
	s_delay_alu instid0(VALU_DEP_1) | instskip(NEXT) | instid1(VALU_DEP_1)
	v_add3_u32 v26, v26, v28, v27
	v_lshlrev_b64 v[25:26], 3, v[25:26]
	s_delay_alu instid0(VALU_DEP_1) | instskip(NEXT) | instid1(VALU_DEP_2)
	v_add_co_u32 v25, vcc_lo, v8, v25
	v_add_co_ci_u32_e32 v26, vcc_lo, v41, v26, vcc_lo
	global_load_b64 v[25:26], v[25:26], off
.LBB118_25:                             ;   in Loop: Header=BB118_22 Depth=2
	s_or_b32 exec_lo, exec_lo, s42
	s_waitcnt vmcnt(0)
	ds_store_b64 v40, v[25:26]
.LBB118_26:                             ;   in Loop: Header=BB118_22 Depth=2
	s_or_b32 exec_lo, exec_lo, s11
	v_mov_b32_e32 v25, 0
	v_lshlrev_b64 v[23:24], 3, v[23:24]
	v_mov_b32_e32 v26, 0
	s_waitcnt lgkmcnt(0)
	s_barrier
	buffer_gl0_inv
	s_and_saveexec_b32 s59, s10
	s_cbranch_execz .LBB118_53
; %bb.27:                               ;   in Loop: Header=BB118_22 Depth=2
	v_add_co_u32 v25, vcc_lo, s20, v23
	v_add_co_ci_u32_e32 v26, vcc_lo, s21, v24, vcc_lo
	s_and_b32 vcc_lo, exec_lo, s9
	global_load_b64 v[27:28], v[25:26], off
	s_cbranch_vccz .LBB118_29
; %bb.28:                               ;   in Loop: Header=BB118_22 Depth=2
	v_add_co_u32 v25, vcc_lo, s46, v23
	v_add_co_ci_u32_e32 v26, vcc_lo, s47, v24, vcc_lo
	s_mov_b32 s11, 0
	global_load_b64 v[25:26], v[25:26], off
	s_branch .LBB118_30
.LBB118_29:                             ;   in Loop: Header=BB118_22 Depth=2
	s_mov_b32 s11, -1
                                        ; implicit-def: $vgpr25_vgpr26
.LBB118_30:                             ;   in Loop: Header=BB118_22 Depth=2
	s_waitcnt vmcnt(0)
	v_sub_co_u32 v27, vcc_lo, v27, s28
	v_subrev_co_ci_u32_e32 v28, vcc_lo, 0, v28, vcc_lo
	s_and_not1_b32 vcc_lo, exec_lo, s11
	s_delay_alu instid0(VALU_DEP_1)
	v_lshlrev_b64 v[27:28], 3, v[27:28]
	s_cbranch_vccnz .LBB118_32
; %bb.31:                               ;   in Loop: Header=BB118_22 Depth=2
	s_delay_alu instid0(VALU_DEP_1) | instskip(NEXT) | instid1(VALU_DEP_2)
	v_add_co_u32 v25, vcc_lo, s24, v27
	v_add_co_ci_u32_e32 v26, vcc_lo, s25, v28, vcc_lo
	global_load_b64 v[25:26], v[25:26], off
	s_waitcnt vmcnt(0)
	v_sub_co_u32 v25, vcc_lo, v25, s29
	v_subrev_co_ci_u32_e32 v26, vcc_lo, 0, v26, vcc_lo
.LBB118_32:                             ;   in Loop: Header=BB118_22 Depth=2
	s_delay_alu instid0(VALU_DEP_1) | instskip(NEXT) | instid1(VALU_DEP_2)
	v_add_co_u32 v27, vcc_lo, s55, v27
	v_add_co_ci_u32_e32 v28, vcc_lo, s56, v28, vcc_lo
	s_mov_b32 s60, exec_lo
	global_load_b64 v[27:28], v[27:28], off
	s_waitcnt vmcnt(0)
	v_sub_co_u32 v27, vcc_lo, v27, s29
	v_subrev_co_ci_u32_e32 v28, vcc_lo, 0, v28, vcc_lo
	s_delay_alu instid0(VALU_DEP_1)
	v_cmpx_lt_i64_e64 v[25:26], v[27:28]
	s_cbranch_execz .LBB118_52
; %bb.33:                               ;   in Loop: Header=BB118_22 Depth=2
	v_mad_u64_u32 v[33:34], null, s16, v25, v[9:10]
	v_mul_lo_u32 v31, s16, v26
	v_mul_lo_u32 v32, s17, v25
	v_mad_u64_u32 v[29:30], null, s22, v25, v[11:12]
	v_mul_lo_u32 v35, s22, v26
	v_mul_lo_u32 v36, s23, v25
	;; [unrolled: 1-line block ×3, first 2 shown]
	s_mov_b32 s61, 0
	v_add3_u32 v34, v32, v34, v31
	v_mad_u64_u32 v[31:32], null, s38, v33, s[48:49]
	s_delay_alu instid0(VALU_DEP_4) | instskip(NEXT) | instid1(VALU_DEP_3)
	v_add3_u32 v30, v36, v30, v35
	v_mul_lo_u32 v33, s38, v34
	s_delay_alu instid0(VALU_DEP_1)
	v_add3_u32 v32, v37, v32, v33
	v_dual_mov_b32 v34, v26 :: v_dual_mov_b32 v33, v25
	s_branch .LBB118_36
.LBB118_34:                             ;   in Loop: Header=BB118_36 Depth=3
	s_or_b32 exec_lo, exec_lo, s63
	s_delay_alu instid0(SALU_CYCLE_1)
	s_or_b32 s11, s11, exec_lo
.LBB118_35:                             ;   in Loop: Header=BB118_36 Depth=3
	s_or_b32 exec_lo, exec_lo, s62
	v_add_co_u32 v25, vcc_lo, v25, 1
	v_add_co_ci_u32_e32 v26, vcc_lo, 0, v26, vcc_lo
	s_xor_b32 s42, s11, -1
	v_add_co_u32 v31, s11, v31, s22
	s_delay_alu instid0(VALU_DEP_2)
	v_cmp_ge_i64_e32 vcc_lo, v[25:26], v[27:28]
	v_add_co_ci_u32_e64 v32, s11, s23, v32, s11
	s_or_b32 s11, s42, vcc_lo
	v_add_co_u32 v29, vcc_lo, v29, s22
	v_add_co_ci_u32_e32 v30, vcc_lo, s23, v30, vcc_lo
	s_and_b32 s11, exec_lo, s11
	s_delay_alu instid0(SALU_CYCLE_1) | instskip(NEXT) | instid1(SALU_CYCLE_1)
	s_or_b32 s61, s11, s61
	s_and_not1_b32 exec_lo, exec_lo, s61
	s_cbranch_execz .LBB118_51
.LBB118_36:                             ;   Parent Loop BB118_13 Depth=1
                                        ;     Parent Loop BB118_22 Depth=2
                                        ; =>    This Loop Header: Depth=3
                                        ;         Child Loop BB118_48 Depth 4
                                        ;         Child Loop BB118_44 Depth 4
	;; [unrolled: 1-line block ×3, first 2 shown]
	v_lshlrev_b64 v[35:36], 3, v[25:26]
	s_delay_alu instid0(VALU_DEP_1) | instskip(NEXT) | instid1(VALU_DEP_2)
	v_add_co_u32 v35, vcc_lo, s26, v35
	v_add_co_ci_u32_e32 v36, vcc_lo, s27, v36, vcc_lo
	global_load_b64 v[35:36], v[35:36], off
	s_waitcnt vmcnt(0)
	v_sub_co_u32 v35, vcc_lo, v35, s29
	v_subrev_co_ci_u32_e32 v36, vcc_lo, 0, v36, vcc_lo
	s_delay_alu instid0(VALU_DEP_1) | instskip(SKIP_1) | instid1(VALU_DEP_2)
	v_cmp_lt_i64_e64 s11, v[35:36], v[17:18]
	v_cmp_ge_i64_e32 vcc_lo, v[35:36], v[19:20]
	s_or_b32 s42, s11, vcc_lo
                                        ; implicit-def: $sgpr11
	s_delay_alu instid0(SALU_CYCLE_1) | instskip(NEXT) | instid1(SALU_CYCLE_1)
	s_and_saveexec_b32 s43, s42
	s_xor_b32 s42, exec_lo, s43
	s_cbranch_execz .LBB118_40
; %bb.37:                               ;   in Loop: Header=BB118_36 Depth=3
	s_mov_b32 s43, -1
	s_and_saveexec_b32 s11, vcc_lo
; %bb.38:                               ;   in Loop: Header=BB118_36 Depth=3
	v_cmp_lt_i64_e32 vcc_lo, v[35:36], v[21:22]
	v_dual_mov_b32 v34, v26 :: v_dual_mov_b32 v33, v25
	s_xor_b32 s43, exec_lo, -1
	v_dual_cndmask_b32 v22, v22, v36 :: v_dual_cndmask_b32 v21, v21, v35
; %bb.39:                               ;   in Loop: Header=BB118_36 Depth=3
	s_or_b32 exec_lo, exec_lo, s11
	s_delay_alu instid0(SALU_CYCLE_1)
	s_and_b32 s11, s43, exec_lo
                                        ; implicit-def: $vgpr35_vgpr36
.LBB118_40:                             ;   in Loop: Header=BB118_36 Depth=3
	s_and_not1_saveexec_b32 s62, s42
	s_cbranch_execz .LBB118_35
; %bb.41:                               ;   in Loop: Header=BB118_36 Depth=3
	v_sub_nc_u32_e32 v61, v35, v17
	s_delay_alu instid0(VALU_DEP_1)
	v_lshlrev_b32_e32 v35, 2, v61
	ds_store_b32 v35, v60 offset:10240
	s_and_saveexec_b32 s63, s50
	s_cbranch_execz .LBB118_34
; %bb.42:                               ;   in Loop: Header=BB118_36 Depth=3
	s_and_not1_b32 vcc_lo, exec_lo, s51
	s_cbranch_vccnz .LBB118_46
; %bb.43:                               ;   in Loop: Header=BB118_36 Depth=3
	v_dual_mov_b32 v35, 0 :: v_dual_mov_b32 v62, v57
	v_mov_b32_e32 v38, v32
	v_dual_mov_b32 v36, 0 :: v_dual_mov_b32 v37, v31
	s_mov_b64 s[42:43], s[38:39]
.LBB118_44:                             ;   Parent Loop BB118_13 Depth=1
                                        ;     Parent Loop BB118_22 Depth=2
                                        ;       Parent Loop BB118_36 Depth=3
                                        ; =>      This Inner Loop Header: Depth=4
	global_load_b64 v[63:64], v[37:38], off
	ds_load_b64 v[65:66], v62
	v_add_co_u32 v37, vcc_lo, v37, 8
	v_add_co_ci_u32_e32 v38, vcc_lo, 0, v38, vcc_lo
	s_add_u32 s42, s42, -1
	v_add_nc_u32_e32 v62, 32, v62
	s_addc_u32 s43, s43, -1
	s_delay_alu instid0(SALU_CYCLE_1)
	s_cmp_lg_u64 s[42:43], 0
	s_waitcnt vmcnt(0) lgkmcnt(0)
	v_fma_f64 v[35:36], v[65:66], v[63:64], v[35:36]
	s_cbranch_scc1 .LBB118_44
; %bb.45:                               ;   in Loop: Header=BB118_36 Depth=3
	s_branch .LBB118_49
.LBB118_46:                             ;   in Loop: Header=BB118_36 Depth=3
                                        ; implicit-def: $vgpr35_vgpr36
	s_cbranch_execz .LBB118_49
; %bb.47:                               ;   in Loop: Header=BB118_36 Depth=3
	v_dual_mov_b32 v35, 0 :: v_dual_mov_b32 v62, v58
	v_mov_b32_e32 v38, v30
	v_dual_mov_b32 v36, 0 :: v_dual_mov_b32 v37, v29
	s_mov_b64 s[42:43], s[38:39]
.LBB118_48:                             ;   Parent Loop BB118_13 Depth=1
                                        ;     Parent Loop BB118_22 Depth=2
                                        ;       Parent Loop BB118_36 Depth=3
                                        ; =>      This Inner Loop Header: Depth=4
	global_load_b64 v[63:64], v[37:38], off
	ds_load_b64 v[65:66], v62
	v_add_co_u32 v37, vcc_lo, v37, s16
	s_add_u32 s42, s42, -1
	v_add_co_ci_u32_e32 v38, vcc_lo, s17, v38, vcc_lo
	v_add_nc_u32_e32 v62, 8, v62
	s_addc_u32 s43, s43, -1
	s_delay_alu instid0(SALU_CYCLE_1)
	s_cmp_eq_u64 s[42:43], 0
	s_waitcnt vmcnt(0) lgkmcnt(0)
	v_fma_f64 v[35:36], v[65:66], v[63:64], v[35:36]
	s_cbranch_scc0 .LBB118_48
.LBB118_49:                             ;   in Loop: Header=BB118_36 Depth=3
	s_delay_alu instid0(VALU_DEP_1) | instskip(SKIP_2) | instid1(VALU_DEP_1)
	v_mul_f64 v[35:36], v[1:2], v[35:36]
	v_lshlrev_b32_e32 v37, 4, v61
	s_mov_b32 s42, 0
	v_or3_b32 v37, v37, v42, v7
	s_delay_alu instid0(VALU_DEP_1)
	v_lshlrev_b32_e32 v61, 3, v37
	ds_load_b64 v[37:38], v61
.LBB118_50:                             ;   Parent Loop BB118_13 Depth=1
                                        ;     Parent Loop BB118_22 Depth=2
                                        ;       Parent Loop BB118_36 Depth=3
                                        ; =>      This Inner Loop Header: Depth=4
	s_waitcnt lgkmcnt(0)
	v_add_f64 v[62:63], v[37:38], v[35:36]
	ds_cmpstore_rtn_b64 v[62:63], v61, v[62:63], v[37:38]
	s_waitcnt lgkmcnt(0)
	v_cmp_eq_u64_e32 vcc_lo, v[62:63], v[37:38]
	v_dual_mov_b32 v37, v62 :: v_dual_mov_b32 v38, v63
	s_or_b32 s42, vcc_lo, s42
	s_delay_alu instid0(SALU_CYCLE_1)
	s_and_not1_b32 exec_lo, exec_lo, s42
	s_cbranch_execnz .LBB118_50
	s_branch .LBB118_34
.LBB118_51:                             ;   in Loop: Header=BB118_22 Depth=2
	s_or_b32 exec_lo, exec_lo, s61
	v_dual_mov_b32 v25, v33 :: v_dual_mov_b32 v26, v34
.LBB118_52:                             ;   in Loop: Header=BB118_22 Depth=2
	s_or_b32 exec_lo, exec_lo, s60
.LBB118_53:                             ;   in Loop: Header=BB118_22 Depth=2
	s_delay_alu instid0(SALU_CYCLE_1)
	s_or_b32 exec_lo, exec_lo, s59
	s_waitcnt lgkmcnt(0)
	s_barrier
	buffer_gl0_inv
	s_and_saveexec_b32 s11, s10
	s_cbranch_execz .LBB118_21
; %bb.54:                               ;   in Loop: Header=BB118_22 Depth=2
	v_add_co_u32 v23, vcc_lo, s46, v23
	v_add_co_ci_u32_e32 v24, vcc_lo, s47, v24, vcc_lo
	global_store_b64 v[23:24], v[25:26], off
	s_branch .LBB118_21
.LBB118_55:                             ;   in Loop: Header=BB118_13 Depth=1
	s_and_not1_b32 vcc_lo, exec_lo, s33
	s_cbranch_vccnz .LBB118_68
; %bb.56:                               ;   in Loop: Header=BB118_13 Depth=1
	s_load_b128 s[40:43], s[12:13], 0x0
	s_waitcnt lgkmcnt(0)
	v_add_co_u32 v23, vcc_lo, s40, v43
	v_add_co_ci_u32_e32 v24, vcc_lo, s41, v44, vcc_lo
	s_sub_u32 s10, s42, s52
	s_subb_u32 s11, s43, 0
	s_mov_b32 s40, exec_lo
	s_delay_alu instid0(VALU_DEP_1)
	v_cmpx_gt_i64_e64 s[10:11], v[23:24]
	s_cbranch_execz .LBB118_67
; %bb.57:                               ;   in Loop: Header=BB118_13 Depth=1
	s_mov_b32 s41, 0
	s_branch .LBB118_60
.LBB118_58:                             ;   in Loop: Header=BB118_60 Depth=2
	s_or_b32 exec_lo, exec_lo, s43
	s_delay_alu instid0(SALU_CYCLE_1)
	s_or_b32 s9, s9, exec_lo
.LBB118_59:                             ;   in Loop: Header=BB118_60 Depth=2
	s_or_b32 exec_lo, exec_lo, s42
	v_add_co_u32 v23, vcc_lo, v23, 16
	v_add_co_ci_u32_e32 v24, vcc_lo, 0, v24, vcc_lo
	s_xor_b32 s9, s9, -1
	s_delay_alu instid0(VALU_DEP_1) | instskip(SKIP_1) | instid1(SALU_CYCLE_1)
	v_cmp_le_i64_e32 vcc_lo, s[10:11], v[23:24]
	s_or_b32 s9, s9, vcc_lo
	s_and_b32 s9, exec_lo, s9
	s_delay_alu instid0(SALU_CYCLE_1) | instskip(NEXT) | instid1(SALU_CYCLE_1)
	s_or_b32 s41, s9, s41
	s_and_not1_b32 exec_lo, exec_lo, s41
	s_cbranch_execz .LBB118_66
.LBB118_60:                             ;   Parent Loop BB118_13 Depth=1
                                        ; =>  This Loop Header: Depth=2
                                        ;       Child Loop BB118_65 Depth 3
	v_lshlrev_b64 v[25:26], 3, v[23:24]
	s_delay_alu instid0(VALU_DEP_1) | instskip(NEXT) | instid1(VALU_DEP_2)
	v_add_co_u32 v25, vcc_lo, s14, v25
	v_add_co_ci_u32_e32 v26, vcc_lo, s15, v26, vcc_lo
	global_load_b64 v[25:26], v[25:26], off
	s_waitcnt vmcnt(0)
	v_sub_co_u32 v25, vcc_lo, v25, s52
	v_subrev_co_ci_u32_e32 v26, vcc_lo, 0, v26, vcc_lo
	s_delay_alu instid0(VALU_DEP_1)
	v_cmp_lt_i64_e32 vcc_lo, v[25:26], v[19:20]
	v_cmp_lt_i64_e64 s9, v[25:26], v[17:18]
	s_xor_b32 s42, vcc_lo, -1
	s_delay_alu instid0(VALU_DEP_1) | instid1(SALU_CYCLE_1)
	s_or_b32 s42, s9, s42
                                        ; implicit-def: $sgpr9
	s_delay_alu instid0(SALU_CYCLE_1) | instskip(NEXT) | instid1(SALU_CYCLE_1)
	s_and_saveexec_b32 s43, s42
	s_xor_b32 s42, exec_lo, s43
; %bb.61:                               ;   in Loop: Header=BB118_60 Depth=2
	v_cmp_lt_i64_e64 s9, v[25:26], v[21:22]
	s_delay_alu instid0(VALU_DEP_1) | instskip(SKIP_2) | instid1(VALU_DEP_1)
	v_cndmask_b32_e64 v25, v21, v25, s9
	v_cndmask_b32_e64 v26, v22, v26, s9
	s_and_b32 s9, vcc_lo, exec_lo
	v_dual_cndmask_b32 v21, v25, v21 :: v_dual_cndmask_b32 v22, v26, v22
                                        ; implicit-def: $vgpr25
; %bb.62:                               ;   in Loop: Header=BB118_60 Depth=2
	s_and_not1_saveexec_b32 s42, s42
	s_cbranch_execz .LBB118_59
; %bb.63:                               ;   in Loop: Header=BB118_60 Depth=2
	v_sub_nc_u32_e32 v27, v25, v17
	s_delay_alu instid0(VALU_DEP_1)
	v_lshlrev_b32_e32 v25, 2, v27
	ds_store_b32 v25, v60 offset:10240
	s_and_saveexec_b32 s43, s54
	s_cbranch_execz .LBB118_58
; %bb.64:                               ;   in Loop: Header=BB118_60 Depth=2
	v_mul_lo_u32 v28, v24, s18
	v_mul_lo_u32 v29, v23, s19
	v_mad_u64_u32 v[25:26], null, v23, s18, 0
	v_lshlrev_b32_e32 v27, 4, v27
	s_mov_b32 s59, 0
	s_delay_alu instid0(VALU_DEP_1) | instskip(NEXT) | instid1(VALU_DEP_3)
	v_or3_b32 v27, v27, v42, v7
	v_add3_u32 v26, v26, v29, v28
	s_delay_alu instid0(VALU_DEP_2) | instskip(NEXT) | instid1(VALU_DEP_2)
	v_lshlrev_b32_e32 v29, 3, v27
	v_lshlrev_b64 v[25:26], 3, v[25:26]
	ds_load_b64 v[27:28], v29
	v_add_co_u32 v25, vcc_lo, v56, v25
	v_add_co_ci_u32_e32 v26, vcc_lo, v55, v26, vcc_lo
	global_load_b64 v[25:26], v[25:26], off
	s_waitcnt vmcnt(0)
	v_mul_f64 v[25:26], v[3:4], v[25:26]
.LBB118_65:                             ;   Parent Loop BB118_13 Depth=1
                                        ;     Parent Loop BB118_60 Depth=2
                                        ; =>    This Inner Loop Header: Depth=3
	s_waitcnt lgkmcnt(0)
	s_delay_alu instid0(VALU_DEP_1)
	v_add_f64 v[30:31], v[27:28], v[25:26]
	ds_cmpstore_rtn_b64 v[30:31], v29, v[30:31], v[27:28]
	s_waitcnt lgkmcnt(0)
	v_cmp_eq_u64_e32 vcc_lo, v[30:31], v[27:28]
	v_dual_mov_b32 v27, v30 :: v_dual_mov_b32 v28, v31
	s_or_b32 s59, vcc_lo, s59
	s_delay_alu instid0(SALU_CYCLE_1)
	s_and_not1_b32 exec_lo, exec_lo, s59
	s_cbranch_execnz .LBB118_65
	s_branch .LBB118_58
.LBB118_66:                             ;   in Loop: Header=BB118_13 Depth=1
	s_or_b32 exec_lo, exec_lo, s41
.LBB118_67:                             ;   in Loop: Header=BB118_13 Depth=1
	s_delay_alu instid0(SALU_CYCLE_1)
	s_or_b32 exec_lo, exec_lo, s40
.LBB118_68:                             ;   in Loop: Header=BB118_13 Depth=1
	s_and_saveexec_b32 s9, s2
	s_cbranch_execz .LBB118_73
; %bb.69:                               ;   in Loop: Header=BB118_13 Depth=1
	s_mov_b32 s40, exec_lo
	s_mov_b64 s[10:11], -1
.LBB118_70:                             ;   Parent Loop BB118_13 Depth=1
                                        ; =>  This Inner Loop Header: Depth=2
	s_ctz_i32_b32 s41, s40
	s_delay_alu instid0(SALU_CYCLE_1) | instskip(SKIP_1) | instid1(VALU_DEP_1)
	v_readlane_b32 s43, v22, s41
	v_readlane_b32 s42, v21, s41
	v_cmp_lt_u64_e64 s59, s[10:11], s[42:43]
	s_delay_alu instid0(VALU_DEP_1) | instskip(SKIP_3) | instid1(SALU_CYCLE_1)
	s_and_b32 s59, s59, exec_lo
	s_cselect_b32 s11, s11, s43
	s_cselect_b32 s10, s10, s42
	s_lshl_b32 s41, 1, s41
	s_and_not1_b32 s40, s40, s41
	s_delay_alu instid0(SALU_CYCLE_1)
	s_cmp_lg_u32 s40, 0
	s_cbranch_scc1 .LBB118_70
; %bb.71:                               ;   in Loop: Header=BB118_13 Depth=1
	v_mbcnt_lo_u32_b32 v19, exec_lo, 0
	s_mov_b32 s40, exec_lo
	s_delay_alu instid0(VALU_DEP_1)
	v_cmpx_eq_u32_e32 0, v19
	s_xor_b32 s40, exec_lo, s40
	s_cbranch_execz .LBB118_73
; %bb.72:                               ;   in Loop: Header=BB118_13 Depth=1
	v_dual_mov_b32 v20, s11 :: v_dual_mov_b32 v19, s10
	ds_min_u64 v6, v[19:20] offset:10496
.LBB118_73:                             ;   in Loop: Header=BB118_13 Depth=1
	s_or_b32 exec_lo, exec_lo, s9
	s_waitcnt lgkmcnt(0)
	s_waitcnt_vscnt null, 0x0
	s_barrier
	buffer_gl0_inv
	ds_load_b32 v19, v45
	s_waitcnt lgkmcnt(0)
	s_barrier
	buffer_gl0_inv
	s_and_saveexec_b32 s9, s3
	s_cbranch_execz .LBB118_75
; %bb.74:                               ;   in Loop: Header=BB118_13 Depth=1
	ds_load_b32 v20, v46
	s_waitcnt lgkmcnt(0)
	v_add_nc_u32_e32 v19, v20, v19
.LBB118_75:                             ;   in Loop: Header=BB118_13 Depth=1
	s_or_b32 exec_lo, exec_lo, s9
	s_barrier
	buffer_gl0_inv
	ds_store_b32 v45, v19
	s_waitcnt lgkmcnt(0)
	s_barrier
	buffer_gl0_inv
	s_and_saveexec_b32 s9, s4
	s_cbranch_execz .LBB118_77
; %bb.76:                               ;   in Loop: Header=BB118_13 Depth=1
	ds_load_b32 v20, v48
	s_waitcnt lgkmcnt(0)
	v_add_nc_u32_e32 v19, v20, v19
.LBB118_77:                             ;   in Loop: Header=BB118_13 Depth=1
	s_or_b32 exec_lo, exec_lo, s9
	s_barrier
	buffer_gl0_inv
	ds_store_b32 v45, v19
	;; [unrolled: 14-line block ×6, first 2 shown]
	s_waitcnt lgkmcnt(0)
	s_barrier
	buffer_gl0_inv
	ds_load_b32 v20, v6 offset:10492
	v_mov_b32_e32 v21, 0
	s_and_saveexec_b32 s9, s31
	s_cbranch_execz .LBB118_87
; %bb.86:                               ;   in Loop: Header=BB118_13 Depth=1
	ds_load_b32 v21, v46
.LBB118_87:                             ;   in Loop: Header=BB118_13 Depth=1
	s_or_b32 exec_lo, exec_lo, s9
	s_waitcnt lgkmcnt(0)
	v_cmp_eq_u32_e32 vcc_lo, v19, v21
	s_barrier
	buffer_gl0_inv
	s_and_b32 s10, s31, vcc_lo
	s_delay_alu instid0(SALU_CYCLE_1)
	s_and_saveexec_b32 s9, s10
	s_cbranch_execz .LBB118_89
; %bb.88:                               ;   in Loop: Header=BB118_13 Depth=1
	ds_store_b32 v45, v6
.LBB118_89:                             ;   in Loop: Header=BB118_13 Depth=1
	s_or_b32 exec_lo, exec_lo, s9
	v_add_co_u32 v19, vcc_lo, v13, -1
	v_add_co_ci_u32_e32 v21, vcc_lo, -1, v14, vcc_lo
	v_add_co_u32 v22, vcc_lo, s30, v17
	v_add_co_ci_u32_e32 v23, vcc_lo, 0, v18, vcc_lo
	v_dual_mov_b32 v25, v39 :: v_dual_mov_b32 v18, v6
	v_dual_mov_b32 v24, v59 :: v_dual_mov_b32 v17, v5
	s_mov_b32 s9, 0
	s_waitcnt lgkmcnt(0)
	s_barrier
	buffer_gl0_inv
	s_branch .LBB118_91
.LBB118_90:                             ;   in Loop: Header=BB118_91 Depth=2
	s_or_b32 exec_lo, exec_lo, s10
	v_add_co_u32 v17, vcc_lo, v17, 16
	v_add_co_ci_u32_e32 v18, vcc_lo, 0, v18, vcc_lo
	v_add_nc_u32_e32 v25, 0x800, v25
	s_delay_alu instid0(VALU_DEP_3) | instskip(SKIP_1) | instid1(VALU_DEP_2)
	v_add_nc_u32_e32 v26, -16, v17
	v_add_nc_u32_e32 v24, 64, v24
	v_cmp_lt_u32_e32 vcc_lo, 47, v26
	s_or_b32 s9, vcc_lo, s9
	s_delay_alu instid0(SALU_CYCLE_1)
	s_and_not1_b32 exec_lo, exec_lo, s9
	s_cbranch_execz .LBB118_12
.LBB118_91:                             ;   Parent Loop BB118_13 Depth=1
                                        ; =>  This Inner Loop Header: Depth=2
	ds_load_b32 v26, v24
	s_mov_b32 s10, exec_lo
	s_waitcnt lgkmcnt(0)
	v_cmpx_ne_u32_e32 0, v26
	s_cbranch_execz .LBB118_90
; %bb.92:                               ;   in Loop: Header=BB118_91 Depth=2
	v_ashrrev_i32_e32 v27, 31, v26
	v_add_co_u32 v28, vcc_lo, v13, v26
	s_delay_alu instid0(VALU_DEP_2) | instskip(SKIP_2) | instid1(VALU_DEP_3)
	v_add_co_ci_u32_e32 v29, vcc_lo, v14, v27, vcc_lo
	v_add_co_u32 v30, vcc_lo, v22, v17
	v_add_co_ci_u32_e32 v31, vcc_lo, v23, v18, vcc_lo
	v_lshlrev_b64 v[28:29], 3, v[28:29]
	s_delay_alu instid0(VALU_DEP_1) | instskip(NEXT) | instid1(VALU_DEP_2)
	v_add_co_u32 v28, vcc_lo, s57, v28
	v_add_co_ci_u32_e32 v29, vcc_lo, s58, v29, vcc_lo
	global_store_b64 v[28:29], v[30:31], off
	s_and_b32 exec_lo, exec_lo, s54
	s_cbranch_execz .LBB118_90
; %bb.93:                               ;   in Loop: Header=BB118_91 Depth=2
	v_add_co_u32 v28, vcc_lo, v19, v26
	v_add_co_ci_u32_e32 v26, vcc_lo, v21, v27, vcc_lo
	s_delay_alu instid0(VALU_DEP_2) | instskip(NEXT) | instid1(VALU_DEP_2)
	v_mul_lo_u32 v31, v28, s19
	v_mul_lo_u32 v30, v26, s18
	v_mad_u64_u32 v[26:27], null, v28, s18, 0
	ds_load_b64 v[28:29], v25
	v_add3_u32 v27, v27, v31, v30
	s_delay_alu instid0(VALU_DEP_1) | instskip(NEXT) | instid1(VALU_DEP_1)
	v_lshlrev_b64 v[26:27], 3, v[26:27]
	v_add_co_u32 v26, vcc_lo, v54, v26
	s_delay_alu instid0(VALU_DEP_2)
	v_add_co_ci_u32_e32 v27, vcc_lo, v53, v27, vcc_lo
	s_waitcnt lgkmcnt(0)
	global_store_b64 v[26:27], v[28:29], off
	s_branch .LBB118_90
.LBB118_94:
	s_endpgm
	.section	.rodata,"a",@progbits
	.p2align	6, 0x0
	.amdhsa_kernel _ZN9rocsparseL38bsrgemm_block_per_row_atomic_multipassILj256ELj64ELj4ElldEEv20rocsparse_direction_T3_S2_PKS2_S4_NS_24const_host_device_scalarIT4_EEPKT2_S4_PKS6_SA_S4_SC_S7_SA_S4_SC_SA_PS2_PS6_PS8_21rocsparse_index_base_SG_SG_SG_bbb
		.amdhsa_group_segment_fixed_size 10504
		.amdhsa_private_segment_fixed_size 0
		.amdhsa_kernarg_size 180
		.amdhsa_user_sgpr_count 15
		.amdhsa_user_sgpr_dispatch_ptr 0
		.amdhsa_user_sgpr_queue_ptr 0
		.amdhsa_user_sgpr_kernarg_segment_ptr 1
		.amdhsa_user_sgpr_dispatch_id 0
		.amdhsa_user_sgpr_private_segment_size 0
		.amdhsa_wavefront_size32 1
		.amdhsa_uses_dynamic_stack 0
		.amdhsa_enable_private_segment 0
		.amdhsa_system_sgpr_workgroup_id_x 1
		.amdhsa_system_sgpr_workgroup_id_y 0
		.amdhsa_system_sgpr_workgroup_id_z 0
		.amdhsa_system_sgpr_workgroup_info 0
		.amdhsa_system_vgpr_workitem_id 0
		.amdhsa_next_free_vgpr 67
		.amdhsa_next_free_sgpr 64
		.amdhsa_reserve_vcc 1
		.amdhsa_float_round_mode_32 0
		.amdhsa_float_round_mode_16_64 0
		.amdhsa_float_denorm_mode_32 3
		.amdhsa_float_denorm_mode_16_64 3
		.amdhsa_dx10_clamp 1
		.amdhsa_ieee_mode 1
		.amdhsa_fp16_overflow 0
		.amdhsa_workgroup_processor_mode 1
		.amdhsa_memory_ordered 1
		.amdhsa_forward_progress 0
		.amdhsa_shared_vgpr_count 0
		.amdhsa_exception_fp_ieee_invalid_op 0
		.amdhsa_exception_fp_denorm_src 0
		.amdhsa_exception_fp_ieee_div_zero 0
		.amdhsa_exception_fp_ieee_overflow 0
		.amdhsa_exception_fp_ieee_underflow 0
		.amdhsa_exception_fp_ieee_inexact 0
		.amdhsa_exception_int_div_zero 0
	.end_amdhsa_kernel
	.section	.text._ZN9rocsparseL38bsrgemm_block_per_row_atomic_multipassILj256ELj64ELj4ElldEEv20rocsparse_direction_T3_S2_PKS2_S4_NS_24const_host_device_scalarIT4_EEPKT2_S4_PKS6_SA_S4_SC_S7_SA_S4_SC_SA_PS2_PS6_PS8_21rocsparse_index_base_SG_SG_SG_bbb,"axG",@progbits,_ZN9rocsparseL38bsrgemm_block_per_row_atomic_multipassILj256ELj64ELj4ElldEEv20rocsparse_direction_T3_S2_PKS2_S4_NS_24const_host_device_scalarIT4_EEPKT2_S4_PKS6_SA_S4_SC_S7_SA_S4_SC_SA_PS2_PS6_PS8_21rocsparse_index_base_SG_SG_SG_bbb,comdat
.Lfunc_end118:
	.size	_ZN9rocsparseL38bsrgemm_block_per_row_atomic_multipassILj256ELj64ELj4ElldEEv20rocsparse_direction_T3_S2_PKS2_S4_NS_24const_host_device_scalarIT4_EEPKT2_S4_PKS6_SA_S4_SC_S7_SA_S4_SC_SA_PS2_PS6_PS8_21rocsparse_index_base_SG_SG_SG_bbb, .Lfunc_end118-_ZN9rocsparseL38bsrgemm_block_per_row_atomic_multipassILj256ELj64ELj4ElldEEv20rocsparse_direction_T3_S2_PKS2_S4_NS_24const_host_device_scalarIT4_EEPKT2_S4_PKS6_SA_S4_SC_S7_SA_S4_SC_SA_PS2_PS6_PS8_21rocsparse_index_base_SG_SG_SG_bbb
                                        ; -- End function
	.section	.AMDGPU.csdata,"",@progbits
; Kernel info:
; codeLenInByte = 4176
; NumSgprs: 66
; NumVgprs: 67
; ScratchSize: 0
; MemoryBound: 0
; FloatMode: 240
; IeeeMode: 1
; LDSByteSize: 10504 bytes/workgroup (compile time only)
; SGPRBlocks: 8
; VGPRBlocks: 8
; NumSGPRsForWavesPerEU: 66
; NumVGPRsForWavesPerEU: 67
; Occupancy: 16
; WaveLimiterHint : 1
; COMPUTE_PGM_RSRC2:SCRATCH_EN: 0
; COMPUTE_PGM_RSRC2:USER_SGPR: 15
; COMPUTE_PGM_RSRC2:TRAP_HANDLER: 0
; COMPUTE_PGM_RSRC2:TGID_X_EN: 1
; COMPUTE_PGM_RSRC2:TGID_Y_EN: 0
; COMPUTE_PGM_RSRC2:TGID_Z_EN: 0
; COMPUTE_PGM_RSRC2:TIDIG_COMP_CNT: 0
	.section	.text._ZN9rocsparseL38bsrgemm_block_per_row_atomic_multipassILj256ELj128ELj4ElldEEv20rocsparse_direction_T3_S2_PKS2_S4_NS_24const_host_device_scalarIT4_EEPKT2_S4_PKS6_SA_S4_SC_S7_SA_S4_SC_SA_PS2_PS6_PS8_21rocsparse_index_base_SG_SG_SG_bbb,"axG",@progbits,_ZN9rocsparseL38bsrgemm_block_per_row_atomic_multipassILj256ELj128ELj4ElldEEv20rocsparse_direction_T3_S2_PKS2_S4_NS_24const_host_device_scalarIT4_EEPKT2_S4_PKS6_SA_S4_SC_S7_SA_S4_SC_SA_PS2_PS6_PS8_21rocsparse_index_base_SG_SG_SG_bbb,comdat
	.globl	_ZN9rocsparseL38bsrgemm_block_per_row_atomic_multipassILj256ELj128ELj4ElldEEv20rocsparse_direction_T3_S2_PKS2_S4_NS_24const_host_device_scalarIT4_EEPKT2_S4_PKS6_SA_S4_SC_S7_SA_S4_SC_SA_PS2_PS6_PS8_21rocsparse_index_base_SG_SG_SG_bbb ; -- Begin function _ZN9rocsparseL38bsrgemm_block_per_row_atomic_multipassILj256ELj128ELj4ElldEEv20rocsparse_direction_T3_S2_PKS2_S4_NS_24const_host_device_scalarIT4_EEPKT2_S4_PKS6_SA_S4_SC_S7_SA_S4_SC_SA_PS2_PS6_PS8_21rocsparse_index_base_SG_SG_SG_bbb
	.p2align	8
	.type	_ZN9rocsparseL38bsrgemm_block_per_row_atomic_multipassILj256ELj128ELj4ElldEEv20rocsparse_direction_T3_S2_PKS2_S4_NS_24const_host_device_scalarIT4_EEPKT2_S4_PKS6_SA_S4_SC_S7_SA_S4_SC_SA_PS2_PS6_PS8_21rocsparse_index_base_SG_SG_SG_bbb,@function
_ZN9rocsparseL38bsrgemm_block_per_row_atomic_multipassILj256ELj128ELj4ElldEEv20rocsparse_direction_T3_S2_PKS2_S4_NS_24const_host_device_scalarIT4_EEPKT2_S4_PKS6_SA_S4_SC_S7_SA_S4_SC_SA_PS2_PS6_PS8_21rocsparse_index_base_SG_SG_SG_bbb: ; @_ZN9rocsparseL38bsrgemm_block_per_row_atomic_multipassILj256ELj128ELj4ElldEEv20rocsparse_direction_T3_S2_PKS2_S4_NS_24const_host_device_scalarIT4_EEPKT2_S4_PKS6_SA_S4_SC_S7_SA_S4_SC_SA_PS2_PS6_PS8_21rocsparse_index_base_SG_SG_SG_bbb
; %bb.0:
	s_clause 0x3
	s_load_b32 s3, s[0:1], 0xb0
	s_load_b64 s[6:7], s[0:1], 0x28
	s_load_b128 s[36:39], s[0:1], 0xa0
	s_load_b64 s[4:5], s[0:1], 0x60
	s_mov_b32 s2, s15
	s_waitcnt lgkmcnt(0)
	s_and_b32 s8, 1, s3
	s_bitcmp1_b32 s3, 16
	s_cselect_b32 s9, -1, 0
	s_cmp_eq_u32 s8, 1
	s_cselect_b32 s8, -1, 0
	s_delay_alu instid0(SALU_CYCLE_1)
	s_and_b32 s10, s8, exec_lo
	s_cselect_b32 s11, s7, 0
	s_cselect_b32 s10, s6, 0
	s_xor_b32 s12, s8, -1
	v_dual_mov_b32 v1, s10 :: v_dual_mov_b32 v2, s11
	s_or_b32 s12, s12, s9
	s_delay_alu instid0(SALU_CYCLE_1)
	s_and_b32 vcc_lo, exec_lo, s12
	s_cbranch_vccnz .LBB119_2
; %bb.1:
	v_dual_mov_b32 v1, s6 :: v_dual_mov_b32 v2, s7
	flat_load_b64 v[1:2], v[1:2]
.LBB119_2:
	s_load_b64 s[6:7], s[0:1], 0x20
	s_bitcmp1_b32 s3, 8
	s_cselect_b32 s33, -1, 0
	s_delay_alu instid0(SALU_CYCLE_1)
	s_and_b32 s3, s33, exec_lo
	s_cselect_b32 s11, s5, 0
	s_cselect_b32 s10, s4, 0
	s_xor_b32 s3, s33, -1
	v_dual_mov_b32 v3, s10 :: v_dual_mov_b32 v4, s11
	s_or_b32 s3, s3, s9
	s_delay_alu instid0(SALU_CYCLE_1)
	s_and_b32 vcc_lo, exec_lo, s3
	s_cbranch_vccnz .LBB119_4
; %bb.3:
	v_dual_mov_b32 v3, s4 :: v_dual_mov_b32 v4, s5
	flat_load_b64 v[3:4], v[3:4]
.LBB119_4:
	s_load_b64 s[4:5], s[0:1], 0x30
	s_mov_b64 s[34:35], 0
	s_waitcnt lgkmcnt(0)
	s_cmp_eq_u64 s[6:7], 0
	s_mov_b32 s3, 0
	s_cbranch_scc1 .LBB119_6
; %bb.5:
	s_load_b64 s[10:11], s[0:1], 0x18
	s_waitcnt lgkmcnt(0)
	s_load_b64 s[10:11], s[10:11], 0x0
	s_waitcnt lgkmcnt(0)
	s_lshl_b64 s[10:11], s[10:11], 3
	s_delay_alu instid0(SALU_CYCLE_1) | instskip(SKIP_2) | instid1(SALU_CYCLE_1)
	s_add_u32 s6, s6, s10
	s_addc_u32 s7, s7, s11
	s_lshl_b64 s[2:3], s[2:3], 3
	s_add_u32 s2, s6, s2
	s_addc_u32 s3, s7, s3
	s_load_b64 s[2:3], s[2:3], 0x0
.LBB119_6:
	s_and_not1_b32 vcc_lo, exec_lo, s8
	s_cbranch_vccz .LBB119_9
; %bb.7:
	s_and_not1_b32 vcc_lo, exec_lo, s8
	s_mov_b64 s[48:49], 0
	s_cbranch_vccz .LBB119_10
.LBB119_8:
	s_load_b128 s[40:43], s[0:1], 0x8
	s_waitcnt lgkmcnt(0)
	v_cmp_lt_i64_e64 s4, s[40:41], 1
	s_delay_alu instid0(VALU_DEP_1)
	s_and_b32 vcc_lo, exec_lo, s4
	s_cbranch_vccz .LBB119_11
	s_branch .LBB119_100
.LBB119_9:
	s_waitcnt lgkmcnt(0)
	s_lshl_b64 s[6:7], s[2:3], 3
	s_delay_alu instid0(SALU_CYCLE_1)
	s_add_u32 s6, s4, s6
	s_addc_u32 s7, s5, s7
	s_load_b64 s[6:7], s[6:7], 0x0
	s_waitcnt lgkmcnt(0)
	s_sub_u32 s34, s6, s36
	s_subb_u32 s35, s7, 0
	s_and_not1_b32 vcc_lo, exec_lo, s8
	s_mov_b64 s[48:49], 0
	s_cbranch_vccnz .LBB119_8
.LBB119_10:
	s_waitcnt lgkmcnt(0)
	s_lshl_b64 s[6:7], s[2:3], 3
	s_delay_alu instid0(SALU_CYCLE_1)
	s_add_u32 s4, s4, s6
	s_addc_u32 s5, s5, s7
	s_load_b64 s[4:5], s[4:5], 0x8
	s_waitcnt lgkmcnt(0)
	s_sub_u32 s48, s4, s36
	s_subb_u32 s49, s5, 0
	s_load_b128 s[40:43], s[0:1], 0x8
	s_waitcnt lgkmcnt(0)
	v_cmp_lt_i64_e64 s4, s[40:41], 1
	s_delay_alu instid0(VALU_DEP_1)
	s_and_b32 vcc_lo, exec_lo, s4
	s_cbranch_vccnz .LBB119_100
.LBB119_11:
	s_clause 0x4
	s_load_b256 s[16:23], s[0:1], 0x68
	s_load_b64 s[50:51], s[0:1], 0x98
	s_load_b128 s[44:47], s[0:1], 0x88
	s_load_b64 s[52:53], s[0:1], 0x58
	s_load_b256 s[24:31], s[0:1], 0x38
	v_bfe_u32 v13, v0, 2, 2
	s_lshl_b64 s[6:7], s[2:3], 3
	v_mov_b32_e32 v9, 0
	v_and_b32_e32 v7, 3, v0
	s_mul_i32 s4, s42, s43
	v_mad_u64_u32 v[10:11], null, v13, s42, 0
	v_and_b32_e32 v21, 15, v0
	s_mul_hi_u32 s10, s42, s42
	s_load_b32 s5, s[0:1], 0x0
	v_lshrrev_b32_e32 v5, 4, v0
	v_cmp_lt_i64_e64 s9, s[34:35], s[48:49]
	s_mov_b32 s14, 0
	s_delay_alu instid0(VALU_DEP_4)
	v_mov_b32_e32 v6, v11
	s_mov_b32 s58, s39
	s_waitcnt lgkmcnt(0)
	s_add_u32 s2, s22, s6
	s_addc_u32 s3, s23, s7
	s_movk_i32 s13, 0x7e0
	s_load_b64 s[2:3], s[2:3], 0x0
	v_mad_u64_u32 v[11:12], null, v13, s43, v[6:7]
	v_mov_b32_e32 v6, v9
	v_mad_u64_u32 v[15:16], null, v7, s42, 0
	v_and_b32_e32 v44, 12, v0
	v_cmp_gt_u32_e64 s0, 0x80, v0
	v_cmp_eq_u32_e64 s1, 0, v0
	v_lshl_or_b32 v49, v0, 2, 0x4800
	v_cmp_gt_u32_e64 s11, 0x200, v0
	v_cmp_gt_u32_e64 s12, 0x100, v0
	v_dual_mov_b32 v12, v16 :: v_dual_lshlrev_b32 v41, 3, v0
	v_mov_b32_e32 v8, v9
	v_mov_b32_e32 v14, v9
	v_lshl_or_b32 v61, v5, 2, 0x4800
	s_delay_alu instid0(VALU_DEP_4)
	v_mad_u64_u32 v[16:17], null, v7, s43, v[12:13]
	v_lshlrev_b64 v[17:18], 3, v[10:11]
	v_lshlrev_b32_e32 v11, 3, v7
	s_waitcnt lgkmcnt(0)
	s_sub_u32 s54, s2, s38
	s_subb_u32 s55, s3, 0
	s_add_i32 s2, s10, s4
	v_cmp_gt_i64_e64 s3, s[42:43], v[7:8]
	s_add_i32 s23, s2, s4
	v_add_co_u32 v10, s2, s26, v17
	s_delay_alu instid0(VALU_DEP_1) | instskip(SKIP_2) | instid1(VALU_DEP_4)
	v_add_co_ci_u32_e64 v19, s2, s27, v18, s2
	v_cmp_gt_i64_e64 s2, s[42:43], v[13:14]
	v_lshlrev_b64 v[15:16], 3, v[15:16]
	v_add_co_u32 v8, s4, v10, v11
	s_delay_alu instid0(VALU_DEP_1) | instskip(NEXT) | instid1(VALU_DEP_4)
	v_add_co_ci_u32_e64 v43, s4, 0, v19, s4
	s_and_b32 s56, s3, s2
	v_lshlrev_b64 v[19:20], 3, v[13:14]
	s_delay_alu instid0(VALU_DEP_4) | instskip(SKIP_3) | instid1(VALU_DEP_1)
	v_add_co_u32 v10, s2, s46, v15
	v_cmp_gt_u64_e32 vcc_lo, s[42:43], v[13:14]
	v_add_co_ci_u32_e64 v14, s2, s47, v16, s2
	v_add_co_u32 v22, s2, s46, v17
	v_add_co_ci_u32_e64 v23, s2, s47, v18, s2
	v_add_co_u32 v10, s2, v10, v19
	s_delay_alu instid0(VALU_DEP_1) | instskip(NEXT) | instid1(VALU_DEP_4)
	v_add_co_ci_u32_e64 v14, s2, v14, v20, s2
	v_add_co_u32 v22, s2, v22, v11
	s_delay_alu instid0(VALU_DEP_1) | instskip(SKIP_1) | instid1(VALU_DEP_1)
	v_add_co_ci_u32_e64 v23, s2, 0, v23, s2
	v_add_co_u32 v15, s2, s20, v15
	v_add_co_ci_u32_e64 v16, s2, s21, v16, s2
	v_sub_co_u32 v45, s2, v5, s39
	s_delay_alu instid0(VALU_DEP_1) | instskip(NEXT) | instid1(VALU_DEP_4)
	v_sub_co_ci_u32_e64 v46, null, 0, 0, s2
	v_add_co_u32 v15, s2, v15, v19
	s_delay_alu instid0(VALU_DEP_1)
	v_add_co_ci_u32_e64 v16, s2, v16, v20, s2
	v_add_co_u32 v17, s2, s20, v17
	s_cmp_eq_u32 s5, 0
	v_add_co_ci_u32_e64 v18, s2, s21, v18, s2
	s_cselect_b32 s10, -1, 0
	v_dual_mov_b32 v12, v9 :: v_dual_and_b32 v19, 0x7f, v0
	v_add_co_u32 v17, s2, v17, v11
	v_cndmask_b32_e64 v57, v10, v22, s10
	v_lshlrev_b32_e32 v10, 3, v13
	v_add_co_ci_u32_e64 v18, s2, 0, v18, s2
	v_cndmask_b32_e64 v56, v14, v23, s10
	v_or_b32_e32 v14, 0x400, v0
	v_lshlrev_b32_e32 v20, 2, v19
	v_add_co_u32 v24, s39, v19, -1
	v_lshl_or_b32 v10, v5, 7, v10
	v_add_co_u32 v13, s15, s52, v11
	s_cmp_lg_u32 s5, 0
	v_cndmask_b32_e64 v58, v16, v18, s10
	v_cndmask_b32_e64 v59, v15, v17, s10
	v_cmp_gt_u32_e64 s10, 0x700, v14
	v_add_co_ci_u32_e64 v14, null, s53, 0, s15
	s_mov_b32 s15, s14
	s_cselect_b32 s57, -1, 0
	s_add_u32 s16, s16, s6
	s_addc_u32 s17, s17, s7
	v_cmp_eq_u32_e64 s2, 15, v21
	v_mov_b32_e32 v21, 0x80
	v_or_b32_e32 v47, 0x4800, v20
	s_and_b32 s59, s8, s9
	s_and_b32 s60, s3, vcc_lo
	v_cmp_ne_u32_e64 s3, 0, v19
	v_cmp_lt_u32_e64 s4, 1, v19
	v_dual_mov_b32 v15, s54 :: v_dual_add_nc_u32 v50, 0x47f8, v20
	v_cmp_lt_u32_e64 s5, 3, v19
	v_add_nc_u32_e32 v51, 0x47f0, v20
	v_cmp_lt_u32_e64 s6, 7, v19
	v_add_nc_u32_e32 v52, 0x47e0, v20
	v_cmp_lt_u32_e64 s7, 15, v19
	v_dual_mov_b32 v22, 0 :: v_dual_add_nc_u32 v53, 0x47c0, v20
	v_cmp_lt_u32_e64 s8, 31, v19
	v_add_nc_u32_e32 v54, 0x4780, v20
	v_cmp_lt_u32_e64 s9, 63, v19
	v_dual_mov_b32 v16, s55 :: v_dual_add_nc_u32 v55, 0x4700, v20
	v_dual_mov_b32 v19, 0 :: v_dual_mov_b32 v18, s15
	v_or_b32_e32 v42, 0x4000, v41
	v_lshl_add_u32 v48, v24, 2, 0x4800
	s_add_u32 s61, s28, 8
	v_add_nc_u32_e32 v0, 0x4000, v10
	v_and_or_b32 v60, v41, s13, 0x4000
	v_dual_mov_b32 v20, 0 :: v_dual_mov_b32 v17, s14
	v_mov_b32_e32 v62, 1
	s_mul_i32 s22, s42, s42
	s_addc_u32 s62, s29, 0
	s_add_u32 s63, s44, -8
	s_addc_u32 s54, s45, -1
	s_lshl_b64 s[20:21], s[42:43], 3
	s_lshl_b64 s[26:27], s[22:23], 3
	s_branch .LBB119_13
.LBB119_12:                             ;   in Loop: Header=BB119_13 Depth=1
	s_or_b32 exec_lo, exec_lo, s13
	s_waitcnt_vscnt null, 0x0
	s_barrier
	buffer_gl0_inv
	ds_load_b64 v[19:20], v9 offset:18944
	v_ashrrev_i32_e32 v10, 31, v21
	v_add_co_u32 v15, vcc_lo, v15, v21
	s_waitcnt lgkmcnt(0)
	s_barrier
	s_delay_alu instid0(VALU_DEP_2) | instskip(SKIP_3) | instid1(VALU_DEP_1)
	v_add_co_ci_u32_e32 v16, vcc_lo, v16, v10, vcc_lo
	buffer_gl0_inv
	v_cmp_le_i64_e32 vcc_lo, s[40:41], v[19:20]
	v_add_co_u32 v21, s13, 0x80, v19
	v_add_co_ci_u32_e64 v22, s13, 0, v20, s13
	s_cbranch_vccnz .LBB119_100
.LBB119_13:                             ; =>This Loop Header: Depth=1
                                        ;     Child Loop BB119_26 Depth 2
                                        ;       Child Loop BB119_40 Depth 3
                                        ;         Child Loop BB119_52 Depth 4
                                        ;         Child Loop BB119_48 Depth 4
	;; [unrolled: 1-line block ×3, first 2 shown]
                                        ;     Child Loop BB119_64 Depth 2
                                        ;       Child Loop BB119_69 Depth 3
                                        ;     Child Loop BB119_74 Depth 2
                                        ;     Child Loop BB119_97 Depth 2
	s_and_saveexec_b32 s13, s0
	s_cbranch_execz .LBB119_15
; %bb.14:                               ;   in Loop: Header=BB119_13 Depth=1
	ds_store_b32 v49, v9
.LBB119_15:                             ;   in Loop: Header=BB119_13 Depth=1
	s_or_b32 exec_lo, exec_lo, s13
	ds_store_2addr_stride64_b64 v41, v[17:18], v[17:18] offset1:4
	ds_store_2addr_stride64_b64 v41, v[17:18], v[17:18] offset0:8 offset1:12
	ds_store_b64 v41, v[17:18] offset:8192
	s_and_saveexec_b32 s13, s10
	s_delay_alu instid0(SALU_CYCLE_1)
	s_xor_b32 s13, exec_lo, s13
	s_cbranch_execz .LBB119_21
; %bb.16:                               ;   in Loop: Header=BB119_13 Depth=1
	v_mov_b32_e32 v10, v9
	ds_store_b64 v41, v[9:10] offset:10240
	s_and_saveexec_b32 s14, s11
	s_delay_alu instid0(SALU_CYCLE_1)
	s_xor_b32 s14, exec_lo, s14
	s_cbranch_execz .LBB119_20
; %bb.17:                               ;   in Loop: Header=BB119_13 Depth=1
	ds_store_b64 v41, v[9:10] offset:12288
	s_and_saveexec_b32 s15, s12
	s_delay_alu instid0(SALU_CYCLE_1)
	s_xor_b32 s15, exec_lo, s15
	s_cbranch_execz .LBB119_19
; %bb.18:                               ;   in Loop: Header=BB119_13 Depth=1
	v_mov_b32_e32 v10, v9
	ds_store_b64 v41, v[9:10] offset:14336
.LBB119_19:                             ;   in Loop: Header=BB119_13 Depth=1
	s_or_b32 exec_lo, exec_lo, s15
.LBB119_20:                             ;   in Loop: Header=BB119_13 Depth=1
	s_delay_alu instid0(SALU_CYCLE_1)
	s_or_b32 exec_lo, exec_lo, s14
.LBB119_21:                             ;   in Loop: Header=BB119_13 Depth=1
	s_delay_alu instid0(SALU_CYCLE_1)
	s_or_b32 exec_lo, exec_lo, s13
	s_and_saveexec_b32 s13, s1
	s_cbranch_execz .LBB119_23
; %bb.22:                               ;   in Loop: Header=BB119_13 Depth=1
	v_dual_mov_b32 v23, s40 :: v_dual_mov_b32 v24, s41
	ds_store_b64 v9, v[23:24] offset:18944
.LBB119_23:                             ;   in Loop: Header=BB119_13 Depth=1
	s_or_b32 exec_lo, exec_lo, s13
	v_dual_mov_b32 v23, s40 :: v_dual_mov_b32 v24, s41
	s_and_not1_b32 vcc_lo, exec_lo, s59
	s_waitcnt vmcnt(0) lgkmcnt(0)
	s_barrier
	buffer_gl0_inv
	s_cbranch_vccnz .LBB119_59
; %bb.24:                               ;   in Loop: Header=BB119_13 Depth=1
	v_cmp_ne_u64_e64 s13, 0, v[19:20]
	v_dual_mov_b32 v23, s40 :: v_dual_mov_b32 v24, s41
	s_mov_b64 s[44:45], s[34:35]
	s_branch .LBB119_26
.LBB119_25:                             ;   in Loop: Header=BB119_26 Depth=2
	s_or_b32 exec_lo, exec_lo, s15
	s_add_u32 s44, s44, 16
	s_addc_u32 s45, s45, 0
	s_delay_alu instid0(SALU_CYCLE_1) | instskip(NEXT) | instid1(VALU_DEP_1)
	v_cmp_lt_i64_e64 s14, s[44:45], s[48:49]
	s_and_b32 vcc_lo, exec_lo, s14
	s_cbranch_vccz .LBB119_59
.LBB119_26:                             ;   Parent Loop BB119_13 Depth=1
                                        ; =>  This Loop Header: Depth=2
                                        ;       Child Loop BB119_40 Depth 3
                                        ;         Child Loop BB119_52 Depth 4
                                        ;         Child Loop BB119_48 Depth 4
	;; [unrolled: 1-line block ×3, first 2 shown]
	v_add_co_u32 v25, s14, s44, v5
	s_delay_alu instid0(VALU_DEP_1) | instskip(NEXT) | instid1(VALU_DEP_1)
	v_add_co_ci_u32_e64 v26, null, s45, 0, s14
	s_waitcnt_vscnt null, 0x0
	s_barrier
	buffer_gl0_inv
	v_cmp_gt_i64_e64 s14, s[48:49], v[25:26]
	s_delay_alu instid0(VALU_DEP_1)
	s_and_saveexec_b32 s15, s14
	s_cbranch_execz .LBB119_30
; %bb.27:                               ;   in Loop: Header=BB119_26 Depth=2
	v_mov_b32_e32 v27, 0
	v_mov_b32_e32 v28, 0
	s_and_saveexec_b32 s46, s60
	s_cbranch_execz .LBB119_29
; %bb.28:                               ;   in Loop: Header=BB119_26 Depth=2
	v_mul_lo_u32 v10, v26, s22
	v_mul_lo_u32 v29, v25, s23
	v_mad_u64_u32 v[27:28], null, v25, s22, 0
	s_delay_alu instid0(VALU_DEP_1) | instskip(NEXT) | instid1(VALU_DEP_1)
	v_add3_u32 v28, v28, v29, v10
	v_lshlrev_b64 v[27:28], 3, v[27:28]
	s_delay_alu instid0(VALU_DEP_1) | instskip(NEXT) | instid1(VALU_DEP_2)
	v_add_co_u32 v27, vcc_lo, v8, v27
	v_add_co_ci_u32_e32 v28, vcc_lo, v43, v28, vcc_lo
	global_load_b64 v[27:28], v[27:28], off
.LBB119_29:                             ;   in Loop: Header=BB119_26 Depth=2
	s_or_b32 exec_lo, exec_lo, s46
	s_waitcnt vmcnt(0)
	ds_store_b64 v42, v[27:28]
.LBB119_30:                             ;   in Loop: Header=BB119_26 Depth=2
	s_or_b32 exec_lo, exec_lo, s15
	v_mov_b32_e32 v27, 0
	v_lshlrev_b64 v[25:26], 3, v[25:26]
	v_mov_b32_e32 v28, 0
	s_waitcnt lgkmcnt(0)
	s_barrier
	buffer_gl0_inv
	s_and_saveexec_b32 s55, s14
	s_cbranch_execz .LBB119_57
; %bb.31:                               ;   in Loop: Header=BB119_26 Depth=2
	v_add_co_u32 v27, vcc_lo, s24, v25
	v_add_co_ci_u32_e32 v28, vcc_lo, s25, v26, vcc_lo
	s_and_b32 vcc_lo, exec_lo, s13
	global_load_b64 v[29:30], v[27:28], off
	s_cbranch_vccz .LBB119_33
; %bb.32:                               ;   in Loop: Header=BB119_26 Depth=2
	v_add_co_u32 v27, vcc_lo, s50, v25
	v_add_co_ci_u32_e32 v28, vcc_lo, s51, v26, vcc_lo
	s_mov_b32 s15, 0
	global_load_b64 v[27:28], v[27:28], off
	s_branch .LBB119_34
.LBB119_33:                             ;   in Loop: Header=BB119_26 Depth=2
	s_mov_b32 s15, -1
                                        ; implicit-def: $vgpr27_vgpr28
.LBB119_34:                             ;   in Loop: Header=BB119_26 Depth=2
	s_waitcnt vmcnt(0)
	v_sub_co_u32 v29, vcc_lo, v29, s36
	v_subrev_co_ci_u32_e32 v30, vcc_lo, 0, v30, vcc_lo
	s_and_not1_b32 vcc_lo, exec_lo, s15
	s_delay_alu instid0(VALU_DEP_1)
	v_lshlrev_b64 v[29:30], 3, v[29:30]
	s_cbranch_vccnz .LBB119_36
; %bb.35:                               ;   in Loop: Header=BB119_26 Depth=2
	s_delay_alu instid0(VALU_DEP_1) | instskip(NEXT) | instid1(VALU_DEP_2)
	v_add_co_u32 v27, vcc_lo, s28, v29
	v_add_co_ci_u32_e32 v28, vcc_lo, s29, v30, vcc_lo
	global_load_b64 v[27:28], v[27:28], off
	s_waitcnt vmcnt(0)
	v_sub_co_u32 v27, vcc_lo, v27, s37
	v_subrev_co_ci_u32_e32 v28, vcc_lo, 0, v28, vcc_lo
.LBB119_36:                             ;   in Loop: Header=BB119_26 Depth=2
	s_delay_alu instid0(VALU_DEP_1) | instskip(NEXT) | instid1(VALU_DEP_2)
	v_add_co_u32 v29, vcc_lo, s61, v29
	v_add_co_ci_u32_e32 v30, vcc_lo, s62, v30, vcc_lo
	s_mov_b32 s64, exec_lo
	global_load_b64 v[29:30], v[29:30], off
	s_waitcnt vmcnt(0)
	v_sub_co_u32 v29, vcc_lo, v29, s37
	v_subrev_co_ci_u32_e32 v30, vcc_lo, 0, v30, vcc_lo
	s_delay_alu instid0(VALU_DEP_1)
	v_cmpx_lt_i64_e64 v[27:28], v[29:30]
	s_cbranch_execz .LBB119_56
; %bb.37:                               ;   in Loop: Header=BB119_26 Depth=2
	v_mad_u64_u32 v[35:36], null, s20, v27, v[11:12]
	v_mul_lo_u32 v10, s20, v28
	v_mul_lo_u32 v33, s21, v27
	v_mad_u64_u32 v[31:32], null, s26, v27, v[13:14]
	v_mul_lo_u32 v37, s26, v28
	s_mov_b32 s65, 0
	v_mul_lo_u32 v38, s43, v35
	s_delay_alu instid0(VALU_DEP_4) | instskip(SKIP_2) | instid1(VALU_DEP_3)
	v_add3_u32 v10, v33, v36, v10
	v_mul_lo_u32 v36, s27, v27
	v_mad_u64_u32 v[33:34], null, s42, v35, s[52:53]
	v_mul_lo_u32 v10, s42, v10
	s_delay_alu instid0(VALU_DEP_3) | instskip(SKIP_1) | instid1(VALU_DEP_3)
	v_add3_u32 v32, v36, v32, v37
	v_dual_mov_b32 v36, v28 :: v_dual_mov_b32 v35, v27
	v_add3_u32 v34, v38, v34, v10
	s_branch .LBB119_40
.LBB119_38:                             ;   in Loop: Header=BB119_40 Depth=3
	s_or_b32 exec_lo, exec_lo, s67
	s_delay_alu instid0(SALU_CYCLE_1)
	s_or_b32 s15, s15, exec_lo
.LBB119_39:                             ;   in Loop: Header=BB119_40 Depth=3
	s_or_b32 exec_lo, exec_lo, s66
	v_add_co_u32 v27, vcc_lo, v27, 1
	v_add_co_ci_u32_e32 v28, vcc_lo, 0, v28, vcc_lo
	s_xor_b32 s46, s15, -1
	v_add_co_u32 v33, s15, v33, s26
	s_delay_alu instid0(VALU_DEP_2)
	v_cmp_ge_i64_e32 vcc_lo, v[27:28], v[29:30]
	v_add_co_ci_u32_e64 v34, s15, s27, v34, s15
	s_or_b32 s15, s46, vcc_lo
	v_add_co_u32 v31, vcc_lo, v31, s26
	v_add_co_ci_u32_e32 v32, vcc_lo, s27, v32, vcc_lo
	s_and_b32 s15, exec_lo, s15
	s_delay_alu instid0(SALU_CYCLE_1) | instskip(NEXT) | instid1(SALU_CYCLE_1)
	s_or_b32 s65, s15, s65
	s_and_not1_b32 exec_lo, exec_lo, s65
	s_cbranch_execz .LBB119_55
.LBB119_40:                             ;   Parent Loop BB119_13 Depth=1
                                        ;     Parent Loop BB119_26 Depth=2
                                        ; =>    This Loop Header: Depth=3
                                        ;         Child Loop BB119_52 Depth 4
                                        ;         Child Loop BB119_48 Depth 4
	;; [unrolled: 1-line block ×3, first 2 shown]
	v_lshlrev_b64 v[37:38], 3, v[27:28]
	s_delay_alu instid0(VALU_DEP_1) | instskip(NEXT) | instid1(VALU_DEP_2)
	v_add_co_u32 v37, vcc_lo, s30, v37
	v_add_co_ci_u32_e32 v38, vcc_lo, s31, v38, vcc_lo
	global_load_b64 v[37:38], v[37:38], off
	s_waitcnt vmcnt(0)
	v_sub_co_u32 v37, vcc_lo, v37, s37
	v_subrev_co_ci_u32_e32 v38, vcc_lo, 0, v38, vcc_lo
	s_delay_alu instid0(VALU_DEP_1) | instskip(SKIP_1) | instid1(VALU_DEP_2)
	v_cmp_lt_i64_e64 s15, v[37:38], v[19:20]
	v_cmp_ge_i64_e32 vcc_lo, v[37:38], v[21:22]
	s_or_b32 s46, s15, vcc_lo
                                        ; implicit-def: $sgpr15
	s_delay_alu instid0(SALU_CYCLE_1) | instskip(NEXT) | instid1(SALU_CYCLE_1)
	s_and_saveexec_b32 s47, s46
	s_xor_b32 s46, exec_lo, s47
	s_cbranch_execz .LBB119_44
; %bb.41:                               ;   in Loop: Header=BB119_40 Depth=3
	s_mov_b32 s47, -1
	s_and_saveexec_b32 s15, vcc_lo
; %bb.42:                               ;   in Loop: Header=BB119_40 Depth=3
	v_cmp_lt_i64_e32 vcc_lo, v[37:38], v[23:24]
	v_dual_mov_b32 v36, v28 :: v_dual_mov_b32 v35, v27
	s_xor_b32 s47, exec_lo, -1
	v_dual_cndmask_b32 v24, v24, v38 :: v_dual_cndmask_b32 v23, v23, v37
; %bb.43:                               ;   in Loop: Header=BB119_40 Depth=3
	s_or_b32 exec_lo, exec_lo, s15
	s_delay_alu instid0(SALU_CYCLE_1)
	s_and_b32 s15, s47, exec_lo
                                        ; implicit-def: $vgpr37_vgpr38
.LBB119_44:                             ;   in Loop: Header=BB119_40 Depth=3
	s_and_not1_saveexec_b32 s66, s46
	s_cbranch_execz .LBB119_39
; %bb.45:                               ;   in Loop: Header=BB119_40 Depth=3
	v_sub_nc_u32_e32 v10, v37, v19
	s_delay_alu instid0(VALU_DEP_1)
	v_lshlrev_b32_e32 v37, 2, v10
	ds_store_b32 v37, v62 offset:18432
	s_and_saveexec_b32 s67, s56
	s_cbranch_execz .LBB119_38
; %bb.46:                               ;   in Loop: Header=BB119_40 Depth=3
	s_and_not1_b32 vcc_lo, exec_lo, s57
	s_cbranch_vccnz .LBB119_50
; %bb.47:                               ;   in Loop: Header=BB119_40 Depth=3
	v_dual_mov_b32 v37, 0 :: v_dual_mov_b32 v40, v34
	v_dual_mov_b32 v38, 0 :: v_dual_mov_b32 v63, v0
	v_mov_b32_e32 v39, v33
	s_mov_b64 s[46:47], s[42:43]
.LBB119_48:                             ;   Parent Loop BB119_13 Depth=1
                                        ;     Parent Loop BB119_26 Depth=2
                                        ;       Parent Loop BB119_40 Depth=3
                                        ; =>      This Inner Loop Header: Depth=4
	global_load_b64 v[64:65], v[39:40], off
	ds_load_b64 v[66:67], v63
	v_add_co_u32 v39, vcc_lo, v39, 8
	v_add_co_ci_u32_e32 v40, vcc_lo, 0, v40, vcc_lo
	s_add_u32 s46, s46, -1
	v_add_nc_u32_e32 v63, 32, v63
	s_addc_u32 s47, s47, -1
	s_delay_alu instid0(SALU_CYCLE_1)
	s_cmp_lg_u64 s[46:47], 0
	s_waitcnt vmcnt(0) lgkmcnt(0)
	v_fma_f64 v[37:38], v[66:67], v[64:65], v[37:38]
	s_cbranch_scc1 .LBB119_48
; %bb.49:                               ;   in Loop: Header=BB119_40 Depth=3
	s_branch .LBB119_53
.LBB119_50:                             ;   in Loop: Header=BB119_40 Depth=3
                                        ; implicit-def: $vgpr37_vgpr38
	s_cbranch_execz .LBB119_53
; %bb.51:                               ;   in Loop: Header=BB119_40 Depth=3
	v_dual_mov_b32 v37, 0 :: v_dual_mov_b32 v40, v32
	v_dual_mov_b32 v38, 0 :: v_dual_mov_b32 v63, v60
	v_mov_b32_e32 v39, v31
	s_mov_b64 s[46:47], s[42:43]
.LBB119_52:                             ;   Parent Loop BB119_13 Depth=1
                                        ;     Parent Loop BB119_26 Depth=2
                                        ;       Parent Loop BB119_40 Depth=3
                                        ; =>      This Inner Loop Header: Depth=4
	global_load_b64 v[64:65], v[39:40], off
	ds_load_b64 v[66:67], v63
	v_add_co_u32 v39, vcc_lo, v39, s20
	s_add_u32 s46, s46, -1
	v_add_co_ci_u32_e32 v40, vcc_lo, s21, v40, vcc_lo
	v_add_nc_u32_e32 v63, 8, v63
	s_addc_u32 s47, s47, -1
	s_delay_alu instid0(SALU_CYCLE_1)
	s_cmp_eq_u64 s[46:47], 0
	s_waitcnt vmcnt(0) lgkmcnt(0)
	v_fma_f64 v[37:38], v[66:67], v[64:65], v[37:38]
	s_cbranch_scc0 .LBB119_52
.LBB119_53:                             ;   in Loop: Header=BB119_40 Depth=3
	s_delay_alu instid0(VALU_DEP_1) | instskip(SKIP_2) | instid1(VALU_DEP_1)
	v_mul_f64 v[37:38], v[1:2], v[37:38]
	v_lshlrev_b32_e32 v10, 4, v10
	s_mov_b32 s46, 0
	v_or3_b32 v10, v10, v44, v7
	s_delay_alu instid0(VALU_DEP_1)
	v_lshlrev_b32_e32 v10, 3, v10
	ds_load_b64 v[39:40], v10
.LBB119_54:                             ;   Parent Loop BB119_13 Depth=1
                                        ;     Parent Loop BB119_26 Depth=2
                                        ;       Parent Loop BB119_40 Depth=3
                                        ; =>      This Inner Loop Header: Depth=4
	s_waitcnt lgkmcnt(0)
	v_add_f64 v[63:64], v[39:40], v[37:38]
	ds_cmpstore_rtn_b64 v[63:64], v10, v[63:64], v[39:40]
	s_waitcnt lgkmcnt(0)
	v_cmp_eq_u64_e32 vcc_lo, v[63:64], v[39:40]
	v_dual_mov_b32 v39, v63 :: v_dual_mov_b32 v40, v64
	s_or_b32 s46, vcc_lo, s46
	s_delay_alu instid0(SALU_CYCLE_1)
	s_and_not1_b32 exec_lo, exec_lo, s46
	s_cbranch_execnz .LBB119_54
	s_branch .LBB119_38
.LBB119_55:                             ;   in Loop: Header=BB119_26 Depth=2
	s_or_b32 exec_lo, exec_lo, s65
	v_dual_mov_b32 v27, v35 :: v_dual_mov_b32 v28, v36
.LBB119_56:                             ;   in Loop: Header=BB119_26 Depth=2
	s_or_b32 exec_lo, exec_lo, s64
.LBB119_57:                             ;   in Loop: Header=BB119_26 Depth=2
	s_delay_alu instid0(SALU_CYCLE_1)
	s_or_b32 exec_lo, exec_lo, s55
	s_waitcnt lgkmcnt(0)
	s_barrier
	buffer_gl0_inv
	s_and_saveexec_b32 s15, s14
	s_cbranch_execz .LBB119_25
; %bb.58:                               ;   in Loop: Header=BB119_26 Depth=2
	v_add_co_u32 v25, vcc_lo, s50, v25
	v_add_co_ci_u32_e32 v26, vcc_lo, s51, v26, vcc_lo
	global_store_b64 v[25:26], v[27:28], off
	s_branch .LBB119_25
.LBB119_59:                             ;   in Loop: Header=BB119_13 Depth=1
	s_and_not1_b32 vcc_lo, exec_lo, s33
	s_cbranch_vccnz .LBB119_72
; %bb.60:                               ;   in Loop: Header=BB119_13 Depth=1
	s_load_b128 s[44:47], s[16:17], 0x0
	s_waitcnt lgkmcnt(0)
	v_add_co_u32 v25, vcc_lo, s44, v45
	v_add_co_ci_u32_e32 v26, vcc_lo, s45, v46, vcc_lo
	s_sub_u32 s14, s46, s58
	s_subb_u32 s15, s47, 0
	s_mov_b32 s44, exec_lo
	s_delay_alu instid0(VALU_DEP_1)
	v_cmpx_gt_i64_e64 s[14:15], v[25:26]
	s_cbranch_execz .LBB119_71
; %bb.61:                               ;   in Loop: Header=BB119_13 Depth=1
	s_mov_b32 s45, 0
	s_branch .LBB119_64
.LBB119_62:                             ;   in Loop: Header=BB119_64 Depth=2
	s_or_b32 exec_lo, exec_lo, s47
	s_delay_alu instid0(SALU_CYCLE_1)
	s_or_b32 s13, s13, exec_lo
.LBB119_63:                             ;   in Loop: Header=BB119_64 Depth=2
	s_or_b32 exec_lo, exec_lo, s46
	v_add_co_u32 v25, vcc_lo, v25, 16
	v_add_co_ci_u32_e32 v26, vcc_lo, 0, v26, vcc_lo
	s_xor_b32 s13, s13, -1
	s_delay_alu instid0(VALU_DEP_1) | instskip(SKIP_1) | instid1(SALU_CYCLE_1)
	v_cmp_le_i64_e32 vcc_lo, s[14:15], v[25:26]
	s_or_b32 s13, s13, vcc_lo
	s_and_b32 s13, exec_lo, s13
	s_delay_alu instid0(SALU_CYCLE_1) | instskip(NEXT) | instid1(SALU_CYCLE_1)
	s_or_b32 s45, s13, s45
	s_and_not1_b32 exec_lo, exec_lo, s45
	s_cbranch_execz .LBB119_70
.LBB119_64:                             ;   Parent Loop BB119_13 Depth=1
                                        ; =>  This Loop Header: Depth=2
                                        ;       Child Loop BB119_69 Depth 3
	v_lshlrev_b64 v[27:28], 3, v[25:26]
	s_delay_alu instid0(VALU_DEP_1) | instskip(NEXT) | instid1(VALU_DEP_2)
	v_add_co_u32 v27, vcc_lo, s18, v27
	v_add_co_ci_u32_e32 v28, vcc_lo, s19, v28, vcc_lo
	global_load_b64 v[27:28], v[27:28], off
	s_waitcnt vmcnt(0)
	v_sub_co_u32 v27, vcc_lo, v27, s58
	v_subrev_co_ci_u32_e32 v28, vcc_lo, 0, v28, vcc_lo
	s_delay_alu instid0(VALU_DEP_1)
	v_cmp_lt_i64_e32 vcc_lo, v[27:28], v[21:22]
	v_cmp_lt_i64_e64 s13, v[27:28], v[19:20]
	s_xor_b32 s46, vcc_lo, -1
	s_delay_alu instid0(VALU_DEP_1) | instid1(SALU_CYCLE_1)
	s_or_b32 s46, s13, s46
                                        ; implicit-def: $sgpr13
	s_delay_alu instid0(SALU_CYCLE_1) | instskip(NEXT) | instid1(SALU_CYCLE_1)
	s_and_saveexec_b32 s47, s46
	s_xor_b32 s46, exec_lo, s47
; %bb.65:                               ;   in Loop: Header=BB119_64 Depth=2
	v_cmp_lt_i64_e64 s13, v[27:28], v[23:24]
	s_delay_alu instid0(VALU_DEP_1) | instskip(SKIP_2) | instid1(VALU_DEP_1)
	v_cndmask_b32_e64 v10, v23, v27, s13
	v_cndmask_b32_e64 v27, v24, v28, s13
	s_and_b32 s13, vcc_lo, exec_lo
	v_dual_cndmask_b32 v23, v10, v23 :: v_dual_cndmask_b32 v24, v27, v24
                                        ; implicit-def: $vgpr27
; %bb.66:                               ;   in Loop: Header=BB119_64 Depth=2
	s_and_not1_saveexec_b32 s46, s46
	s_cbranch_execz .LBB119_63
; %bb.67:                               ;   in Loop: Header=BB119_64 Depth=2
	v_sub_nc_u32_e32 v10, v27, v19
	s_delay_alu instid0(VALU_DEP_1)
	v_lshlrev_b32_e32 v27, 2, v10
	ds_store_b32 v27, v62 offset:18432
	s_and_saveexec_b32 s47, s60
	s_cbranch_execz .LBB119_62
; %bb.68:                               ;   in Loop: Header=BB119_64 Depth=2
	v_mul_lo_u32 v29, v26, s22
	v_mul_lo_u32 v30, v25, s23
	v_mad_u64_u32 v[27:28], null, v25, s22, 0
	v_lshlrev_b32_e32 v10, 4, v10
	s_mov_b32 s55, 0
	s_delay_alu instid0(VALU_DEP_1) | instskip(NEXT) | instid1(VALU_DEP_3)
	v_or3_b32 v10, v10, v44, v7
	v_add3_u32 v28, v28, v30, v29
	s_delay_alu instid0(VALU_DEP_2) | instskip(NEXT) | instid1(VALU_DEP_2)
	v_lshlrev_b32_e32 v10, 3, v10
	v_lshlrev_b64 v[27:28], 3, v[27:28]
	ds_load_b64 v[29:30], v10
	v_add_co_u32 v27, vcc_lo, v59, v27
	v_add_co_ci_u32_e32 v28, vcc_lo, v58, v28, vcc_lo
	global_load_b64 v[27:28], v[27:28], off
	s_waitcnt vmcnt(0)
	v_mul_f64 v[27:28], v[3:4], v[27:28]
.LBB119_69:                             ;   Parent Loop BB119_13 Depth=1
                                        ;     Parent Loop BB119_64 Depth=2
                                        ; =>    This Inner Loop Header: Depth=3
	s_waitcnt lgkmcnt(0)
	s_delay_alu instid0(VALU_DEP_1)
	v_add_f64 v[31:32], v[29:30], v[27:28]
	ds_cmpstore_rtn_b64 v[31:32], v10, v[31:32], v[29:30]
	s_waitcnt lgkmcnt(0)
	v_cmp_eq_u64_e32 vcc_lo, v[31:32], v[29:30]
	v_dual_mov_b32 v29, v31 :: v_dual_mov_b32 v30, v32
	s_or_b32 s55, vcc_lo, s55
	s_delay_alu instid0(SALU_CYCLE_1)
	s_and_not1_b32 exec_lo, exec_lo, s55
	s_cbranch_execnz .LBB119_69
	s_branch .LBB119_62
.LBB119_70:                             ;   in Loop: Header=BB119_13 Depth=1
	s_or_b32 exec_lo, exec_lo, s45
.LBB119_71:                             ;   in Loop: Header=BB119_13 Depth=1
	s_delay_alu instid0(SALU_CYCLE_1)
	s_or_b32 exec_lo, exec_lo, s44
.LBB119_72:                             ;   in Loop: Header=BB119_13 Depth=1
	s_and_saveexec_b32 s13, s2
	s_cbranch_execz .LBB119_77
; %bb.73:                               ;   in Loop: Header=BB119_13 Depth=1
	s_mov_b32 s44, exec_lo
	s_mov_b64 s[14:15], -1
.LBB119_74:                             ;   Parent Loop BB119_13 Depth=1
                                        ; =>  This Inner Loop Header: Depth=2
	s_ctz_i32_b32 s45, s44
	s_delay_alu instid0(SALU_CYCLE_1) | instskip(SKIP_1) | instid1(VALU_DEP_1)
	v_readlane_b32 s47, v24, s45
	v_readlane_b32 s46, v23, s45
	v_cmp_lt_u64_e64 s55, s[14:15], s[46:47]
	s_delay_alu instid0(VALU_DEP_1) | instskip(SKIP_3) | instid1(SALU_CYCLE_1)
	s_and_b32 s55, s55, exec_lo
	s_cselect_b32 s15, s15, s47
	s_cselect_b32 s14, s14, s46
	s_lshl_b32 s45, 1, s45
	s_and_not1_b32 s44, s44, s45
	s_delay_alu instid0(SALU_CYCLE_1)
	s_cmp_lg_u32 s44, 0
	s_cbranch_scc1 .LBB119_74
; %bb.75:                               ;   in Loop: Header=BB119_13 Depth=1
	v_mbcnt_lo_u32_b32 v10, exec_lo, 0
	s_mov_b32 s44, exec_lo
	s_delay_alu instid0(VALU_DEP_1)
	v_cmpx_eq_u32_e32 0, v10
	s_xor_b32 s44, exec_lo, s44
	s_cbranch_execz .LBB119_77
; %bb.76:                               ;   in Loop: Header=BB119_13 Depth=1
	v_dual_mov_b32 v22, s15 :: v_dual_mov_b32 v21, s14
	ds_min_u64 v9, v[21:22] offset:18944
.LBB119_77:                             ;   in Loop: Header=BB119_13 Depth=1
	s_or_b32 exec_lo, exec_lo, s13
	s_waitcnt lgkmcnt(0)
	s_waitcnt_vscnt null, 0x0
	s_barrier
	buffer_gl0_inv
	ds_load_b32 v10, v47
	s_waitcnt lgkmcnt(0)
	s_barrier
	buffer_gl0_inv
	s_and_saveexec_b32 s13, s3
	s_cbranch_execz .LBB119_79
; %bb.78:                               ;   in Loop: Header=BB119_13 Depth=1
	ds_load_b32 v21, v48
	s_waitcnt lgkmcnt(0)
	v_add_nc_u32_e32 v10, v21, v10
.LBB119_79:                             ;   in Loop: Header=BB119_13 Depth=1
	s_or_b32 exec_lo, exec_lo, s13
	s_barrier
	buffer_gl0_inv
	ds_store_b32 v47, v10
	s_waitcnt lgkmcnt(0)
	s_barrier
	buffer_gl0_inv
	s_and_saveexec_b32 s13, s4
	s_cbranch_execz .LBB119_81
; %bb.80:                               ;   in Loop: Header=BB119_13 Depth=1
	ds_load_b32 v21, v50
	s_waitcnt lgkmcnt(0)
	v_add_nc_u32_e32 v10, v21, v10
.LBB119_81:                             ;   in Loop: Header=BB119_13 Depth=1
	s_or_b32 exec_lo, exec_lo, s13
	s_barrier
	buffer_gl0_inv
	ds_store_b32 v47, v10
	s_waitcnt lgkmcnt(0)
	s_barrier
	buffer_gl0_inv
	s_and_saveexec_b32 s13, s5
	s_cbranch_execz .LBB119_83
; %bb.82:                               ;   in Loop: Header=BB119_13 Depth=1
	ds_load_b32 v21, v51
	s_waitcnt lgkmcnt(0)
	v_add_nc_u32_e32 v10, v21, v10
.LBB119_83:                             ;   in Loop: Header=BB119_13 Depth=1
	s_or_b32 exec_lo, exec_lo, s13
	s_barrier
	buffer_gl0_inv
	ds_store_b32 v47, v10
	s_waitcnt lgkmcnt(0)
	s_barrier
	buffer_gl0_inv
	s_and_saveexec_b32 s13, s6
	s_cbranch_execz .LBB119_85
; %bb.84:                               ;   in Loop: Header=BB119_13 Depth=1
	ds_load_b32 v21, v52
	s_waitcnt lgkmcnt(0)
	v_add_nc_u32_e32 v10, v21, v10
.LBB119_85:                             ;   in Loop: Header=BB119_13 Depth=1
	s_or_b32 exec_lo, exec_lo, s13
	s_barrier
	buffer_gl0_inv
	ds_store_b32 v47, v10
	s_waitcnt lgkmcnt(0)
	s_barrier
	buffer_gl0_inv
	s_and_saveexec_b32 s13, s7
	s_cbranch_execz .LBB119_87
; %bb.86:                               ;   in Loop: Header=BB119_13 Depth=1
	ds_load_b32 v21, v53
	s_waitcnt lgkmcnt(0)
	v_add_nc_u32_e32 v10, v21, v10
.LBB119_87:                             ;   in Loop: Header=BB119_13 Depth=1
	s_or_b32 exec_lo, exec_lo, s13
	s_barrier
	buffer_gl0_inv
	ds_store_b32 v47, v10
	s_waitcnt lgkmcnt(0)
	s_barrier
	buffer_gl0_inv
	s_and_saveexec_b32 s13, s8
	s_cbranch_execz .LBB119_89
; %bb.88:                               ;   in Loop: Header=BB119_13 Depth=1
	ds_load_b32 v21, v54
	s_waitcnt lgkmcnt(0)
	v_add_nc_u32_e32 v10, v21, v10
.LBB119_89:                             ;   in Loop: Header=BB119_13 Depth=1
	s_or_b32 exec_lo, exec_lo, s13
	s_barrier
	buffer_gl0_inv
	ds_store_b32 v47, v10
	s_waitcnt lgkmcnt(0)
	s_barrier
	buffer_gl0_inv
	s_and_saveexec_b32 s13, s9
	s_cbranch_execz .LBB119_91
; %bb.90:                               ;   in Loop: Header=BB119_13 Depth=1
	ds_load_b32 v21, v55
	s_waitcnt lgkmcnt(0)
	v_add_nc_u32_e32 v10, v21, v10
.LBB119_91:                             ;   in Loop: Header=BB119_13 Depth=1
	s_or_b32 exec_lo, exec_lo, s13
	s_barrier
	buffer_gl0_inv
	ds_store_b32 v47, v10
	s_waitcnt lgkmcnt(0)
	s_barrier
	buffer_gl0_inv
	ds_load_b32 v21, v9 offset:18940
	v_mov_b32_e32 v22, 0
	s_and_saveexec_b32 s13, s39
	s_cbranch_execz .LBB119_93
; %bb.92:                               ;   in Loop: Header=BB119_13 Depth=1
	ds_load_b32 v22, v48
.LBB119_93:                             ;   in Loop: Header=BB119_13 Depth=1
	s_or_b32 exec_lo, exec_lo, s13
	s_waitcnt lgkmcnt(0)
	v_cmp_eq_u32_e32 vcc_lo, v10, v22
	s_barrier
	buffer_gl0_inv
	s_and_b32 s14, s39, vcc_lo
	s_delay_alu instid0(SALU_CYCLE_1)
	s_and_saveexec_b32 s13, s14
	s_cbranch_execz .LBB119_95
; %bb.94:                               ;   in Loop: Header=BB119_13 Depth=1
	ds_store_b32 v47, v9
.LBB119_95:                             ;   in Loop: Header=BB119_13 Depth=1
	s_or_b32 exec_lo, exec_lo, s13
	v_add_co_u32 v10, vcc_lo, v15, -1
	v_add_co_ci_u32_e32 v22, vcc_lo, -1, v16, vcc_lo
	v_add_co_u32 v23, vcc_lo, s38, v19
	v_add_co_ci_u32_e32 v24, vcc_lo, 0, v20, vcc_lo
	v_dual_mov_b32 v25, v61 :: v_dual_mov_b32 v20, v6
	v_mov_b32_e32 v26, v41
	v_mov_b32_e32 v19, v5
	s_mov_b32 s13, 0
	s_waitcnt lgkmcnt(0)
	s_barrier
	buffer_gl0_inv
	s_branch .LBB119_97
.LBB119_96:                             ;   in Loop: Header=BB119_97 Depth=2
	s_or_b32 exec_lo, exec_lo, s14
	v_add_co_u32 v19, vcc_lo, v19, 16
	v_add_co_ci_u32_e32 v20, vcc_lo, 0, v20, vcc_lo
	v_add_nc_u32_e32 v26, 0x800, v26
	s_delay_alu instid0(VALU_DEP_3) | instskip(SKIP_1) | instid1(VALU_DEP_2)
	v_add_nc_u32_e32 v27, -16, v19
	v_add_nc_u32_e32 v25, 64, v25
	v_cmp_lt_u32_e32 vcc_lo, 0x6f, v27
	s_or_b32 s13, vcc_lo, s13
	s_delay_alu instid0(SALU_CYCLE_1)
	s_and_not1_b32 exec_lo, exec_lo, s13
	s_cbranch_execz .LBB119_12
.LBB119_97:                             ;   Parent Loop BB119_13 Depth=1
                                        ; =>  This Inner Loop Header: Depth=2
	ds_load_b32 v27, v25
	s_mov_b32 s14, exec_lo
	s_waitcnt lgkmcnt(0)
	v_cmpx_ne_u32_e32 0, v27
	s_cbranch_execz .LBB119_96
; %bb.98:                               ;   in Loop: Header=BB119_97 Depth=2
	v_ashrrev_i32_e32 v28, 31, v27
	v_add_co_u32 v29, vcc_lo, v15, v27
	s_delay_alu instid0(VALU_DEP_2) | instskip(SKIP_2) | instid1(VALU_DEP_3)
	v_add_co_ci_u32_e32 v30, vcc_lo, v16, v28, vcc_lo
	v_add_co_u32 v31, vcc_lo, v23, v19
	v_add_co_ci_u32_e32 v32, vcc_lo, v24, v20, vcc_lo
	v_lshlrev_b64 v[29:30], 3, v[29:30]
	s_delay_alu instid0(VALU_DEP_1) | instskip(NEXT) | instid1(VALU_DEP_2)
	v_add_co_u32 v29, vcc_lo, s63, v29
	v_add_co_ci_u32_e32 v30, vcc_lo, s54, v30, vcc_lo
	global_store_b64 v[29:30], v[31:32], off
	s_and_b32 exec_lo, exec_lo, s60
	s_cbranch_execz .LBB119_96
; %bb.99:                               ;   in Loop: Header=BB119_97 Depth=2
	v_add_co_u32 v29, vcc_lo, v10, v27
	v_add_co_ci_u32_e32 v27, vcc_lo, v22, v28, vcc_lo
	s_delay_alu instid0(VALU_DEP_2) | instskip(NEXT) | instid1(VALU_DEP_2)
	v_mul_lo_u32 v32, v29, s23
	v_mul_lo_u32 v31, v27, s22
	v_mad_u64_u32 v[27:28], null, v29, s22, 0
	ds_load_b64 v[29:30], v26
	v_add3_u32 v28, v28, v32, v31
	s_delay_alu instid0(VALU_DEP_1) | instskip(NEXT) | instid1(VALU_DEP_1)
	v_lshlrev_b64 v[27:28], 3, v[27:28]
	v_add_co_u32 v27, vcc_lo, v57, v27
	s_delay_alu instid0(VALU_DEP_2)
	v_add_co_ci_u32_e32 v28, vcc_lo, v56, v28, vcc_lo
	s_waitcnt lgkmcnt(0)
	global_store_b64 v[27:28], v[29:30], off
	s_branch .LBB119_96
.LBB119_100:
	s_endpgm
	.section	.rodata,"a",@progbits
	.p2align	6, 0x0
	.amdhsa_kernel _ZN9rocsparseL38bsrgemm_block_per_row_atomic_multipassILj256ELj128ELj4ElldEEv20rocsparse_direction_T3_S2_PKS2_S4_NS_24const_host_device_scalarIT4_EEPKT2_S4_PKS6_SA_S4_SC_S7_SA_S4_SC_SA_PS2_PS6_PS8_21rocsparse_index_base_SG_SG_SG_bbb
		.amdhsa_group_segment_fixed_size 18952
		.amdhsa_private_segment_fixed_size 0
		.amdhsa_kernarg_size 180
		.amdhsa_user_sgpr_count 15
		.amdhsa_user_sgpr_dispatch_ptr 0
		.amdhsa_user_sgpr_queue_ptr 0
		.amdhsa_user_sgpr_kernarg_segment_ptr 1
		.amdhsa_user_sgpr_dispatch_id 0
		.amdhsa_user_sgpr_private_segment_size 0
		.amdhsa_wavefront_size32 1
		.amdhsa_uses_dynamic_stack 0
		.amdhsa_enable_private_segment 0
		.amdhsa_system_sgpr_workgroup_id_x 1
		.amdhsa_system_sgpr_workgroup_id_y 0
		.amdhsa_system_sgpr_workgroup_id_z 0
		.amdhsa_system_sgpr_workgroup_info 0
		.amdhsa_system_vgpr_workitem_id 0
		.amdhsa_next_free_vgpr 68
		.amdhsa_next_free_sgpr 68
		.amdhsa_reserve_vcc 1
		.amdhsa_float_round_mode_32 0
		.amdhsa_float_round_mode_16_64 0
		.amdhsa_float_denorm_mode_32 3
		.amdhsa_float_denorm_mode_16_64 3
		.amdhsa_dx10_clamp 1
		.amdhsa_ieee_mode 1
		.amdhsa_fp16_overflow 0
		.amdhsa_workgroup_processor_mode 1
		.amdhsa_memory_ordered 1
		.amdhsa_forward_progress 0
		.amdhsa_shared_vgpr_count 0
		.amdhsa_exception_fp_ieee_invalid_op 0
		.amdhsa_exception_fp_denorm_src 0
		.amdhsa_exception_fp_ieee_div_zero 0
		.amdhsa_exception_fp_ieee_overflow 0
		.amdhsa_exception_fp_ieee_underflow 0
		.amdhsa_exception_fp_ieee_inexact 0
		.amdhsa_exception_int_div_zero 0
	.end_amdhsa_kernel
	.section	.text._ZN9rocsparseL38bsrgemm_block_per_row_atomic_multipassILj256ELj128ELj4ElldEEv20rocsparse_direction_T3_S2_PKS2_S4_NS_24const_host_device_scalarIT4_EEPKT2_S4_PKS6_SA_S4_SC_S7_SA_S4_SC_SA_PS2_PS6_PS8_21rocsparse_index_base_SG_SG_SG_bbb,"axG",@progbits,_ZN9rocsparseL38bsrgemm_block_per_row_atomic_multipassILj256ELj128ELj4ElldEEv20rocsparse_direction_T3_S2_PKS2_S4_NS_24const_host_device_scalarIT4_EEPKT2_S4_PKS6_SA_S4_SC_S7_SA_S4_SC_SA_PS2_PS6_PS8_21rocsparse_index_base_SG_SG_SG_bbb,comdat
.Lfunc_end119:
	.size	_ZN9rocsparseL38bsrgemm_block_per_row_atomic_multipassILj256ELj128ELj4ElldEEv20rocsparse_direction_T3_S2_PKS2_S4_NS_24const_host_device_scalarIT4_EEPKT2_S4_PKS6_SA_S4_SC_S7_SA_S4_SC_SA_PS2_PS6_PS8_21rocsparse_index_base_SG_SG_SG_bbb, .Lfunc_end119-_ZN9rocsparseL38bsrgemm_block_per_row_atomic_multipassILj256ELj128ELj4ElldEEv20rocsparse_direction_T3_S2_PKS2_S4_NS_24const_host_device_scalarIT4_EEPKT2_S4_PKS6_SA_S4_SC_S7_SA_S4_SC_SA_PS2_PS6_PS8_21rocsparse_index_base_SG_SG_SG_bbb
                                        ; -- End function
	.section	.AMDGPU.csdata,"",@progbits
; Kernel info:
; codeLenInByte = 4372
; NumSgprs: 70
; NumVgprs: 68
; ScratchSize: 0
; MemoryBound: 0
; FloatMode: 240
; IeeeMode: 1
; LDSByteSize: 18952 bytes/workgroup (compile time only)
; SGPRBlocks: 8
; VGPRBlocks: 8
; NumSGPRsForWavesPerEU: 70
; NumVGPRsForWavesPerEU: 68
; Occupancy: 12
; WaveLimiterHint : 1
; COMPUTE_PGM_RSRC2:SCRATCH_EN: 0
; COMPUTE_PGM_RSRC2:USER_SGPR: 15
; COMPUTE_PGM_RSRC2:TRAP_HANDLER: 0
; COMPUTE_PGM_RSRC2:TGID_X_EN: 1
; COMPUTE_PGM_RSRC2:TGID_Y_EN: 0
; COMPUTE_PGM_RSRC2:TGID_Z_EN: 0
; COMPUTE_PGM_RSRC2:TIDIG_COMP_CNT: 0
	.section	.text._ZN9rocsparseL23bsrgemm_fill_wf_per_rowILj256ELj64ELj8ELj137ELj8ElldEEv20rocsparse_direction_T5_S2_S2_PKS2_S4_NS_24const_host_device_scalarIT6_EEPKT4_S4_PKS6_SA_S4_SC_S7_SA_S4_SC_SA_PS2_PS6_21rocsparse_index_base_SF_SF_SF_bbb,"axG",@progbits,_ZN9rocsparseL23bsrgemm_fill_wf_per_rowILj256ELj64ELj8ELj137ELj8ElldEEv20rocsparse_direction_T5_S2_S2_PKS2_S4_NS_24const_host_device_scalarIT6_EEPKT4_S4_PKS6_SA_S4_SC_S7_SA_S4_SC_SA_PS2_PS6_21rocsparse_index_base_SF_SF_SF_bbb,comdat
	.globl	_ZN9rocsparseL23bsrgemm_fill_wf_per_rowILj256ELj64ELj8ELj137ELj8ElldEEv20rocsparse_direction_T5_S2_S2_PKS2_S4_NS_24const_host_device_scalarIT6_EEPKT4_S4_PKS6_SA_S4_SC_S7_SA_S4_SC_SA_PS2_PS6_21rocsparse_index_base_SF_SF_SF_bbb ; -- Begin function _ZN9rocsparseL23bsrgemm_fill_wf_per_rowILj256ELj64ELj8ELj137ELj8ElldEEv20rocsparse_direction_T5_S2_S2_PKS2_S4_NS_24const_host_device_scalarIT6_EEPKT4_S4_PKS6_SA_S4_SC_S7_SA_S4_SC_SA_PS2_PS6_21rocsparse_index_base_SF_SF_SF_bbb
	.p2align	8
	.type	_ZN9rocsparseL23bsrgemm_fill_wf_per_rowILj256ELj64ELj8ELj137ELj8ElldEEv20rocsparse_direction_T5_S2_S2_PKS2_S4_NS_24const_host_device_scalarIT6_EEPKT4_S4_PKS6_SA_S4_SC_S7_SA_S4_SC_SA_PS2_PS6_21rocsparse_index_base_SF_SF_SF_bbb,@function
_ZN9rocsparseL23bsrgemm_fill_wf_per_rowILj256ELj64ELj8ELj137ELj8ElldEEv20rocsparse_direction_T5_S2_S2_PKS2_S4_NS_24const_host_device_scalarIT6_EEPKT4_S4_PKS6_SA_S4_SC_S7_SA_S4_SC_SA_PS2_PS6_21rocsparse_index_base_SF_SF_SF_bbb: ; @_ZN9rocsparseL23bsrgemm_fill_wf_per_rowILj256ELj64ELj8ELj137ELj8ElldEEv20rocsparse_direction_T5_S2_S2_PKS2_S4_NS_24const_host_device_scalarIT6_EEPKT4_S4_PKS6_SA_S4_SC_S7_SA_S4_SC_SA_PS2_PS6_21rocsparse_index_base_SF_SF_SF_bbb
; %bb.0:
	s_clause 0x2
	s_load_b32 s6, s[0:1], 0xb0
	s_load_b64 s[4:5], s[0:1], 0x30
	s_load_b64 s[2:3], s[0:1], 0x68
	s_waitcnt lgkmcnt(0)
	s_and_b32 s8, 1, s6
	s_bitcmp1_b32 s6, 16
	s_cselect_b32 s7, -1, 0
	s_cmp_eq_u32 s8, 1
	s_cselect_b32 s12, -1, 0
	s_delay_alu instid0(SALU_CYCLE_1)
	s_and_b32 s8, s12, exec_lo
	s_cselect_b32 s9, s5, 0
	s_cselect_b32 s8, s4, 0
	s_xor_b32 s10, s12, -1
	v_dual_mov_b32 v14, s9 :: v_dual_mov_b32 v13, s8
	s_or_b32 s10, s10, s7
	s_delay_alu instid0(SALU_CYCLE_1)
	s_and_b32 vcc_lo, exec_lo, s10
	s_cbranch_vccnz .LBB120_2
; %bb.1:
	v_dual_mov_b32 v1, s4 :: v_dual_mov_b32 v2, s5
	flat_load_b64 v[13:14], v[1:2]
.LBB120_2:
	s_load_b128 s[36:39], s[0:1], 0xa0
	s_bitcmp1_b32 s6, 8
	s_cselect_b32 s33, -1, 0
	s_delay_alu instid0(SALU_CYCLE_1)
	s_and_b32 s4, s33, exec_lo
	s_cselect_b32 s5, s3, 0
	s_cselect_b32 s4, s2, 0
	s_xor_b32 s6, s33, -1
	v_dual_mov_b32 v6, s5 :: v_dual_mov_b32 v5, s4
	s_or_b32 s6, s6, s7
	s_delay_alu instid0(SALU_CYCLE_1)
	s_and_b32 vcc_lo, exec_lo, s6
	s_cbranch_vccnz .LBB120_4
; %bb.3:
	v_dual_mov_b32 v1, s2 :: v_dual_mov_b32 v2, s3
	flat_load_b64 v[5:6], v[1:2]
.LBB120_4:
	s_clause 0x5
	s_load_b128 s[40:43], s[0:1], 0x90
	s_load_b256 s[16:23], s[0:1], 0x70
	s_load_b128 s[44:47], s[0:1], 0x58
	s_load_b256 s[4:11], s[0:1], 0x8
	s_load_b64 s[2:3], s[0:1], 0x28
	s_load_b256 s[24:31], s[0:1], 0x38
	s_movk_i32 s13, 0xc0
	v_and_b32_e32 v3, 63, v0
	v_lshrrev_b32_e32 v40, 6, v0
	v_and_or_b32 v39, v0, s13, 0x4000
	s_mov_b32 s13, exec_lo
	s_delay_alu instid0(VALU_DEP_3)
	v_cmpx_gt_u32_e32 8, v3
	s_cbranch_execz .LBB120_6
; %bb.5:
	s_delay_alu instid0(VALU_DEP_2)
	v_lshl_add_u32 v4, v3, 3, v39
	s_waitcnt lgkmcnt(0)
	v_dual_mov_b32 v1, s6 :: v_dual_mov_b32 v2, s7
	ds_store_b64 v4, v[1:2]
.LBB120_6:
	s_or_b32 exec_lo, exec_lo, s13
	v_mov_b32_e32 v1, 0
	v_lshlrev_b32_e32 v41, 12, v40
	v_or_b32_e32 v4, 0xffffffc0, v3
	s_mov_b32 s13, 0
	s_delay_alu instid0(VALU_DEP_3) | instskip(NEXT) | instid1(VALU_DEP_3)
	v_mov_b32_e32 v2, v1
	v_lshl_or_b32 v7, v3, 3, v41
.LBB120_7:                              ; =>This Inner Loop Header: Depth=1
	s_delay_alu instid0(VALU_DEP_3) | instskip(SKIP_4) | instid1(SALU_CYCLE_1)
	v_add_nc_u32_e32 v4, 64, v4
	ds_store_b64 v7, v[1:2]
	v_add_nc_u32_e32 v7, 0x200, v7
	v_cmp_lt_u32_e32 vcc_lo, 0x1bf, v4
	s_or_b32 s13, vcc_lo, s13
	s_and_not1_b32 exec_lo, exec_lo, s13
	s_cbranch_execnz .LBB120_7
; %bb.8:
	s_or_b32 exec_lo, exec_lo, s13
	v_lshl_or_b32 v1, s15, 2, v40
	v_mov_b32_e32 v2, 0
	s_waitcnt vmcnt(0) lgkmcnt(0)
	s_barrier
	buffer_gl0_inv
	v_cmp_gt_i64_e32 vcc_lo, s[4:5], v[1:2]
	s_and_saveexec_b32 s4, vcc_lo
	s_cbranch_execz .LBB120_70
; %bb.9:
	s_cmp_eq_u64 s[2:3], 0
	s_cbranch_scc1 .LBB120_11
; %bb.10:
	s_load_b64 s[4:5], s[10:11], 0x0
	v_lshlrev_b64 v[1:2], 3, v[1:2]
	s_waitcnt lgkmcnt(0)
	s_lshl_b64 s[4:5], s[4:5], 3
	s_delay_alu instid0(SALU_CYCLE_1) | instskip(SKIP_1) | instid1(VALU_DEP_1)
	s_add_u32 s2, s2, s4
	s_addc_u32 s3, s3, s5
	v_add_co_u32 v1, vcc_lo, s2, v1
	v_add_co_ci_u32_e32 v2, vcc_lo, s3, v2, vcc_lo
	global_load_b64 v[1:2], v[1:2], off
.LBB120_11:
	s_load_b32 s13, s[0:1], 0x0
	v_lshlrev_b32_e32 v4, 6, v0
	s_waitcnt vmcnt(0)
	v_lshlrev_b64 v[11:12], 3, v[1:2]
	v_and_b32_e32 v9, 7, v0
	v_lshrrev_b32_e32 v7, 3, v3
	s_and_not1_b32 vcc_lo, exec_lo, s12
	v_and_b32_e32 v42, 0x3000, v4
	s_mul_i32 s12, s8, s9
	s_mul_hi_u32 s14, s8, s8
	s_mul_i32 s2, s8, s8
	s_cbranch_vccnz .LBB120_43
; %bb.12:
	v_add_co_u32 v1, vcc_lo, s24, v11
	v_add_co_ci_u32_e32 v2, vcc_lo, s25, v12, vcc_lo
	s_mov_b32 s15, exec_lo
	global_load_b128 v[1:4], v[1:2], off
	s_waitcnt vmcnt(0)
	v_cmpx_lt_i64_e64 v[1:2], v[3:4]
	s_cbranch_execz .LBB120_42
; %bb.13:
	v_sub_co_u32 v15, vcc_lo, v1, s36
	v_subrev_co_ci_u32_e32 v16, vcc_lo, 0, v2, vcc_lo
	s_waitcnt lgkmcnt(0)
	s_cmp_lg_u32 s13, 0
	s_delay_alu instid0(VALU_DEP_2)
	v_mul_lo_u32 v8, s9, v15
	v_mad_u64_u32 v[1:2], null, s8, v15, 0
	v_mul_lo_u32 v10, s8, v16
	s_cselect_b32 s25, -1, 0
	s_add_i32 s0, s14, s12
	v_sub_co_u32 v17, vcc_lo, v3, s36
	s_add_i32 s3, s0, s12
	v_subrev_co_ci_u32_e32 v18, vcc_lo, 0, v4, vcc_lo
	v_mul_lo_u32 v20, s3, v15
	v_mul_lo_u32 v21, s2, v16
	v_add3_u32 v2, v2, v10, v8
	v_mad_u64_u32 v[3:4], null, s2, v15, 0
	v_dual_mov_b32 v10, 0 :: v_dual_lshlrev_b32 v19, 3, v9
	s_delay_alu instid0(VALU_DEP_3) | instskip(SKIP_2) | instid1(VALU_DEP_4)
	v_lshlrev_b64 v[1:2], 3, v[1:2]
	v_lshlrev_b32_e32 v23, 3, v7
	v_and_b32_e32 v22, 56, v0
	v_mov_b32_e32 v8, v10
	v_add3_u32 v4, v4, v21, v20
	s_mov_b32 s24, 0
	v_add_co_u32 v20, vcc_lo, v1, v23
	v_add_co_ci_u32_e32 v21, vcc_lo, 0, v2, vcc_lo
	s_delay_alu instid0(VALU_DEP_3) | instskip(SKIP_2) | instid1(VALU_DEP_4)
	v_lshlrev_b64 v[1:2], 3, v[3:4]
	v_lshlrev_b32_e32 v22, 3, v22
	v_cmp_gt_u64_e64 s0, s[8:9], v[7:8]
	v_mul_lo_u32 v3, s8, v21
	v_mul_lo_u32 v4, s9, v20
	v_cmp_gt_i64_e32 vcc_lo, s[8:9], v[9:10]
	v_add_co_u32 v1, s1, v1, v23
	v_add3_u32 v8, v42, v19, v22
	v_mad_u64_u32 v[21:22], null, s8, v20, s[28:29]
	v_add_co_ci_u32_e64 v2, s1, 0, v2, s1
	s_delay_alu instid0(VALU_DEP_4) | instskip(SKIP_1) | instid1(VALU_DEP_3)
	v_add_co_u32 v23, s1, s28, v1
	v_mov_b32_e32 v20, v10
	v_add_co_ci_u32_e64 v24, s1, s29, v2, s1
	v_add_co_u32 v25, s1, s46, v19
	v_add3_u32 v22, v4, v22, v3
	v_add_co_ci_u32_e64 v26, null, s47, 0, s1
	s_mov_b32 s34, s37
	s_and_b32 s28, vcc_lo, s0
	s_lshl_b64 s[4:5], s[8:9], 3
	s_lshl_b64 s[10:11], s[2:3], 3
	s_branch .LBB120_15
.LBB120_14:                             ;   in Loop: Header=BB120_15 Depth=1
	s_or_b32 exec_lo, exec_lo, s3
	v_add_co_u32 v15, vcc_lo, v15, 1
	v_add_co_ci_u32_e32 v16, vcc_lo, 0, v16, vcc_lo
	v_add_co_u32 v23, vcc_lo, v23, s10
	v_add_co_ci_u32_e32 v24, vcc_lo, s11, v24, vcc_lo
	s_delay_alu instid0(VALU_DEP_3) | instskip(SKIP_1) | instid1(VALU_DEP_1)
	v_cmp_ge_i64_e32 vcc_lo, v[15:16], v[17:18]
	v_add_co_u32 v21, s0, v21, s10
	v_add_co_ci_u32_e64 v22, s0, s11, v22, s0
	s_or_b32 s24, vcc_lo, s24
	s_delay_alu instid0(SALU_CYCLE_1)
	s_and_not1_b32 exec_lo, exec_lo, s24
	s_cbranch_execz .LBB120_42
.LBB120_15:                             ; =>This Loop Header: Depth=1
                                        ;     Child Loop BB120_18 Depth 2
                                        ;       Child Loop BB120_25 Depth 3
                                        ;       Child Loop BB120_21 Depth 3
	;; [unrolled: 1-line block ×3, first 2 shown]
                                        ;         Child Loop BB120_34 Depth 4
                                        ;         Child Loop BB120_40 Depth 4
	v_lshlrev_b64 v[1:2], 3, v[15:16]
	s_mov_b32 s3, exec_lo
	s_delay_alu instid0(VALU_DEP_1) | instskip(NEXT) | instid1(VALU_DEP_2)
	v_add_co_u32 v1, vcc_lo, s26, v1
	v_add_co_ci_u32_e32 v2, vcc_lo, s27, v2, vcc_lo
	global_load_b64 v[1:2], v[1:2], off
	s_waitcnt vmcnt(0)
	v_sub_co_u32 v1, vcc_lo, v1, s36
	v_subrev_co_ci_u32_e32 v2, vcc_lo, 0, v2, vcc_lo
	s_delay_alu instid0(VALU_DEP_1) | instskip(NEXT) | instid1(VALU_DEP_1)
	v_lshlrev_b64 v[1:2], 3, v[1:2]
	v_add_co_u32 v1, vcc_lo, s30, v1
	s_delay_alu instid0(VALU_DEP_2)
	v_add_co_ci_u32_e32 v2, vcc_lo, s31, v2, vcc_lo
	global_load_b128 v[1:4], v[1:2], off
	s_waitcnt vmcnt(0)
	v_cmpx_lt_i64_e64 v[1:2], v[3:4]
	s_cbranch_execz .LBB120_14
; %bb.16:                               ;   in Loop: Header=BB120_15 Depth=1
	v_sub_co_u32 v1, vcc_lo, v1, s34
	v_subrev_co_ci_u32_e32 v2, vcc_lo, 0, v2, vcc_lo
	v_sub_co_u32 v3, vcc_lo, v3, s34
	s_delay_alu instid0(VALU_DEP_3) | instskip(NEXT) | instid1(VALU_DEP_3)
	v_mul_lo_u32 v27, s5, v1
	v_mul_lo_u32 v10, s4, v2
	v_mad_u64_u32 v[29:30], null, s4, v1, v[19:20]
	v_mul_lo_u32 v31, s10, v2
	v_mul_lo_u32 v32, s11, v1
	v_subrev_co_ci_u32_e32 v4, vcc_lo, 0, v4, vcc_lo
	s_mov_b32 s29, 0
	s_delay_alu instid0(VALU_DEP_4) | instskip(SKIP_3) | instid1(VALU_DEP_4)
	v_add3_u32 v10, v27, v30, v10
	v_mul_lo_u32 v33, s9, v29
	v_mad_u64_u32 v[27:28], null, s8, v29, s[46:47]
	v_mad_u64_u32 v[29:30], null, s10, v1, v[25:26]
	v_mul_lo_u32 v10, s8, v10
	s_delay_alu instid0(VALU_DEP_2) | instskip(NEXT) | instid1(VALU_DEP_2)
	v_add3_u32 v30, v32, v30, v31
	v_add3_u32 v28, v33, v28, v10
	s_branch .LBB120_18
.LBB120_17:                             ;   in Loop: Header=BB120_18 Depth=2
	s_or_b32 exec_lo, exec_lo, s35
	v_add_co_u32 v1, vcc_lo, v1, 1
	v_add_co_ci_u32_e32 v2, vcc_lo, 0, v2, vcc_lo
	v_add_co_u32 v27, vcc_lo, v27, s10
	v_add_co_ci_u32_e32 v28, vcc_lo, s11, v28, vcc_lo
	s_delay_alu instid0(VALU_DEP_3) | instskip(SKIP_1) | instid1(VALU_DEP_1)
	v_cmp_ge_i64_e32 vcc_lo, v[1:2], v[3:4]
	v_add_co_u32 v29, s0, v29, s10
	v_add_co_ci_u32_e64 v30, s0, s11, v30, s0
	s_or_b32 s29, vcc_lo, s29
	s_delay_alu instid0(SALU_CYCLE_1)
	s_and_not1_b32 exec_lo, exec_lo, s29
	s_cbranch_execz .LBB120_14
.LBB120_18:                             ;   Parent Loop BB120_15 Depth=1
                                        ; =>  This Loop Header: Depth=2
                                        ;       Child Loop BB120_25 Depth 3
                                        ;       Child Loop BB120_21 Depth 3
	;; [unrolled: 1-line block ×3, first 2 shown]
                                        ;         Child Loop BB120_34 Depth 4
                                        ;         Child Loop BB120_40 Depth 4
	s_and_saveexec_b32 s35, s28
	s_cbranch_execz .LBB120_17
; %bb.19:                               ;   in Loop: Header=BB120_18 Depth=2
	v_lshlrev_b64 v[31:32], 3, v[1:2]
	s_delay_alu instid0(VALU_DEP_1) | instskip(NEXT) | instid1(VALU_DEP_2)
	v_add_co_u32 v31, vcc_lo, s44, v31
	v_add_co_ci_u32_e32 v32, vcc_lo, s45, v32, vcc_lo
	s_and_not1_b32 vcc_lo, exec_lo, s25
	global_load_b64 v[33:34], v[31:32], off
	s_cbranch_vccnz .LBB120_23
; %bb.20:                               ;   in Loop: Header=BB120_18 Depth=2
	v_dual_mov_b32 v31, 0 :: v_dual_mov_b32 v36, v24
	v_dual_mov_b32 v32, 0 :: v_dual_mov_b32 v35, v23
	;; [unrolled: 1-line block ×3, first 2 shown]
	s_mov_b64 s[0:1], s[8:9]
.LBB120_21:                             ;   Parent Loop BB120_15 Depth=1
                                        ;     Parent Loop BB120_18 Depth=2
                                        ; =>    This Inner Loop Header: Depth=3
	global_load_b64 v[43:44], v[35:36], off
	global_load_b64 v[45:46], v[37:38], off
	v_add_co_u32 v37, vcc_lo, v37, 8
	v_add_co_ci_u32_e32 v38, vcc_lo, 0, v38, vcc_lo
	v_add_co_u32 v35, vcc_lo, v35, s4
	s_add_u32 s0, s0, -1
	v_add_co_ci_u32_e32 v36, vcc_lo, s5, v36, vcc_lo
	s_addc_u32 s1, s1, -1
	s_delay_alu instid0(SALU_CYCLE_1)
	s_cmp_lg_u64 s[0:1], 0
	s_waitcnt vmcnt(0)
	v_fma_f64 v[31:32], v[43:44], v[45:46], v[31:32]
	s_cbranch_scc1 .LBB120_21
; %bb.22:                               ;   in Loop: Header=BB120_18 Depth=2
	s_branch .LBB120_26
.LBB120_23:                             ;   in Loop: Header=BB120_18 Depth=2
                                        ; implicit-def: $vgpr31_vgpr32
	s_cbranch_execz .LBB120_26
; %bb.24:                               ;   in Loop: Header=BB120_18 Depth=2
	v_dual_mov_b32 v31, 0 :: v_dual_mov_b32 v36, v30
	v_dual_mov_b32 v32, 0 :: v_dual_mov_b32 v35, v29
	;; [unrolled: 1-line block ×3, first 2 shown]
	s_mov_b64 s[0:1], s[8:9]
.LBB120_25:                             ;   Parent Loop BB120_15 Depth=1
                                        ;     Parent Loop BB120_18 Depth=2
                                        ; =>    This Inner Loop Header: Depth=3
	global_load_b64 v[43:44], v[37:38], off
	global_load_b64 v[45:46], v[35:36], off
	v_add_co_u32 v37, vcc_lo, v37, 8
	v_add_co_ci_u32_e32 v38, vcc_lo, 0, v38, vcc_lo
	v_add_co_u32 v35, vcc_lo, v35, s4
	s_add_u32 s0, s0, -1
	v_add_co_ci_u32_e32 v36, vcc_lo, s5, v36, vcc_lo
	s_addc_u32 s1, s1, -1
	s_delay_alu instid0(SALU_CYCLE_1)
	s_cmp_eq_u64 s[0:1], 0
	s_waitcnt vmcnt(0)
	v_fma_f64 v[31:32], v[43:44], v[45:46], v[31:32]
	s_cbranch_scc0 .LBB120_25
.LBB120_26:                             ;   in Loop: Header=BB120_18 Depth=2
	s_delay_alu instid0(VALU_DEP_1) | instskip(SKIP_4) | instid1(VALU_DEP_2)
	v_mul_f64 v[31:32], v[13:14], v[31:32]
	s_waitcnt vmcnt(0)
	v_sub_co_u32 v33, vcc_lo, v33, s34
	v_subrev_co_ci_u32_e32 v34, vcc_lo, 0, v34, vcc_lo
	s_mov_b32 s0, 0
	v_and_b32_e32 v10, 7, v33
	s_branch .LBB120_28
.LBB120_27:                             ;   in Loop: Header=BB120_28 Depth=3
	s_or_b32 exec_lo, exec_lo, s1
	s_xor_b32 s1, s37, -1
	s_delay_alu instid0(SALU_CYCLE_1) | instskip(NEXT) | instid1(SALU_CYCLE_1)
	s_and_b32 s1, exec_lo, s1
	s_or_b32 s0, s1, s0
	s_delay_alu instid0(SALU_CYCLE_1)
	s_and_not1_b32 exec_lo, exec_lo, s0
	s_cbranch_execz .LBB120_17
.LBB120_28:                             ;   Parent Loop BB120_15 Depth=1
                                        ;     Parent Loop BB120_18 Depth=2
                                        ; =>    This Loop Header: Depth=3
                                        ;         Child Loop BB120_34 Depth 4
                                        ;         Child Loop BB120_40 Depth 4
	s_delay_alu instid0(VALU_DEP_1)
	v_lshl_add_u32 v37, v10, 3, v39
	s_mov_b32 s1, exec_lo
                                        ; implicit-def: $sgpr37
	ds_load_b64 v[35:36], v37
	s_waitcnt lgkmcnt(0)
	v_cmpx_ne_u64_e64 v[35:36], v[33:34]
	s_xor_b32 s1, exec_lo, s1
	s_cbranch_execz .LBB120_38
; %bb.29:                               ;   in Loop: Header=BB120_28 Depth=3
	s_mov_b32 s48, exec_lo
                                        ; implicit-def: $sgpr37
	v_cmpx_ne_u64_e64 s[6:7], v[35:36]
	s_xor_b32 s48, exec_lo, s48
; %bb.30:                               ;   in Loop: Header=BB120_28 Depth=3
	v_add_nc_u32_e32 v10, 1, v10
	s_mov_b32 s37, -1
                                        ; implicit-def: $vgpr37
	s_delay_alu instid0(VALU_DEP_1)
	v_and_b32_e32 v10, 7, v10
; %bb.31:                               ;   in Loop: Header=BB120_28 Depth=3
	s_and_not1_saveexec_b32 s48, s48
	s_cbranch_execz .LBB120_37
; %bb.32:                               ;   in Loop: Header=BB120_28 Depth=3
	v_dual_mov_b32 v36, s7 :: v_dual_mov_b32 v35, s6
	s_mov_b32 s50, -1
	s_mov_b32 s49, exec_lo
	ds_cmpstore_rtn_b64 v[35:36], v37, v[33:34], v[35:36]
	s_waitcnt lgkmcnt(0)
	v_cmpx_eq_u64_e64 s[6:7], v[35:36]
	s_cbranch_execz .LBB120_36
; %bb.33:                               ;   in Loop: Header=BB120_28 Depth=3
	v_lshlrev_b32_e32 v35, 9, v10
	s_mov_b32 s50, 0
	s_delay_alu instid0(VALU_DEP_1)
	v_add_nc_u32_e32 v37, v8, v35
	ds_load_b64 v[35:36], v37
.LBB120_34:                             ;   Parent Loop BB120_15 Depth=1
                                        ;     Parent Loop BB120_18 Depth=2
                                        ;       Parent Loop BB120_28 Depth=3
                                        ; =>      This Inner Loop Header: Depth=4
	s_waitcnt lgkmcnt(0)
	v_add_f64 v[43:44], v[35:36], v[31:32]
	ds_cmpstore_rtn_b64 v[43:44], v37, v[43:44], v[35:36]
	s_waitcnt lgkmcnt(0)
	v_cmp_eq_u64_e32 vcc_lo, v[43:44], v[35:36]
	v_dual_mov_b32 v35, v43 :: v_dual_mov_b32 v36, v44
	s_or_b32 s50, vcc_lo, s50
	s_delay_alu instid0(SALU_CYCLE_1)
	s_and_not1_b32 exec_lo, exec_lo, s50
	s_cbranch_execnz .LBB120_34
; %bb.35:                               ;   in Loop: Header=BB120_28 Depth=3
	s_or_b32 exec_lo, exec_lo, s50
	s_delay_alu instid0(SALU_CYCLE_1)
	s_xor_b32 s50, exec_lo, -1
.LBB120_36:                             ;   in Loop: Header=BB120_28 Depth=3
	s_or_b32 exec_lo, exec_lo, s49
	s_delay_alu instid0(SALU_CYCLE_1) | instskip(SKIP_1) | instid1(SALU_CYCLE_1)
	s_and_not1_b32 s37, s37, exec_lo
	s_and_b32 s49, s50, exec_lo
	s_or_b32 s37, s37, s49
.LBB120_37:                             ;   in Loop: Header=BB120_28 Depth=3
	s_or_b32 exec_lo, exec_lo, s48
	s_delay_alu instid0(SALU_CYCLE_1)
	s_and_b32 s37, s37, exec_lo
.LBB120_38:                             ;   in Loop: Header=BB120_28 Depth=3
	s_and_not1_saveexec_b32 s1, s1
	s_cbranch_execz .LBB120_27
; %bb.39:                               ;   in Loop: Header=BB120_28 Depth=3
	v_lshlrev_b32_e32 v35, 9, v10
	s_mov_b32 s48, 0
	s_delay_alu instid0(VALU_DEP_1)
	v_add_nc_u32_e32 v37, v8, v35
	ds_load_b64 v[35:36], v37
.LBB120_40:                             ;   Parent Loop BB120_15 Depth=1
                                        ;     Parent Loop BB120_18 Depth=2
                                        ;       Parent Loop BB120_28 Depth=3
                                        ; =>      This Inner Loop Header: Depth=4
	s_waitcnt lgkmcnt(0)
	v_add_f64 v[43:44], v[35:36], v[31:32]
	ds_cmpstore_rtn_b64 v[43:44], v37, v[43:44], v[35:36]
	s_waitcnt lgkmcnt(0)
	v_cmp_eq_u64_e32 vcc_lo, v[43:44], v[35:36]
	v_dual_mov_b32 v35, v43 :: v_dual_mov_b32 v36, v44
	s_or_b32 s48, vcc_lo, s48
	s_delay_alu instid0(SALU_CYCLE_1)
	s_and_not1_b32 exec_lo, exec_lo, s48
	s_cbranch_execnz .LBB120_40
; %bb.41:                               ;   in Loop: Header=BB120_28 Depth=3
	s_or_b32 exec_lo, exec_lo, s48
	s_delay_alu instid0(SALU_CYCLE_1)
	s_and_not1_b32 s37, s37, exec_lo
	s_branch .LBB120_27
.LBB120_42:
	s_or_b32 exec_lo, exec_lo, s15
.LBB120_43:
	s_delay_alu instid0(SALU_CYCLE_1)
	s_and_not1_b32 vcc_lo, exec_lo, s33
	s_waitcnt lgkmcnt(0)
	s_barrier
	buffer_gl0_inv
	s_cbranch_vccnz .LBB120_65
; %bb.44:
	v_add_co_u32 v1, vcc_lo, s16, v11
	v_add_co_ci_u32_e32 v2, vcc_lo, s17, v12, vcc_lo
	s_mov_b32 s3, exec_lo
	global_load_b128 v[1:4], v[1:2], off
	s_waitcnt vmcnt(0)
	v_cmpx_lt_i64_e64 v[1:2], v[3:4]
	s_cbranch_execz .LBB120_64
; %bb.45:
	v_mad_u64_u32 v[13:14], null, v9, s8, 0
	v_mad_u64_u32 v[15:16], null, v7, s8, 0
	v_mov_b32_e32 v10, 0
	v_sub_co_u32 v3, vcc_lo, v3, s39
	v_subrev_co_ci_u32_e32 v4, vcc_lo, 0, v4, vcc_lo
	v_dual_mov_b32 v8, v14 :: v_dual_lshlrev_b32 v19, 3, v9
	v_sub_co_u32 v1, vcc_lo, v1, s39
	v_subrev_co_ci_u32_e32 v2, vcc_lo, 0, v2, vcc_lo
	s_delay_alu instid0(VALU_DEP_3)
	v_mad_u64_u32 v[17:18], null, v9, s9, v[8:9]
	v_mov_b32_e32 v8, v16
	v_cmp_gt_i64_e32 vcc_lo, s[8:9], v[9:10]
	v_and_b32_e32 v20, 56, v0
	s_cmp_eq_u32 s13, 0
	s_mov_b32 s4, 0
	s_cselect_b32 s1, -1, 0
	s_delay_alu instid0(VALU_DEP_4) | instskip(SKIP_3) | instid1(VALU_DEP_3)
	v_mov_b32_e32 v14, v17
	v_mad_u64_u32 v[16:17], null, v7, s9, v[8:9]
	v_mov_b32_e32 v8, v10
	s_add_i32 s5, s14, s12
	v_lshlrev_b64 v[13:14], 3, v[13:14]
	s_add_i32 s5, s5, s12
	s_delay_alu instid0(VALU_DEP_2) | instskip(NEXT) | instid1(VALU_DEP_2)
	v_lshlrev_b64 v[17:18], 3, v[7:8]
	v_add_co_u32 v10, s0, s20, v13
	s_delay_alu instid0(VALU_DEP_1) | instskip(SKIP_1) | instid1(VALU_DEP_3)
	v_add_co_ci_u32_e64 v21, s0, s21, v14, s0
	v_lshlrev_b64 v[13:14], 3, v[15:16]
	v_add_co_u32 v15, s0, v10, v17
	s_delay_alu instid0(VALU_DEP_1) | instskip(SKIP_1) | instid1(VALU_DEP_4)
	v_add_co_ci_u32_e64 v10, s0, v21, v18, s0
	v_lshlrev_b32_e32 v16, 3, v20
	v_add_co_u32 v13, s0, s20, v13
	s_delay_alu instid0(VALU_DEP_1) | instskip(NEXT) | instid1(VALU_DEP_2)
	v_add_co_ci_u32_e64 v14, s0, s21, v14, s0
	v_add_co_u32 v13, s0, v13, v19
	s_delay_alu instid0(VALU_DEP_1) | instskip(SKIP_2) | instid1(VALU_DEP_4)
	v_add_co_ci_u32_e64 v14, s0, 0, v14, s0
	v_cmp_gt_u64_e64 s0, s[8:9], v[7:8]
	v_add3_u32 v8, v42, v19, v16
	v_cndmask_b32_e64 v19, v15, v13, s1
	s_delay_alu instid0(VALU_DEP_4) | instskip(SKIP_1) | instid1(VALU_DEP_4)
	v_cndmask_b32_e64 v10, v10, v14, s1
	s_mov_b32 s1, s39
	s_and_b32 s0, vcc_lo, s0
	s_branch .LBB120_47
.LBB120_46:                             ;   in Loop: Header=BB120_47 Depth=1
	s_or_b32 exec_lo, exec_lo, s10
	v_add_co_u32 v1, vcc_lo, v1, 1
	v_add_co_ci_u32_e32 v2, vcc_lo, 0, v2, vcc_lo
	s_delay_alu instid0(VALU_DEP_1) | instskip(SKIP_1) | instid1(SALU_CYCLE_1)
	v_cmp_ge_i64_e32 vcc_lo, v[1:2], v[3:4]
	s_or_b32 s4, vcc_lo, s4
	s_and_not1_b32 exec_lo, exec_lo, s4
	s_cbranch_execz .LBB120_64
.LBB120_47:                             ; =>This Loop Header: Depth=1
                                        ;     Child Loop BB120_50 Depth 2
                                        ;       Child Loop BB120_56 Depth 3
                                        ;       Child Loop BB120_62 Depth 3
	s_and_saveexec_b32 s10, s0
	s_cbranch_execz .LBB120_46
; %bb.48:                               ;   in Loop: Header=BB120_47 Depth=1
	v_mul_lo_u32 v15, s5, v1
	v_mul_lo_u32 v16, s2, v2
	v_mad_u64_u32 v[13:14], null, s2, v1, 0
	s_mov_b32 s11, 0
	s_delay_alu instid0(VALU_DEP_1) | instskip(SKIP_1) | instid1(VALU_DEP_2)
	v_add3_u32 v14, v14, v16, v15
	v_lshlrev_b64 v[15:16], 3, v[1:2]
	v_lshlrev_b64 v[13:14], 3, v[13:14]
	s_delay_alu instid0(VALU_DEP_1) | instskip(NEXT) | instid1(VALU_DEP_2)
	v_add_co_u32 v13, vcc_lo, v19, v13
	v_add_co_ci_u32_e32 v14, vcc_lo, v10, v14, vcc_lo
	s_delay_alu instid0(VALU_DEP_4)
	v_add_co_u32 v15, vcc_lo, s18, v15
	v_add_co_ci_u32_e32 v16, vcc_lo, s19, v16, vcc_lo
	global_load_b64 v[13:14], v[13:14], off
	global_load_b64 v[15:16], v[15:16], off
	s_waitcnt vmcnt(1)
	v_mul_f64 v[13:14], v[5:6], v[13:14]
	s_waitcnt vmcnt(0)
	v_sub_co_u32 v15, vcc_lo, v15, s1
	v_subrev_co_ci_u32_e32 v16, vcc_lo, 0, v16, vcc_lo
	s_delay_alu instid0(VALU_DEP_2)
	v_and_b32_e32 v20, 7, v15
	s_branch .LBB120_50
.LBB120_49:                             ;   in Loop: Header=BB120_50 Depth=2
	s_or_b32 exec_lo, exec_lo, s15
	s_xor_b32 s15, s16, -1
	s_delay_alu instid0(SALU_CYCLE_1) | instskip(NEXT) | instid1(SALU_CYCLE_1)
	s_and_b32 s15, exec_lo, s15
	s_or_b32 s11, s15, s11
	s_delay_alu instid0(SALU_CYCLE_1)
	s_and_not1_b32 exec_lo, exec_lo, s11
	s_cbranch_execz .LBB120_46
.LBB120_50:                             ;   Parent Loop BB120_47 Depth=1
                                        ; =>  This Loop Header: Depth=2
                                        ;       Child Loop BB120_56 Depth 3
                                        ;       Child Loop BB120_62 Depth 3
	s_delay_alu instid0(VALU_DEP_1)
	v_lshl_add_u32 v21, v20, 3, v39
	s_mov_b32 s15, exec_lo
                                        ; implicit-def: $sgpr16
	ds_load_b64 v[17:18], v21
	s_waitcnt lgkmcnt(0)
	v_cmpx_ne_u64_e64 v[17:18], v[15:16]
	s_xor_b32 s15, exec_lo, s15
	s_cbranch_execz .LBB120_60
; %bb.51:                               ;   in Loop: Header=BB120_50 Depth=2
	s_mov_b32 s17, exec_lo
                                        ; implicit-def: $sgpr16
	v_cmpx_ne_u64_e64 s[6:7], v[17:18]
	s_xor_b32 s17, exec_lo, s17
; %bb.52:                               ;   in Loop: Header=BB120_50 Depth=2
	v_add_nc_u32_e32 v17, 1, v20
	s_mov_b32 s16, -1
                                        ; implicit-def: $vgpr21
	s_delay_alu instid0(VALU_DEP_1)
	v_and_b32_e32 v20, 7, v17
; %bb.53:                               ;   in Loop: Header=BB120_50 Depth=2
	s_and_not1_saveexec_b32 s17, s17
	s_cbranch_execz .LBB120_59
; %bb.54:                               ;   in Loop: Header=BB120_50 Depth=2
	v_dual_mov_b32 v18, s7 :: v_dual_mov_b32 v17, s6
	s_mov_b32 s21, -1
	s_mov_b32 s20, exec_lo
	ds_cmpstore_rtn_b64 v[17:18], v21, v[15:16], v[17:18]
	s_waitcnt lgkmcnt(0)
	v_cmpx_eq_u64_e64 s[6:7], v[17:18]
	s_cbranch_execz .LBB120_58
; %bb.55:                               ;   in Loop: Header=BB120_50 Depth=2
	v_lshlrev_b32_e32 v17, 9, v20
	s_mov_b32 s21, 0
	s_delay_alu instid0(VALU_DEP_1)
	v_add_nc_u32_e32 v21, v8, v17
	ds_load_b64 v[17:18], v21
.LBB120_56:                             ;   Parent Loop BB120_47 Depth=1
                                        ;     Parent Loop BB120_50 Depth=2
                                        ; =>    This Inner Loop Header: Depth=3
	s_waitcnt lgkmcnt(0)
	v_add_f64 v[22:23], v[17:18], v[13:14]
	ds_cmpstore_rtn_b64 v[22:23], v21, v[22:23], v[17:18]
	s_waitcnt lgkmcnt(0)
	v_cmp_eq_u64_e32 vcc_lo, v[22:23], v[17:18]
	v_dual_mov_b32 v17, v22 :: v_dual_mov_b32 v18, v23
	s_or_b32 s21, vcc_lo, s21
	s_delay_alu instid0(SALU_CYCLE_1)
	s_and_not1_b32 exec_lo, exec_lo, s21
	s_cbranch_execnz .LBB120_56
; %bb.57:                               ;   in Loop: Header=BB120_50 Depth=2
	s_or_b32 exec_lo, exec_lo, s21
	s_delay_alu instid0(SALU_CYCLE_1)
	s_xor_b32 s21, exec_lo, -1
.LBB120_58:                             ;   in Loop: Header=BB120_50 Depth=2
	s_or_b32 exec_lo, exec_lo, s20
	s_delay_alu instid0(SALU_CYCLE_1) | instskip(SKIP_1) | instid1(SALU_CYCLE_1)
	s_and_not1_b32 s16, s16, exec_lo
	s_and_b32 s20, s21, exec_lo
	s_or_b32 s16, s16, s20
.LBB120_59:                             ;   in Loop: Header=BB120_50 Depth=2
	s_or_b32 exec_lo, exec_lo, s17
	s_delay_alu instid0(SALU_CYCLE_1)
	s_and_b32 s16, s16, exec_lo
.LBB120_60:                             ;   in Loop: Header=BB120_50 Depth=2
	s_and_not1_saveexec_b32 s15, s15
	s_cbranch_execz .LBB120_49
; %bb.61:                               ;   in Loop: Header=BB120_50 Depth=2
	v_lshlrev_b32_e32 v17, 9, v20
	s_mov_b32 s17, 0
	s_delay_alu instid0(VALU_DEP_1)
	v_add_nc_u32_e32 v21, v8, v17
	ds_load_b64 v[17:18], v21
.LBB120_62:                             ;   Parent Loop BB120_47 Depth=1
                                        ;     Parent Loop BB120_50 Depth=2
                                        ; =>    This Inner Loop Header: Depth=3
	s_waitcnt lgkmcnt(0)
	v_add_f64 v[22:23], v[17:18], v[13:14]
	ds_cmpstore_rtn_b64 v[22:23], v21, v[22:23], v[17:18]
	s_waitcnt lgkmcnt(0)
	v_cmp_eq_u64_e32 vcc_lo, v[22:23], v[17:18]
	v_dual_mov_b32 v17, v22 :: v_dual_mov_b32 v18, v23
	s_or_b32 s17, vcc_lo, s17
	s_delay_alu instid0(SALU_CYCLE_1)
	s_and_not1_b32 exec_lo, exec_lo, s17
	s_cbranch_execnz .LBB120_62
; %bb.63:                               ;   in Loop: Header=BB120_50 Depth=2
	s_or_b32 exec_lo, exec_lo, s17
	s_delay_alu instid0(SALU_CYCLE_1)
	s_and_not1_b32 s16, s16, exec_lo
	s_branch .LBB120_49
.LBB120_64:
	s_or_b32 exec_lo, exec_lo, s3
.LBB120_65:
	v_add_co_u32 v1, vcc_lo, s22, v11
	v_add_co_ci_u32_e32 v2, vcc_lo, s23, v12, vcc_lo
	s_barrier
	buffer_gl0_inv
	global_load_b64 v[1:2], v[1:2], off
	v_mad_u64_u32 v[3:4], null, v7, s8, 0
	s_cmp_eq_u32 s13, 0
	v_and_b32_e32 v0, 56, v0
	s_cselect_b32 vcc_lo, -1, 0
	v_mov_b32_e32 v10, 0
	s_add_i32 s3, s14, s12
	s_delay_alu instid0(VALU_DEP_3) | instskip(SKIP_2) | instid1(VALU_DEP_1)
	v_mad_u64_u32 v[5:6], null, v7, s9, v[4:5]
	v_lshlrev_b32_e32 v6, 3, v9
	s_add_i32 s3, s3, s12
	v_cndmask_b32_e32 v0, v6, v0, vcc_lo
	s_delay_alu instid0(VALU_DEP_3) | instskip(SKIP_3) | instid1(VALU_DEP_4)
	v_dual_mov_b32 v4, v5 :: v_dual_cndmask_b32 v5, v7, v9
	v_mov_b32_e32 v8, v10
	v_cmp_gt_i64_e32 vcc_lo, s[8:9], v[9:10]
	v_lshl_or_b32 v9, v40, 6, 0x4000
	v_lshlrev_b64 v[3:4], 3, v[3:4]
	v_or_b32_e32 v0, v5, v0
	v_cmp_gt_u64_e64 s0, s[8:9], v[7:8]
	s_delay_alu instid0(VALU_DEP_3) | instskip(NEXT) | instid1(VALU_DEP_1)
	v_add_co_u32 v3, s1, s42, v3
	v_add_co_ci_u32_e64 v7, s1, s43, v4, s1
	s_delay_alu instid0(VALU_DEP_4) | instskip(NEXT) | instid1(VALU_DEP_3)
	v_lshl_add_u32 v4, v0, 3, v41
	v_add_co_u32 v5, s1, v3, v6
	s_delay_alu instid0(VALU_DEP_1) | instskip(SKIP_3) | instid1(VALU_DEP_1)
	v_add_co_ci_u32_e64 v6, s1, 0, v7, s1
	s_and_b32 s0, vcc_lo, s0
	s_waitcnt vmcnt(0)
	v_sub_co_u32 v7, s1, v1, s38
	v_subrev_co_ci_u32_e64 v8, s1, 0, v2, s1
	s_mov_b32 s1, 0
	s_branch .LBB120_67
.LBB120_66:                             ;   in Loop: Header=BB120_67 Depth=1
	s_or_b32 exec_lo, exec_lo, s4
	v_add_nc_u32_e32 v4, 0x200, v4
	s_add_i32 s1, s1, 8
	s_delay_alu instid0(SALU_CYCLE_1)
	s_cmp_lg_u32 s1, 64
	s_cbranch_scc0 .LBB120_70
.LBB120_67:                             ; =>This Inner Loop Header: Depth=1
	v_add_nc_u32_e32 v0, s1, v9
	s_mov_b32 s4, exec_lo
	ds_load_b64 v[0:1], v0
	s_waitcnt lgkmcnt(0)
	v_cmpx_gt_i64_e64 s[6:7], v[0:1]
	s_cbranch_execz .LBB120_66
; %bb.68:                               ;   in Loop: Header=BB120_67 Depth=1
	ds_load_b128 v[10:13], v39
	ds_load_b128 v[14:17], v39 offset:16
	ds_load_b128 v[18:21], v39 offset:32
	;; [unrolled: 1-line block ×3, first 2 shown]
	s_waitcnt lgkmcnt(3)
	v_cmp_gt_i64_e32 vcc_lo, v[0:1], v[10:11]
	v_cndmask_b32_e64 v2, 0, 1, vcc_lo
	v_cmp_gt_i64_e32 vcc_lo, v[0:1], v[12:13]
	v_cndmask_b32_e64 v3, 0, 1, vcc_lo
	s_delay_alu instid0(VALU_DEP_3)
	v_add_co_u32 v2, vcc_lo, v7, v2
	v_add_co_ci_u32_e32 v10, vcc_lo, 0, v8, vcc_lo
	s_waitcnt lgkmcnt(2)
	v_cmp_gt_i64_e32 vcc_lo, v[0:1], v[14:15]
	v_cndmask_b32_e64 v11, 0, 1, vcc_lo
	v_add_co_u32 v2, vcc_lo, v2, v3
	v_add_co_ci_u32_e32 v3, vcc_lo, 0, v10, vcc_lo
	v_cmp_gt_i64_e32 vcc_lo, v[0:1], v[16:17]
	v_cndmask_b32_e64 v10, 0, 1, vcc_lo
	s_delay_alu instid0(VALU_DEP_4) | instskip(NEXT) | instid1(VALU_DEP_4)
	v_add_co_u32 v2, vcc_lo, v2, v11
	v_add_co_ci_u32_e32 v3, vcc_lo, 0, v3, vcc_lo
	s_waitcnt lgkmcnt(1)
	v_cmp_gt_i64_e32 vcc_lo, v[0:1], v[18:19]
	v_cndmask_b32_e64 v11, 0, 1, vcc_lo
	v_add_co_u32 v2, vcc_lo, v2, v10
	v_add_co_ci_u32_e32 v3, vcc_lo, 0, v3, vcc_lo
	v_cmp_gt_i64_e32 vcc_lo, v[0:1], v[20:21]
	v_cndmask_b32_e64 v10, 0, 1, vcc_lo
	s_delay_alu instid0(VALU_DEP_4) | instskip(NEXT) | instid1(VALU_DEP_4)
	;; [unrolled: 10-line block ×3, first 2 shown]
	v_add_co_u32 v2, vcc_lo, v2, v11
	v_add_co_ci_u32_e32 v3, vcc_lo, 0, v3, vcc_lo
	s_delay_alu instid0(VALU_DEP_2) | instskip(NEXT) | instid1(VALU_DEP_2)
	v_add_co_u32 v2, vcc_lo, v2, v10
	v_add_co_ci_u32_e32 v3, vcc_lo, 0, v3, vcc_lo
	v_add_co_u32 v0, vcc_lo, v0, s38
	v_add_co_ci_u32_e32 v1, vcc_lo, 0, v1, vcc_lo
	s_delay_alu instid0(VALU_DEP_3) | instskip(NEXT) | instid1(VALU_DEP_1)
	v_lshlrev_b64 v[10:11], 3, v[2:3]
	v_add_co_u32 v10, vcc_lo, s40, v10
	s_delay_alu instid0(VALU_DEP_2)
	v_add_co_ci_u32_e32 v11, vcc_lo, s41, v11, vcc_lo
	global_store_b64 v[10:11], v[0:1], off
	s_and_b32 exec_lo, exec_lo, s0
	s_cbranch_execz .LBB120_66
; %bb.69:                               ;   in Loop: Header=BB120_67 Depth=1
	v_mul_lo_u32 v10, s3, v2
	v_mul_lo_u32 v11, s2, v3
	v_mad_u64_u32 v[0:1], null, s2, v2, 0
	ds_load_b64 v[2:3], v4
	v_add3_u32 v1, v1, v11, v10
	s_delay_alu instid0(VALU_DEP_1) | instskip(NEXT) | instid1(VALU_DEP_1)
	v_lshlrev_b64 v[0:1], 3, v[0:1]
	v_add_co_u32 v0, vcc_lo, v5, v0
	s_delay_alu instid0(VALU_DEP_2)
	v_add_co_ci_u32_e32 v1, vcc_lo, v6, v1, vcc_lo
	s_waitcnt lgkmcnt(0)
	global_store_b64 v[0:1], v[2:3], off
	s_branch .LBB120_66
.LBB120_70:
	s_nop 0
	s_sendmsg sendmsg(MSG_DEALLOC_VGPRS)
	s_endpgm
	.section	.rodata,"a",@progbits
	.p2align	6, 0x0
	.amdhsa_kernel _ZN9rocsparseL23bsrgemm_fill_wf_per_rowILj256ELj64ELj8ELj137ELj8ElldEEv20rocsparse_direction_T5_S2_S2_PKS2_S4_NS_24const_host_device_scalarIT6_EEPKT4_S4_PKS6_SA_S4_SC_S7_SA_S4_SC_SA_PS2_PS6_21rocsparse_index_base_SF_SF_SF_bbb
		.amdhsa_group_segment_fixed_size 16640
		.amdhsa_private_segment_fixed_size 0
		.amdhsa_kernarg_size 180
		.amdhsa_user_sgpr_count 15
		.amdhsa_user_sgpr_dispatch_ptr 0
		.amdhsa_user_sgpr_queue_ptr 0
		.amdhsa_user_sgpr_kernarg_segment_ptr 1
		.amdhsa_user_sgpr_dispatch_id 0
		.amdhsa_user_sgpr_private_segment_size 0
		.amdhsa_wavefront_size32 1
		.amdhsa_uses_dynamic_stack 0
		.amdhsa_enable_private_segment 0
		.amdhsa_system_sgpr_workgroup_id_x 1
		.amdhsa_system_sgpr_workgroup_id_y 0
		.amdhsa_system_sgpr_workgroup_id_z 0
		.amdhsa_system_sgpr_workgroup_info 0
		.amdhsa_system_vgpr_workitem_id 0
		.amdhsa_next_free_vgpr 47
		.amdhsa_next_free_sgpr 51
		.amdhsa_reserve_vcc 1
		.amdhsa_float_round_mode_32 0
		.amdhsa_float_round_mode_16_64 0
		.amdhsa_float_denorm_mode_32 3
		.amdhsa_float_denorm_mode_16_64 3
		.amdhsa_dx10_clamp 1
		.amdhsa_ieee_mode 1
		.amdhsa_fp16_overflow 0
		.amdhsa_workgroup_processor_mode 1
		.amdhsa_memory_ordered 1
		.amdhsa_forward_progress 0
		.amdhsa_shared_vgpr_count 0
		.amdhsa_exception_fp_ieee_invalid_op 0
		.amdhsa_exception_fp_denorm_src 0
		.amdhsa_exception_fp_ieee_div_zero 0
		.amdhsa_exception_fp_ieee_overflow 0
		.amdhsa_exception_fp_ieee_underflow 0
		.amdhsa_exception_fp_ieee_inexact 0
		.amdhsa_exception_int_div_zero 0
	.end_amdhsa_kernel
	.section	.text._ZN9rocsparseL23bsrgemm_fill_wf_per_rowILj256ELj64ELj8ELj137ELj8ElldEEv20rocsparse_direction_T5_S2_S2_PKS2_S4_NS_24const_host_device_scalarIT6_EEPKT4_S4_PKS6_SA_S4_SC_S7_SA_S4_SC_SA_PS2_PS6_21rocsparse_index_base_SF_SF_SF_bbb,"axG",@progbits,_ZN9rocsparseL23bsrgemm_fill_wf_per_rowILj256ELj64ELj8ELj137ELj8ElldEEv20rocsparse_direction_T5_S2_S2_PKS2_S4_NS_24const_host_device_scalarIT6_EEPKT4_S4_PKS6_SA_S4_SC_S7_SA_S4_SC_SA_PS2_PS6_21rocsparse_index_base_SF_SF_SF_bbb,comdat
.Lfunc_end120:
	.size	_ZN9rocsparseL23bsrgemm_fill_wf_per_rowILj256ELj64ELj8ELj137ELj8ElldEEv20rocsparse_direction_T5_S2_S2_PKS2_S4_NS_24const_host_device_scalarIT6_EEPKT4_S4_PKS6_SA_S4_SC_S7_SA_S4_SC_SA_PS2_PS6_21rocsparse_index_base_SF_SF_SF_bbb, .Lfunc_end120-_ZN9rocsparseL23bsrgemm_fill_wf_per_rowILj256ELj64ELj8ELj137ELj8ElldEEv20rocsparse_direction_T5_S2_S2_PKS2_S4_NS_24const_host_device_scalarIT6_EEPKT4_S4_PKS6_SA_S4_SC_S7_SA_S4_SC_SA_PS2_PS6_21rocsparse_index_base_SF_SF_SF_bbb
                                        ; -- End function
	.section	.AMDGPU.csdata,"",@progbits
; Kernel info:
; codeLenInByte = 3568
; NumSgprs: 53
; NumVgprs: 47
; ScratchSize: 0
; MemoryBound: 0
; FloatMode: 240
; IeeeMode: 1
; LDSByteSize: 16640 bytes/workgroup (compile time only)
; SGPRBlocks: 6
; VGPRBlocks: 5
; NumSGPRsForWavesPerEU: 53
; NumVGPRsForWavesPerEU: 47
; Occupancy: 14
; WaveLimiterHint : 1
; COMPUTE_PGM_RSRC2:SCRATCH_EN: 0
; COMPUTE_PGM_RSRC2:USER_SGPR: 15
; COMPUTE_PGM_RSRC2:TRAP_HANDLER: 0
; COMPUTE_PGM_RSRC2:TGID_X_EN: 1
; COMPUTE_PGM_RSRC2:TGID_Y_EN: 0
; COMPUTE_PGM_RSRC2:TGID_Z_EN: 0
; COMPUTE_PGM_RSRC2:TIDIG_COMP_CNT: 0
	.section	.text._ZN9rocsparseL38bsrgemm_block_per_row_atomic_multipassILj256ELj16ELj8ElldEEv20rocsparse_direction_T3_S2_PKS2_S4_NS_24const_host_device_scalarIT4_EEPKT2_S4_PKS6_SA_S4_SC_S7_SA_S4_SC_SA_PS2_PS6_PS8_21rocsparse_index_base_SG_SG_SG_bbb,"axG",@progbits,_ZN9rocsparseL38bsrgemm_block_per_row_atomic_multipassILj256ELj16ELj8ElldEEv20rocsparse_direction_T3_S2_PKS2_S4_NS_24const_host_device_scalarIT4_EEPKT2_S4_PKS6_SA_S4_SC_S7_SA_S4_SC_SA_PS2_PS6_PS8_21rocsparse_index_base_SG_SG_SG_bbb,comdat
	.globl	_ZN9rocsparseL38bsrgemm_block_per_row_atomic_multipassILj256ELj16ELj8ElldEEv20rocsparse_direction_T3_S2_PKS2_S4_NS_24const_host_device_scalarIT4_EEPKT2_S4_PKS6_SA_S4_SC_S7_SA_S4_SC_SA_PS2_PS6_PS8_21rocsparse_index_base_SG_SG_SG_bbb ; -- Begin function _ZN9rocsparseL38bsrgemm_block_per_row_atomic_multipassILj256ELj16ELj8ElldEEv20rocsparse_direction_T3_S2_PKS2_S4_NS_24const_host_device_scalarIT4_EEPKT2_S4_PKS6_SA_S4_SC_S7_SA_S4_SC_SA_PS2_PS6_PS8_21rocsparse_index_base_SG_SG_SG_bbb
	.p2align	8
	.type	_ZN9rocsparseL38bsrgemm_block_per_row_atomic_multipassILj256ELj16ELj8ElldEEv20rocsparse_direction_T3_S2_PKS2_S4_NS_24const_host_device_scalarIT4_EEPKT2_S4_PKS6_SA_S4_SC_S7_SA_S4_SC_SA_PS2_PS6_PS8_21rocsparse_index_base_SG_SG_SG_bbb,@function
_ZN9rocsparseL38bsrgemm_block_per_row_atomic_multipassILj256ELj16ELj8ElldEEv20rocsparse_direction_T3_S2_PKS2_S4_NS_24const_host_device_scalarIT4_EEPKT2_S4_PKS6_SA_S4_SC_S7_SA_S4_SC_SA_PS2_PS6_PS8_21rocsparse_index_base_SG_SG_SG_bbb: ; @_ZN9rocsparseL38bsrgemm_block_per_row_atomic_multipassILj256ELj16ELj8ElldEEv20rocsparse_direction_T3_S2_PKS2_S4_NS_24const_host_device_scalarIT4_EEPKT2_S4_PKS6_SA_S4_SC_S7_SA_S4_SC_SA_PS2_PS6_PS8_21rocsparse_index_base_SG_SG_SG_bbb
; %bb.0:
	s_clause 0x3
	s_load_b32 s3, s[0:1], 0xb0
	s_load_b64 s[6:7], s[0:1], 0x28
	s_load_b128 s[24:27], s[0:1], 0xa0
	s_load_b64 s[4:5], s[0:1], 0x60
	s_mov_b32 s2, s15
	s_waitcnt lgkmcnt(0)
	s_and_b32 s9, 1, s3
	s_bitcmp1_b32 s3, 16
	s_cselect_b32 s8, -1, 0
	s_cmp_eq_u32 s9, 1
	s_cselect_b32 s51, -1, 0
	s_delay_alu instid0(SALU_CYCLE_1)
	s_and_b32 s9, s51, exec_lo
	s_cselect_b32 s11, s7, 0
	s_cselect_b32 s10, s6, 0
	s_xor_b32 s9, s51, -1
	v_dual_mov_b32 v1, s10 :: v_dual_mov_b32 v2, s11
	s_or_b32 s9, s9, s8
	s_delay_alu instid0(SALU_CYCLE_1)
	s_and_b32 vcc_lo, exec_lo, s9
	s_cbranch_vccnz .LBB121_2
; %bb.1:
	v_dual_mov_b32 v1, s6 :: v_dual_mov_b32 v2, s7
	flat_load_b64 v[1:2], v[1:2]
.LBB121_2:
	s_load_b64 s[6:7], s[0:1], 0x20
	s_bitcmp1_b32 s3, 8
	s_cselect_b32 s33, -1, 0
	s_delay_alu instid0(SALU_CYCLE_1)
	s_and_b32 s3, s33, exec_lo
	s_cselect_b32 s11, s5, 0
	s_cselect_b32 s10, s4, 0
	s_xor_b32 s3, s33, -1
	v_dual_mov_b32 v3, s10 :: v_dual_mov_b32 v4, s11
	s_or_b32 s3, s3, s8
	s_delay_alu instid0(SALU_CYCLE_1)
	s_and_b32 vcc_lo, exec_lo, s3
	s_cbranch_vccnz .LBB121_4
; %bb.3:
	v_dual_mov_b32 v3, s4 :: v_dual_mov_b32 v4, s5
	flat_load_b64 v[3:4], v[3:4]
.LBB121_4:
	s_load_b64 s[4:5], s[0:1], 0x30
	s_mov_b64 s[34:35], 0
	s_waitcnt lgkmcnt(0)
	s_cmp_eq_u64 s[6:7], 0
	s_mov_b32 s3, 0
	s_cbranch_scc1 .LBB121_6
; %bb.5:
	s_load_b64 s[8:9], s[0:1], 0x18
	s_waitcnt lgkmcnt(0)
	s_load_b64 s[8:9], s[8:9], 0x0
	s_waitcnt lgkmcnt(0)
	s_lshl_b64 s[8:9], s[8:9], 3
	s_delay_alu instid0(SALU_CYCLE_1) | instskip(SKIP_2) | instid1(SALU_CYCLE_1)
	s_add_u32 s6, s6, s8
	s_addc_u32 s7, s7, s9
	s_lshl_b64 s[2:3], s[2:3], 3
	s_add_u32 s2, s6, s2
	s_addc_u32 s3, s7, s3
	s_load_b64 s[2:3], s[2:3], 0x0
.LBB121_6:
	s_and_not1_b32 vcc_lo, exec_lo, s51
	s_cbranch_vccz .LBB121_9
; %bb.7:
	s_and_not1_b32 vcc_lo, exec_lo, s51
	s_mov_b64 s[40:41], 0
	s_cbranch_vccz .LBB121_10
.LBB121_8:
	s_load_b128 s[28:31], s[0:1], 0x8
	s_waitcnt lgkmcnt(0)
	v_cmp_lt_i64_e64 s4, s[28:29], 1
	s_delay_alu instid0(VALU_DEP_1)
	s_and_b32 vcc_lo, exec_lo, s4
	s_cbranch_vccz .LBB121_11
	s_branch .LBB121_90
.LBB121_9:
	s_waitcnt lgkmcnt(0)
	s_lshl_b64 s[6:7], s[2:3], 3
	s_delay_alu instid0(SALU_CYCLE_1)
	s_add_u32 s6, s4, s6
	s_addc_u32 s7, s5, s7
	s_load_b64 s[6:7], s[6:7], 0x0
	s_waitcnt lgkmcnt(0)
	s_sub_u32 s34, s6, s24
	s_subb_u32 s35, s7, 0
	s_and_not1_b32 vcc_lo, exec_lo, s51
	s_mov_b64 s[40:41], 0
	s_cbranch_vccnz .LBB121_8
.LBB121_10:
	s_waitcnt lgkmcnt(0)
	s_lshl_b64 s[6:7], s[2:3], 3
	s_delay_alu instid0(SALU_CYCLE_1)
	s_add_u32 s4, s4, s6
	s_addc_u32 s5, s5, s7
	s_load_b64 s[4:5], s[4:5], 0x8
	s_waitcnt lgkmcnt(0)
	s_sub_u32 s40, s4, s24
	s_subb_u32 s41, s5, 0
	s_load_b128 s[28:31], s[0:1], 0x8
	s_waitcnt lgkmcnt(0)
	v_cmp_lt_i64_e64 s4, s[28:29], 1
	s_delay_alu instid0(VALU_DEP_1)
	s_and_b32 vcc_lo, exec_lo, s4
	s_cbranch_vccnz .LBB121_90
.LBB121_11:
	s_clause 0x4
	s_load_b256 s[8:15], s[0:1], 0x68
	s_load_b64 s[42:43], s[0:1], 0x98
	s_load_b128 s[36:39], s[0:1], 0x88
	s_load_b64 s[44:45], s[0:1], 0x58
	s_load_b256 s[16:23], s[0:1], 0x38
	v_bfe_u32 v11, v0, 3, 3
	v_dual_mov_b32 v6, 0 :: v_dual_and_b32 v7, 7, v0
	s_lshl_b64 s[52:53], s[2:3], 3
	v_lshrrev_b32_e32 v5, 6, v0
	s_delay_alu instid0(VALU_DEP_3)
	v_mad_u64_u32 v[9:10], null, v11, s30, 0
	v_and_b32_e32 v19, 63, v0
	v_mad_u64_u32 v[13:14], null, v7, s30, 0
	v_mov_b32_e32 v12, v6
	s_mul_i32 s4, s30, s31
	s_mul_hi_u32 s7, s30, s30
	s_delay_alu instid0(VALU_DEP_4)
	v_mov_b32_e32 v8, v10
	s_load_b32 s5, s[0:1], 0x0
	s_waitcnt lgkmcnt(0)
	s_add_u32 s2, s14, s52
	s_addc_u32 s3, s15, s53
	v_lshlrev_b32_e32 v39, 3, v0
	s_load_b64 s[2:3], s[2:3], 0x0
	v_mad_u64_u32 v[15:16], null, v11, s31, v[8:9]
	v_mov_b32_e32 v8, v14
	v_cmp_lt_i64_e64 s6, s[34:35], s[40:41]
	v_and_b32_e32 v42, 56, v0
	s_mov_b32 s50, s27
	v_cmp_gt_u32_e64 s0, 16, v0
	v_mad_u64_u32 v[16:17], null, v7, s31, v[8:9]
	v_mov_b32_e32 v10, v15
	v_mov_b32_e32 v8, v6
	v_cmp_eq_u32_e64 s1, 0, v0
	v_or_b32_e32 v40, 0x2000, v39
	v_lshl_or_b32 v47, v0, 2, 0x2800
	v_lshlrev_b64 v[17:18], 3, v[9:10]
	v_dual_mov_b32 v14, v16 :: v_dual_lshlrev_b32 v9, 3, v7
	v_cmp_gt_u64_e32 vcc_lo, s[30:31], v[11:12]
	v_mov_b32_e32 v10, v6
	s_waitcnt lgkmcnt(0)
	s_sub_u32 s46, s2, s26
	v_add_co_u32 v15, s2, s18, v17
	s_subb_u32 s47, s3, 0
	s_add_i32 s3, s7, s4
	v_add_co_ci_u32_e64 v16, s2, s19, v18, s2
	s_add_i32 s15, s3, s4
	v_cmp_gt_i64_e64 s3, s[30:31], v[7:8]
	v_cmp_gt_i64_e64 s2, s[30:31], v[11:12]
	v_lshlrev_b64 v[13:14], 3, v[13:14]
	v_add_co_u32 v8, s4, v15, v9
	v_lshlrev_b64 v[11:12], 3, v[11:12]
	v_add_co_ci_u32_e64 v41, s4, 0, v16, s4
	s_and_b32 s48, s3, s2
	s_delay_alu instid0(VALU_DEP_4) | instskip(NEXT) | instid1(VALU_DEP_1)
	v_add_co_u32 v15, s2, s38, v13
	v_add_co_ci_u32_e64 v16, s2, s39, v14, s2
	v_add_co_u32 v20, s2, s38, v17
	s_delay_alu instid0(VALU_DEP_1) | instskip(NEXT) | instid1(VALU_DEP_4)
	v_add_co_ci_u32_e64 v21, s2, s39, v18, s2
	v_add_co_u32 v15, s2, v15, v11
	s_delay_alu instid0(VALU_DEP_1) | instskip(NEXT) | instid1(VALU_DEP_4)
	v_add_co_ci_u32_e64 v16, s2, v16, v12, s2
	v_add_co_u32 v20, s2, v20, v9
	s_delay_alu instid0(VALU_DEP_1) | instskip(SKIP_1) | instid1(VALU_DEP_1)
	v_add_co_ci_u32_e64 v21, s2, 0, v21, s2
	v_add_co_u32 v13, s2, s12, v13
	v_add_co_ci_u32_e64 v14, s2, s13, v14, s2
	v_sub_co_u32 v43, s2, v5, s27
	s_delay_alu instid0(VALU_DEP_1) | instskip(NEXT) | instid1(VALU_DEP_4)
	v_sub_co_ci_u32_e64 v44, null, 0, 0, s2
	v_add_co_u32 v11, s2, v13, v11
	s_delay_alu instid0(VALU_DEP_1) | instskip(SKIP_1) | instid1(VALU_DEP_1)
	v_add_co_ci_u32_e64 v12, s2, v14, v12, s2
	v_add_co_u32 v14, s2, s12, v17
	v_add_co_ci_u32_e64 v17, s2, s13, v18, s2
	s_cmp_eq_u32 s5, 0
	s_delay_alu instid0(VALU_DEP_2) | instskip(SKIP_3) | instid1(VALU_DEP_3)
	v_add_co_u32 v14, s2, v14, v9
	v_and_b32_e32 v13, 15, v0
	s_cselect_b32 s7, -1, 0
	v_add_co_ci_u32_e64 v17, s2, 0, v17, s2
	v_cndmask_b32_e64 v54, v11, v14, s7
	v_lshlrev_b32_e32 v11, 9, v5
	v_lshlrev_b32_e32 v18, 2, v13
	v_add_co_u32 v22, s27, v13, -1
	s_cmp_lg_u32 s5, 0
	v_cmp_eq_u32_e64 s2, 63, v19
	s_cselect_b32 s49, -1, 0
	s_add_u32 s18, s8, s52
	v_cndmask_b32_e64 v51, v16, v21, s7
	v_cndmask_b32_e64 v52, v15, v20, s7
	;; [unrolled: 1-line block ×3, first 2 shown]
	s_movk_i32 s7, 0x7c0
	v_mov_b32_e32 v19, 16
	v_or3_b32 v55, v11, v42, 0x2000
	v_add_co_u32 v11, s8, s44, v9
	s_addc_u32 s19, s9, s53
	s_and_b32 s51, s51, s6
	s_and_b32 s52, s3, vcc_lo
	v_cmp_ne_u32_e64 s3, 0, v13
	v_cmp_lt_u32_e64 s4, 1, v13
	v_cmp_lt_u32_e64 s5, 3, v13
	v_cmp_lt_u32_e64 s6, 7, v13
	v_mov_b32_e32 v13, s46
	v_or_b32_e32 v45, 0x2800, v18
	v_dual_mov_b32 v15, v6 :: v_dual_add_nc_u32 v48, 0x27f8, v18
	v_add_nc_u32_e32 v49, 0x27f0, v18
	v_dual_mov_b32 v17, 0 :: v_dual_add_nc_u32 v50, 0x27e0, v18
	v_lshl_add_u32 v46, v22, 2, 0x2800
	s_add_u32 s53, s20, 8
	v_or_b32_e32 v0, 0xffffff00, v0
	v_add_co_ci_u32_e64 v12, null, s45, 0, s8
	v_and_or_b32 v56, v39, s7, 0x2000
	v_lshl_or_b32 v57, v5, 2, 0x2800
	v_mov_b32_e32 v18, 0
	v_mov_b32_e32 v20, 0
	;; [unrolled: 1-line block ×5, first 2 shown]
	s_mul_i32 s14, s30, s30
	s_addc_u32 s54, s21, 0
	s_add_u32 s55, s36, -8
	s_addc_u32 s56, s37, -1
	s_lshl_b64 s[12:13], s[30:31], 3
	s_lshl_b64 s[36:37], s[14:15], 3
	s_branch .LBB121_13
.LBB121_12:                             ;   in Loop: Header=BB121_13 Depth=1
	s_or_b32 exec_lo, exec_lo, s7
	s_waitcnt_vscnt null, 0x0
	s_barrier
	buffer_gl0_inv
	ds_load_b64 v[17:18], v6 offset:10304
	v_ashrrev_i32_e32 v20, 31, v19
	v_add_co_u32 v13, vcc_lo, v13, v19
	s_waitcnt lgkmcnt(0)
	s_barrier
	s_delay_alu instid0(VALU_DEP_2) | instskip(SKIP_3) | instid1(VALU_DEP_1)
	v_add_co_ci_u32_e32 v14, vcc_lo, v14, v20, vcc_lo
	buffer_gl0_inv
	v_cmp_le_i64_e32 vcc_lo, s[28:29], v[17:18]
	v_add_co_u32 v19, s7, v17, 16
	v_add_co_ci_u32_e64 v20, s7, 0, v18, s7
	s_cbranch_vccnz .LBB121_90
.LBB121_13:                             ; =>This Loop Header: Depth=1
                                        ;     Child Loop BB121_16 Depth 2
                                        ;     Child Loop BB121_22 Depth 2
                                        ;       Child Loop BB121_36 Depth 3
                                        ;         Child Loop BB121_48 Depth 4
                                        ;         Child Loop BB121_44 Depth 4
	;; [unrolled: 1-line block ×3, first 2 shown]
                                        ;     Child Loop BB121_60 Depth 2
                                        ;       Child Loop BB121_65 Depth 3
                                        ;     Child Loop BB121_70 Depth 2
                                        ;     Child Loop BB121_87 Depth 2
	s_and_saveexec_b32 s7, s0
	s_cbranch_execz .LBB121_15
; %bb.14:                               ;   in Loop: Header=BB121_13 Depth=1
	ds_store_b32 v47, v6
.LBB121_15:                             ;   in Loop: Header=BB121_13 Depth=1
	s_or_b32 exec_lo, exec_lo, s7
	v_dual_mov_b32 v21, v39 :: v_dual_mov_b32 v22, v0
	s_mov_b32 s7, 0
.LBB121_16:                             ;   Parent Loop BB121_13 Depth=1
                                        ; =>  This Inner Loop Header: Depth=2
	s_delay_alu instid0(VALU_DEP_1) | instskip(SKIP_4) | instid1(SALU_CYCLE_1)
	v_add_nc_u32_e32 v22, 0x100, v22
	ds_store_b64 v21, v[15:16]
	v_add_nc_u32_e32 v21, 0x800, v21
	v_cmp_lt_u32_e32 vcc_lo, 0x2ff, v22
	s_or_b32 s7, vcc_lo, s7
	s_and_not1_b32 exec_lo, exec_lo, s7
	s_cbranch_execnz .LBB121_16
; %bb.17:                               ;   in Loop: Header=BB121_13 Depth=1
	s_or_b32 exec_lo, exec_lo, s7
	s_and_saveexec_b32 s7, s1
	s_cbranch_execz .LBB121_19
; %bb.18:                               ;   in Loop: Header=BB121_13 Depth=1
	v_dual_mov_b32 v21, s28 :: v_dual_mov_b32 v22, s29
	ds_store_b64 v6, v[21:22] offset:10304
.LBB121_19:                             ;   in Loop: Header=BB121_13 Depth=1
	s_or_b32 exec_lo, exec_lo, s7
	v_dual_mov_b32 v21, s28 :: v_dual_mov_b32 v22, s29
	s_and_not1_b32 vcc_lo, exec_lo, s51
	s_waitcnt vmcnt(0) lgkmcnt(0)
	s_barrier
	buffer_gl0_inv
	s_cbranch_vccnz .LBB121_55
; %bb.20:                               ;   in Loop: Header=BB121_13 Depth=1
	v_cmp_ne_u64_e64 s7, 0, v[17:18]
	v_dual_mov_b32 v21, s28 :: v_dual_mov_b32 v22, s29
	s_mov_b64 s[38:39], s[34:35]
	s_branch .LBB121_22
.LBB121_21:                             ;   in Loop: Header=BB121_22 Depth=2
	s_or_b32 exec_lo, exec_lo, s9
	s_add_u32 s38, s38, 4
	s_addc_u32 s39, s39, 0
	s_delay_alu instid0(SALU_CYCLE_1) | instskip(NEXT) | instid1(VALU_DEP_1)
	v_cmp_lt_i64_e64 s8, s[38:39], s[40:41]
	s_and_b32 vcc_lo, exec_lo, s8
	s_cbranch_vccz .LBB121_55
.LBB121_22:                             ;   Parent Loop BB121_13 Depth=1
                                        ; =>  This Loop Header: Depth=2
                                        ;       Child Loop BB121_36 Depth 3
                                        ;         Child Loop BB121_48 Depth 4
                                        ;         Child Loop BB121_44 Depth 4
	;; [unrolled: 1-line block ×3, first 2 shown]
	v_add_co_u32 v23, s8, s38, v5
	s_delay_alu instid0(VALU_DEP_1) | instskip(NEXT) | instid1(VALU_DEP_1)
	v_add_co_ci_u32_e64 v24, null, s39, 0, s8
	s_waitcnt_vscnt null, 0x0
	s_barrier
	buffer_gl0_inv
	v_cmp_gt_i64_e64 s8, s[40:41], v[23:24]
	s_delay_alu instid0(VALU_DEP_1)
	s_and_saveexec_b32 s9, s8
	s_cbranch_execz .LBB121_26
; %bb.23:                               ;   in Loop: Header=BB121_22 Depth=2
	v_mov_b32_e32 v25, 0
	v_mov_b32_e32 v26, 0
	s_and_saveexec_b32 s46, s52
	s_cbranch_execz .LBB121_25
; %bb.24:                               ;   in Loop: Header=BB121_22 Depth=2
	v_mul_lo_u32 v27, v24, s14
	v_mul_lo_u32 v28, v23, s15
	v_mad_u64_u32 v[25:26], null, v23, s14, 0
	s_delay_alu instid0(VALU_DEP_1) | instskip(NEXT) | instid1(VALU_DEP_1)
	v_add3_u32 v26, v26, v28, v27
	v_lshlrev_b64 v[25:26], 3, v[25:26]
	s_delay_alu instid0(VALU_DEP_1) | instskip(NEXT) | instid1(VALU_DEP_2)
	v_add_co_u32 v25, vcc_lo, v8, v25
	v_add_co_ci_u32_e32 v26, vcc_lo, v41, v26, vcc_lo
	global_load_b64 v[25:26], v[25:26], off
.LBB121_25:                             ;   in Loop: Header=BB121_22 Depth=2
	s_or_b32 exec_lo, exec_lo, s46
	s_waitcnt vmcnt(0)
	ds_store_b64 v40, v[25:26]
.LBB121_26:                             ;   in Loop: Header=BB121_22 Depth=2
	s_or_b32 exec_lo, exec_lo, s9
	v_mov_b32_e32 v25, 0
	v_lshlrev_b64 v[23:24], 3, v[23:24]
	v_mov_b32_e32 v26, 0
	s_waitcnt lgkmcnt(0)
	s_barrier
	buffer_gl0_inv
	s_and_saveexec_b32 s57, s8
	s_cbranch_execz .LBB121_53
; %bb.27:                               ;   in Loop: Header=BB121_22 Depth=2
	v_add_co_u32 v25, vcc_lo, s16, v23
	v_add_co_ci_u32_e32 v26, vcc_lo, s17, v24, vcc_lo
	s_and_b32 vcc_lo, exec_lo, s7
	global_load_b64 v[27:28], v[25:26], off
	s_cbranch_vccz .LBB121_29
; %bb.28:                               ;   in Loop: Header=BB121_22 Depth=2
	v_add_co_u32 v25, vcc_lo, s42, v23
	v_add_co_ci_u32_e32 v26, vcc_lo, s43, v24, vcc_lo
	s_mov_b32 s9, 0
	global_load_b64 v[25:26], v[25:26], off
	s_branch .LBB121_30
.LBB121_29:                             ;   in Loop: Header=BB121_22 Depth=2
	s_mov_b32 s9, -1
                                        ; implicit-def: $vgpr25_vgpr26
.LBB121_30:                             ;   in Loop: Header=BB121_22 Depth=2
	s_waitcnt vmcnt(0)
	v_sub_co_u32 v27, vcc_lo, v27, s24
	v_subrev_co_ci_u32_e32 v28, vcc_lo, 0, v28, vcc_lo
	s_and_not1_b32 vcc_lo, exec_lo, s9
	s_delay_alu instid0(VALU_DEP_1)
	v_lshlrev_b64 v[27:28], 3, v[27:28]
	s_cbranch_vccnz .LBB121_32
; %bb.31:                               ;   in Loop: Header=BB121_22 Depth=2
	s_delay_alu instid0(VALU_DEP_1) | instskip(NEXT) | instid1(VALU_DEP_2)
	v_add_co_u32 v25, vcc_lo, s20, v27
	v_add_co_ci_u32_e32 v26, vcc_lo, s21, v28, vcc_lo
	global_load_b64 v[25:26], v[25:26], off
	s_waitcnt vmcnt(0)
	v_sub_co_u32 v25, vcc_lo, v25, s25
	v_subrev_co_ci_u32_e32 v26, vcc_lo, 0, v26, vcc_lo
.LBB121_32:                             ;   in Loop: Header=BB121_22 Depth=2
	s_delay_alu instid0(VALU_DEP_1) | instskip(NEXT) | instid1(VALU_DEP_2)
	v_add_co_u32 v27, vcc_lo, s53, v27
	v_add_co_ci_u32_e32 v28, vcc_lo, s54, v28, vcc_lo
	s_mov_b32 s58, exec_lo
	global_load_b64 v[27:28], v[27:28], off
	s_waitcnt vmcnt(0)
	v_sub_co_u32 v27, vcc_lo, v27, s25
	v_subrev_co_ci_u32_e32 v28, vcc_lo, 0, v28, vcc_lo
	s_delay_alu instid0(VALU_DEP_1)
	v_cmpx_lt_i64_e64 v[25:26], v[27:28]
	s_cbranch_execz .LBB121_52
; %bb.33:                               ;   in Loop: Header=BB121_22 Depth=2
	v_mad_u64_u32 v[33:34], null, s12, v25, v[9:10]
	v_mul_lo_u32 v31, s12, v26
	v_mul_lo_u32 v32, s13, v25
	v_mad_u64_u32 v[29:30], null, s36, v25, v[11:12]
	v_mul_lo_u32 v35, s36, v26
	v_mul_lo_u32 v36, s37, v25
	;; [unrolled: 1-line block ×3, first 2 shown]
	s_mov_b32 s59, 0
	v_add3_u32 v34, v32, v34, v31
	v_mad_u64_u32 v[31:32], null, s30, v33, s[44:45]
	s_delay_alu instid0(VALU_DEP_4) | instskip(NEXT) | instid1(VALU_DEP_3)
	v_add3_u32 v30, v36, v30, v35
	v_mul_lo_u32 v33, s30, v34
	s_delay_alu instid0(VALU_DEP_1)
	v_add3_u32 v32, v37, v32, v33
	v_dual_mov_b32 v34, v26 :: v_dual_mov_b32 v33, v25
	s_branch .LBB121_36
.LBB121_34:                             ;   in Loop: Header=BB121_36 Depth=3
	s_or_b32 exec_lo, exec_lo, s61
	s_delay_alu instid0(SALU_CYCLE_1)
	s_or_b32 s9, s9, exec_lo
.LBB121_35:                             ;   in Loop: Header=BB121_36 Depth=3
	s_or_b32 exec_lo, exec_lo, s60
	v_add_co_u32 v25, vcc_lo, v25, 1
	v_add_co_ci_u32_e32 v26, vcc_lo, 0, v26, vcc_lo
	s_xor_b32 s46, s9, -1
	v_add_co_u32 v31, s9, v31, s36
	s_delay_alu instid0(VALU_DEP_2)
	v_cmp_ge_i64_e32 vcc_lo, v[25:26], v[27:28]
	v_add_co_ci_u32_e64 v32, s9, s37, v32, s9
	s_or_b32 s9, s46, vcc_lo
	v_add_co_u32 v29, vcc_lo, v29, s36
	v_add_co_ci_u32_e32 v30, vcc_lo, s37, v30, vcc_lo
	s_and_b32 s9, exec_lo, s9
	s_delay_alu instid0(SALU_CYCLE_1) | instskip(NEXT) | instid1(SALU_CYCLE_1)
	s_or_b32 s59, s9, s59
	s_and_not1_b32 exec_lo, exec_lo, s59
	s_cbranch_execz .LBB121_51
.LBB121_36:                             ;   Parent Loop BB121_13 Depth=1
                                        ;     Parent Loop BB121_22 Depth=2
                                        ; =>    This Loop Header: Depth=3
                                        ;         Child Loop BB121_48 Depth 4
                                        ;         Child Loop BB121_44 Depth 4
	;; [unrolled: 1-line block ×3, first 2 shown]
	v_lshlrev_b64 v[35:36], 3, v[25:26]
	s_delay_alu instid0(VALU_DEP_1) | instskip(NEXT) | instid1(VALU_DEP_2)
	v_add_co_u32 v35, vcc_lo, s22, v35
	v_add_co_ci_u32_e32 v36, vcc_lo, s23, v36, vcc_lo
	global_load_b64 v[35:36], v[35:36], off
	s_waitcnt vmcnt(0)
	v_sub_co_u32 v35, vcc_lo, v35, s25
	v_subrev_co_ci_u32_e32 v36, vcc_lo, 0, v36, vcc_lo
	s_delay_alu instid0(VALU_DEP_1) | instskip(SKIP_1) | instid1(VALU_DEP_2)
	v_cmp_lt_i64_e64 s9, v[35:36], v[17:18]
	v_cmp_ge_i64_e32 vcc_lo, v[35:36], v[19:20]
	s_or_b32 s46, s9, vcc_lo
                                        ; implicit-def: $sgpr9
	s_delay_alu instid0(SALU_CYCLE_1) | instskip(NEXT) | instid1(SALU_CYCLE_1)
	s_and_saveexec_b32 s47, s46
	s_xor_b32 s46, exec_lo, s47
	s_cbranch_execz .LBB121_40
; %bb.37:                               ;   in Loop: Header=BB121_36 Depth=3
	s_mov_b32 s47, -1
	s_and_saveexec_b32 s9, vcc_lo
; %bb.38:                               ;   in Loop: Header=BB121_36 Depth=3
	v_cmp_lt_i64_e32 vcc_lo, v[35:36], v[21:22]
	v_dual_mov_b32 v34, v26 :: v_dual_mov_b32 v33, v25
	s_xor_b32 s47, exec_lo, -1
	v_dual_cndmask_b32 v22, v22, v36 :: v_dual_cndmask_b32 v21, v21, v35
; %bb.39:                               ;   in Loop: Header=BB121_36 Depth=3
	s_or_b32 exec_lo, exec_lo, s9
	s_delay_alu instid0(SALU_CYCLE_1)
	s_and_b32 s9, s47, exec_lo
                                        ; implicit-def: $vgpr35_vgpr36
.LBB121_40:                             ;   in Loop: Header=BB121_36 Depth=3
	s_and_not1_saveexec_b32 s60, s46
	s_cbranch_execz .LBB121_35
; %bb.41:                               ;   in Loop: Header=BB121_36 Depth=3
	v_sub_nc_u32_e32 v59, v35, v17
	s_delay_alu instid0(VALU_DEP_1)
	v_lshlrev_b32_e32 v35, 2, v59
	ds_store_b32 v35, v58 offset:10240
	s_and_saveexec_b32 s61, s48
	s_cbranch_execz .LBB121_34
; %bb.42:                               ;   in Loop: Header=BB121_36 Depth=3
	s_and_not1_b32 vcc_lo, exec_lo, s49
	s_cbranch_vccnz .LBB121_46
; %bb.43:                               ;   in Loop: Header=BB121_36 Depth=3
	v_dual_mov_b32 v35, 0 :: v_dual_mov_b32 v60, v55
	v_mov_b32_e32 v38, v32
	v_dual_mov_b32 v36, 0 :: v_dual_mov_b32 v37, v31
	s_mov_b64 s[46:47], s[30:31]
.LBB121_44:                             ;   Parent Loop BB121_13 Depth=1
                                        ;     Parent Loop BB121_22 Depth=2
                                        ;       Parent Loop BB121_36 Depth=3
                                        ; =>      This Inner Loop Header: Depth=4
	global_load_b64 v[61:62], v[37:38], off
	ds_load_b64 v[63:64], v60
	v_add_co_u32 v37, vcc_lo, v37, 8
	v_add_co_ci_u32_e32 v38, vcc_lo, 0, v38, vcc_lo
	s_add_u32 s46, s46, -1
	v_add_nc_u32_e32 v60, 64, v60
	s_addc_u32 s47, s47, -1
	s_delay_alu instid0(SALU_CYCLE_1)
	s_cmp_lg_u64 s[46:47], 0
	s_waitcnt vmcnt(0) lgkmcnt(0)
	v_fma_f64 v[35:36], v[63:64], v[61:62], v[35:36]
	s_cbranch_scc1 .LBB121_44
; %bb.45:                               ;   in Loop: Header=BB121_36 Depth=3
	s_branch .LBB121_49
.LBB121_46:                             ;   in Loop: Header=BB121_36 Depth=3
                                        ; implicit-def: $vgpr35_vgpr36
	s_cbranch_execz .LBB121_49
; %bb.47:                               ;   in Loop: Header=BB121_36 Depth=3
	v_dual_mov_b32 v35, 0 :: v_dual_mov_b32 v60, v56
	v_mov_b32_e32 v38, v30
	v_dual_mov_b32 v36, 0 :: v_dual_mov_b32 v37, v29
	s_mov_b64 s[46:47], s[30:31]
.LBB121_48:                             ;   Parent Loop BB121_13 Depth=1
                                        ;     Parent Loop BB121_22 Depth=2
                                        ;       Parent Loop BB121_36 Depth=3
                                        ; =>      This Inner Loop Header: Depth=4
	global_load_b64 v[61:62], v[37:38], off
	ds_load_b64 v[63:64], v60
	v_add_co_u32 v37, vcc_lo, v37, s12
	s_add_u32 s46, s46, -1
	v_add_co_ci_u32_e32 v38, vcc_lo, s13, v38, vcc_lo
	v_add_nc_u32_e32 v60, 8, v60
	s_addc_u32 s47, s47, -1
	s_delay_alu instid0(SALU_CYCLE_1)
	s_cmp_eq_u64 s[46:47], 0
	s_waitcnt vmcnt(0) lgkmcnt(0)
	v_fma_f64 v[35:36], v[63:64], v[61:62], v[35:36]
	s_cbranch_scc0 .LBB121_48
.LBB121_49:                             ;   in Loop: Header=BB121_36 Depth=3
	s_delay_alu instid0(VALU_DEP_1) | instskip(SKIP_2) | instid1(VALU_DEP_1)
	v_mul_f64 v[35:36], v[1:2], v[35:36]
	v_lshlrev_b32_e32 v37, 6, v59
	s_mov_b32 s46, 0
	v_or3_b32 v37, v37, v42, v7
	s_delay_alu instid0(VALU_DEP_1)
	v_lshlrev_b32_e32 v59, 3, v37
	ds_load_b64 v[37:38], v59
.LBB121_50:                             ;   Parent Loop BB121_13 Depth=1
                                        ;     Parent Loop BB121_22 Depth=2
                                        ;       Parent Loop BB121_36 Depth=3
                                        ; =>      This Inner Loop Header: Depth=4
	s_waitcnt lgkmcnt(0)
	v_add_f64 v[60:61], v[37:38], v[35:36]
	ds_cmpstore_rtn_b64 v[60:61], v59, v[60:61], v[37:38]
	s_waitcnt lgkmcnt(0)
	v_cmp_eq_u64_e32 vcc_lo, v[60:61], v[37:38]
	v_dual_mov_b32 v37, v60 :: v_dual_mov_b32 v38, v61
	s_or_b32 s46, vcc_lo, s46
	s_delay_alu instid0(SALU_CYCLE_1)
	s_and_not1_b32 exec_lo, exec_lo, s46
	s_cbranch_execnz .LBB121_50
	s_branch .LBB121_34
.LBB121_51:                             ;   in Loop: Header=BB121_22 Depth=2
	s_or_b32 exec_lo, exec_lo, s59
	v_dual_mov_b32 v25, v33 :: v_dual_mov_b32 v26, v34
.LBB121_52:                             ;   in Loop: Header=BB121_22 Depth=2
	s_or_b32 exec_lo, exec_lo, s58
.LBB121_53:                             ;   in Loop: Header=BB121_22 Depth=2
	s_delay_alu instid0(SALU_CYCLE_1)
	s_or_b32 exec_lo, exec_lo, s57
	s_waitcnt lgkmcnt(0)
	s_barrier
	buffer_gl0_inv
	s_and_saveexec_b32 s9, s8
	s_cbranch_execz .LBB121_21
; %bb.54:                               ;   in Loop: Header=BB121_22 Depth=2
	v_add_co_u32 v23, vcc_lo, s42, v23
	v_add_co_ci_u32_e32 v24, vcc_lo, s43, v24, vcc_lo
	global_store_b64 v[23:24], v[25:26], off
	s_branch .LBB121_21
.LBB121_55:                             ;   in Loop: Header=BB121_13 Depth=1
	s_and_not1_b32 vcc_lo, exec_lo, s33
	s_cbranch_vccnz .LBB121_68
; %bb.56:                               ;   in Loop: Header=BB121_13 Depth=1
	s_load_b128 s[60:63], s[18:19], 0x0
	s_mov_b32 s38, exec_lo
	s_waitcnt lgkmcnt(0)
	v_add_co_u32 v23, vcc_lo, s60, v43
	v_add_co_ci_u32_e32 v24, vcc_lo, s61, v44, vcc_lo
	s_sub_u32 s8, s62, s50
	s_subb_u32 s9, s63, 0
	s_delay_alu instid0(VALU_DEP_1) | instid1(SALU_CYCLE_1)
	v_cmpx_gt_i64_e64 s[8:9], v[23:24]
	s_cbranch_execz .LBB121_67
; %bb.57:                               ;   in Loop: Header=BB121_13 Depth=1
	s_mov_b32 s39, 0
	s_branch .LBB121_60
.LBB121_58:                             ;   in Loop: Header=BB121_60 Depth=2
	s_or_b32 exec_lo, exec_lo, s47
	s_delay_alu instid0(SALU_CYCLE_1)
	s_or_b32 s7, s7, exec_lo
.LBB121_59:                             ;   in Loop: Header=BB121_60 Depth=2
	s_or_b32 exec_lo, exec_lo, s46
	v_add_co_u32 v23, vcc_lo, v23, 4
	v_add_co_ci_u32_e32 v24, vcc_lo, 0, v24, vcc_lo
	s_xor_b32 s7, s7, -1
	s_delay_alu instid0(VALU_DEP_1) | instskip(SKIP_1) | instid1(SALU_CYCLE_1)
	v_cmp_le_i64_e32 vcc_lo, s[8:9], v[23:24]
	s_or_b32 s7, s7, vcc_lo
	s_and_b32 s7, exec_lo, s7
	s_delay_alu instid0(SALU_CYCLE_1) | instskip(NEXT) | instid1(SALU_CYCLE_1)
	s_or_b32 s39, s7, s39
	s_and_not1_b32 exec_lo, exec_lo, s39
	s_cbranch_execz .LBB121_66
.LBB121_60:                             ;   Parent Loop BB121_13 Depth=1
                                        ; =>  This Loop Header: Depth=2
                                        ;       Child Loop BB121_65 Depth 3
	v_lshlrev_b64 v[25:26], 3, v[23:24]
	s_delay_alu instid0(VALU_DEP_1) | instskip(NEXT) | instid1(VALU_DEP_2)
	v_add_co_u32 v25, vcc_lo, s10, v25
	v_add_co_ci_u32_e32 v26, vcc_lo, s11, v26, vcc_lo
	global_load_b64 v[25:26], v[25:26], off
	s_waitcnt vmcnt(0)
	v_sub_co_u32 v25, vcc_lo, v25, s50
	v_subrev_co_ci_u32_e32 v26, vcc_lo, 0, v26, vcc_lo
	s_delay_alu instid0(VALU_DEP_1)
	v_cmp_lt_i64_e32 vcc_lo, v[25:26], v[19:20]
	v_cmp_lt_i64_e64 s7, v[25:26], v[17:18]
	s_xor_b32 s46, vcc_lo, -1
	s_delay_alu instid0(VALU_DEP_1) | instid1(SALU_CYCLE_1)
	s_or_b32 s46, s7, s46
                                        ; implicit-def: $sgpr7
	s_delay_alu instid0(SALU_CYCLE_1) | instskip(NEXT) | instid1(SALU_CYCLE_1)
	s_and_saveexec_b32 s47, s46
	s_xor_b32 s46, exec_lo, s47
; %bb.61:                               ;   in Loop: Header=BB121_60 Depth=2
	v_cmp_lt_i64_e64 s7, v[25:26], v[21:22]
	s_delay_alu instid0(VALU_DEP_1) | instskip(SKIP_2) | instid1(VALU_DEP_1)
	v_cndmask_b32_e64 v25, v21, v25, s7
	v_cndmask_b32_e64 v26, v22, v26, s7
	s_and_b32 s7, vcc_lo, exec_lo
	v_dual_cndmask_b32 v21, v25, v21 :: v_dual_cndmask_b32 v22, v26, v22
                                        ; implicit-def: $vgpr25
; %bb.62:                               ;   in Loop: Header=BB121_60 Depth=2
	s_and_not1_saveexec_b32 s46, s46
	s_cbranch_execz .LBB121_59
; %bb.63:                               ;   in Loop: Header=BB121_60 Depth=2
	v_sub_nc_u32_e32 v27, v25, v17
	s_delay_alu instid0(VALU_DEP_1)
	v_lshlrev_b32_e32 v25, 2, v27
	ds_store_b32 v25, v58 offset:10240
	s_and_saveexec_b32 s47, s52
	s_cbranch_execz .LBB121_58
; %bb.64:                               ;   in Loop: Header=BB121_60 Depth=2
	v_mul_lo_u32 v28, v24, s14
	v_mul_lo_u32 v29, v23, s15
	v_mad_u64_u32 v[25:26], null, v23, s14, 0
	v_lshlrev_b32_e32 v27, 6, v27
	s_mov_b32 s57, 0
	s_delay_alu instid0(VALU_DEP_1) | instskip(NEXT) | instid1(VALU_DEP_3)
	v_or3_b32 v27, v27, v42, v7
	v_add3_u32 v26, v26, v29, v28
	s_delay_alu instid0(VALU_DEP_2) | instskip(NEXT) | instid1(VALU_DEP_2)
	v_lshlrev_b32_e32 v29, 3, v27
	v_lshlrev_b64 v[25:26], 3, v[25:26]
	ds_load_b64 v[27:28], v29
	v_add_co_u32 v25, vcc_lo, v54, v25
	v_add_co_ci_u32_e32 v26, vcc_lo, v53, v26, vcc_lo
	global_load_b64 v[25:26], v[25:26], off
	s_waitcnt vmcnt(0)
	v_mul_f64 v[25:26], v[3:4], v[25:26]
.LBB121_65:                             ;   Parent Loop BB121_13 Depth=1
                                        ;     Parent Loop BB121_60 Depth=2
                                        ; =>    This Inner Loop Header: Depth=3
	s_waitcnt lgkmcnt(0)
	s_delay_alu instid0(VALU_DEP_1)
	v_add_f64 v[30:31], v[27:28], v[25:26]
	ds_cmpstore_rtn_b64 v[30:31], v29, v[30:31], v[27:28]
	s_waitcnt lgkmcnt(0)
	v_cmp_eq_u64_e32 vcc_lo, v[30:31], v[27:28]
	v_dual_mov_b32 v27, v30 :: v_dual_mov_b32 v28, v31
	s_or_b32 s57, vcc_lo, s57
	s_delay_alu instid0(SALU_CYCLE_1)
	s_and_not1_b32 exec_lo, exec_lo, s57
	s_cbranch_execnz .LBB121_65
	s_branch .LBB121_58
.LBB121_66:                             ;   in Loop: Header=BB121_13 Depth=1
	s_or_b32 exec_lo, exec_lo, s39
.LBB121_67:                             ;   in Loop: Header=BB121_13 Depth=1
	s_delay_alu instid0(SALU_CYCLE_1)
	s_or_b32 exec_lo, exec_lo, s38
.LBB121_68:                             ;   in Loop: Header=BB121_13 Depth=1
	s_and_saveexec_b32 s7, s2
	s_cbranch_execz .LBB121_73
; %bb.69:                               ;   in Loop: Header=BB121_13 Depth=1
	s_mov_b32 s38, exec_lo
	s_mov_b64 s[8:9], -1
.LBB121_70:                             ;   Parent Loop BB121_13 Depth=1
                                        ; =>  This Inner Loop Header: Depth=2
	s_ctz_i32_b32 s39, s38
	s_delay_alu instid0(SALU_CYCLE_1) | instskip(SKIP_1) | instid1(VALU_DEP_1)
	v_readlane_b32 s47, v22, s39
	v_readlane_b32 s46, v21, s39
	v_cmp_lt_u64_e64 s57, s[8:9], s[46:47]
	s_delay_alu instid0(VALU_DEP_1) | instskip(SKIP_3) | instid1(SALU_CYCLE_1)
	s_and_b32 s57, s57, exec_lo
	s_cselect_b32 s9, s9, s47
	s_cselect_b32 s8, s8, s46
	s_lshl_b32 s39, 1, s39
	s_and_not1_b32 s38, s38, s39
	s_delay_alu instid0(SALU_CYCLE_1)
	s_cmp_lg_u32 s38, 0
	s_cbranch_scc1 .LBB121_70
; %bb.71:                               ;   in Loop: Header=BB121_13 Depth=1
	v_mbcnt_lo_u32_b32 v19, exec_lo, 0
	s_mov_b32 s38, exec_lo
	s_delay_alu instid0(VALU_DEP_1)
	v_cmpx_eq_u32_e32 0, v19
	s_xor_b32 s38, exec_lo, s38
	s_cbranch_execz .LBB121_73
; %bb.72:                               ;   in Loop: Header=BB121_13 Depth=1
	v_dual_mov_b32 v20, s9 :: v_dual_mov_b32 v19, s8
	ds_min_u64 v6, v[19:20] offset:10304
.LBB121_73:                             ;   in Loop: Header=BB121_13 Depth=1
	s_or_b32 exec_lo, exec_lo, s7
	s_waitcnt lgkmcnt(0)
	s_waitcnt_vscnt null, 0x0
	s_barrier
	buffer_gl0_inv
	ds_load_b32 v20, v45
	s_waitcnt lgkmcnt(0)
	s_barrier
	buffer_gl0_inv
	s_and_saveexec_b32 s7, s3
	s_cbranch_execz .LBB121_75
; %bb.74:                               ;   in Loop: Header=BB121_13 Depth=1
	ds_load_b32 v19, v46
	s_waitcnt lgkmcnt(0)
	v_add_nc_u32_e32 v20, v19, v20
.LBB121_75:                             ;   in Loop: Header=BB121_13 Depth=1
	s_or_b32 exec_lo, exec_lo, s7
	s_barrier
	buffer_gl0_inv
	ds_store_b32 v45, v20
	s_waitcnt lgkmcnt(0)
	s_barrier
	buffer_gl0_inv
	s_and_saveexec_b32 s7, s4
	s_cbranch_execz .LBB121_77
; %bb.76:                               ;   in Loop: Header=BB121_13 Depth=1
	ds_load_b32 v19, v48
	s_waitcnt lgkmcnt(0)
	v_add_nc_u32_e32 v20, v19, v20
.LBB121_77:                             ;   in Loop: Header=BB121_13 Depth=1
	s_or_b32 exec_lo, exec_lo, s7
	s_barrier
	buffer_gl0_inv
	ds_store_b32 v45, v20
	;; [unrolled: 14-line block ×4, first 2 shown]
	s_waitcnt lgkmcnt(0)
	s_barrier
	buffer_gl0_inv
	ds_load_b32 v19, v6 offset:10300
	v_mov_b32_e32 v21, 0
	s_and_saveexec_b32 s7, s27
	s_cbranch_execz .LBB121_83
; %bb.82:                               ;   in Loop: Header=BB121_13 Depth=1
	ds_load_b32 v21, v46
.LBB121_83:                             ;   in Loop: Header=BB121_13 Depth=1
	s_or_b32 exec_lo, exec_lo, s7
	s_waitcnt lgkmcnt(0)
	v_cmp_eq_u32_e32 vcc_lo, v20, v21
	s_barrier
	buffer_gl0_inv
	s_and_b32 s8, s27, vcc_lo
	s_delay_alu instid0(SALU_CYCLE_1)
	s_and_saveexec_b32 s7, s8
	s_cbranch_execz .LBB121_85
; %bb.84:                               ;   in Loop: Header=BB121_13 Depth=1
	ds_store_b32 v45, v6
.LBB121_85:                             ;   in Loop: Header=BB121_13 Depth=1
	s_or_b32 exec_lo, exec_lo, s7
	v_add_co_u32 v20, vcc_lo, v13, -1
	v_add_co_ci_u32_e32 v21, vcc_lo, -1, v14, vcc_lo
	v_add_co_u32 v22, vcc_lo, s26, v17
	v_add_co_ci_u32_e32 v23, vcc_lo, 0, v18, vcc_lo
	v_dual_mov_b32 v24, v57 :: v_dual_mov_b32 v25, v39
	v_dual_mov_b32 v18, v6 :: v_dual_mov_b32 v17, v5
	s_mov_b32 s7, 0
	s_waitcnt lgkmcnt(0)
	s_barrier
	buffer_gl0_inv
	s_branch .LBB121_87
.LBB121_86:                             ;   in Loop: Header=BB121_87 Depth=2
	s_or_b32 exec_lo, exec_lo, s8
	v_add_co_u32 v17, vcc_lo, v17, 4
	v_add_co_ci_u32_e32 v18, vcc_lo, 0, v18, vcc_lo
	v_add_nc_u32_e32 v25, 0x800, v25
	s_delay_alu instid0(VALU_DEP_3) | instskip(SKIP_1) | instid1(VALU_DEP_2)
	v_add_nc_u32_e32 v26, -4, v17
	v_add_nc_u32_e32 v24, 16, v24
	v_cmp_lt_u32_e32 vcc_lo, 11, v26
	s_or_b32 s7, vcc_lo, s7
	s_delay_alu instid0(SALU_CYCLE_1)
	s_and_not1_b32 exec_lo, exec_lo, s7
	s_cbranch_execz .LBB121_12
.LBB121_87:                             ;   Parent Loop BB121_13 Depth=1
                                        ; =>  This Inner Loop Header: Depth=2
	ds_load_b32 v26, v24
	s_mov_b32 s8, exec_lo
	s_waitcnt lgkmcnt(0)
	v_cmpx_ne_u32_e32 0, v26
	s_cbranch_execz .LBB121_86
; %bb.88:                               ;   in Loop: Header=BB121_87 Depth=2
	v_ashrrev_i32_e32 v27, 31, v26
	v_add_co_u32 v28, vcc_lo, v13, v26
	s_delay_alu instid0(VALU_DEP_2) | instskip(SKIP_2) | instid1(VALU_DEP_3)
	v_add_co_ci_u32_e32 v29, vcc_lo, v14, v27, vcc_lo
	v_add_co_u32 v30, vcc_lo, v22, v17
	v_add_co_ci_u32_e32 v31, vcc_lo, v23, v18, vcc_lo
	v_lshlrev_b64 v[28:29], 3, v[28:29]
	s_delay_alu instid0(VALU_DEP_1) | instskip(NEXT) | instid1(VALU_DEP_2)
	v_add_co_u32 v28, vcc_lo, s55, v28
	v_add_co_ci_u32_e32 v29, vcc_lo, s56, v29, vcc_lo
	global_store_b64 v[28:29], v[30:31], off
	s_and_b32 exec_lo, exec_lo, s52
	s_cbranch_execz .LBB121_86
; %bb.89:                               ;   in Loop: Header=BB121_87 Depth=2
	v_add_co_u32 v28, vcc_lo, v20, v26
	v_add_co_ci_u32_e32 v26, vcc_lo, v21, v27, vcc_lo
	s_delay_alu instid0(VALU_DEP_2) | instskip(NEXT) | instid1(VALU_DEP_2)
	v_mul_lo_u32 v31, v28, s15
	v_mul_lo_u32 v30, v26, s14
	v_mad_u64_u32 v[26:27], null, v28, s14, 0
	ds_load_b64 v[28:29], v25
	v_add3_u32 v27, v27, v31, v30
	s_delay_alu instid0(VALU_DEP_1) | instskip(NEXT) | instid1(VALU_DEP_1)
	v_lshlrev_b64 v[26:27], 3, v[26:27]
	v_add_co_u32 v26, vcc_lo, v52, v26
	s_delay_alu instid0(VALU_DEP_2)
	v_add_co_ci_u32_e32 v27, vcc_lo, v51, v27, vcc_lo
	s_waitcnt lgkmcnt(0)
	global_store_b64 v[26:27], v[28:29], off
	s_branch .LBB121_86
.LBB121_90:
	s_endpgm
	.section	.rodata,"a",@progbits
	.p2align	6, 0x0
	.amdhsa_kernel _ZN9rocsparseL38bsrgemm_block_per_row_atomic_multipassILj256ELj16ELj8ElldEEv20rocsparse_direction_T3_S2_PKS2_S4_NS_24const_host_device_scalarIT4_EEPKT2_S4_PKS6_SA_S4_SC_S7_SA_S4_SC_SA_PS2_PS6_PS8_21rocsparse_index_base_SG_SG_SG_bbb
		.amdhsa_group_segment_fixed_size 10312
		.amdhsa_private_segment_fixed_size 0
		.amdhsa_kernarg_size 180
		.amdhsa_user_sgpr_count 15
		.amdhsa_user_sgpr_dispatch_ptr 0
		.amdhsa_user_sgpr_queue_ptr 0
		.amdhsa_user_sgpr_kernarg_segment_ptr 1
		.amdhsa_user_sgpr_dispatch_id 0
		.amdhsa_user_sgpr_private_segment_size 0
		.amdhsa_wavefront_size32 1
		.amdhsa_uses_dynamic_stack 0
		.amdhsa_enable_private_segment 0
		.amdhsa_system_sgpr_workgroup_id_x 1
		.amdhsa_system_sgpr_workgroup_id_y 0
		.amdhsa_system_sgpr_workgroup_id_z 0
		.amdhsa_system_sgpr_workgroup_info 0
		.amdhsa_system_vgpr_workitem_id 0
		.amdhsa_next_free_vgpr 65
		.amdhsa_next_free_sgpr 64
		.amdhsa_reserve_vcc 1
		.amdhsa_float_round_mode_32 0
		.amdhsa_float_round_mode_16_64 0
		.amdhsa_float_denorm_mode_32 3
		.amdhsa_float_denorm_mode_16_64 3
		.amdhsa_dx10_clamp 1
		.amdhsa_ieee_mode 1
		.amdhsa_fp16_overflow 0
		.amdhsa_workgroup_processor_mode 1
		.amdhsa_memory_ordered 1
		.amdhsa_forward_progress 0
		.amdhsa_shared_vgpr_count 0
		.amdhsa_exception_fp_ieee_invalid_op 0
		.amdhsa_exception_fp_denorm_src 0
		.amdhsa_exception_fp_ieee_div_zero 0
		.amdhsa_exception_fp_ieee_overflow 0
		.amdhsa_exception_fp_ieee_underflow 0
		.amdhsa_exception_fp_ieee_inexact 0
		.amdhsa_exception_int_div_zero 0
	.end_amdhsa_kernel
	.section	.text._ZN9rocsparseL38bsrgemm_block_per_row_atomic_multipassILj256ELj16ELj8ElldEEv20rocsparse_direction_T3_S2_PKS2_S4_NS_24const_host_device_scalarIT4_EEPKT2_S4_PKS6_SA_S4_SC_S7_SA_S4_SC_SA_PS2_PS6_PS8_21rocsparse_index_base_SG_SG_SG_bbb,"axG",@progbits,_ZN9rocsparseL38bsrgemm_block_per_row_atomic_multipassILj256ELj16ELj8ElldEEv20rocsparse_direction_T3_S2_PKS2_S4_NS_24const_host_device_scalarIT4_EEPKT2_S4_PKS6_SA_S4_SC_S7_SA_S4_SC_SA_PS2_PS6_PS8_21rocsparse_index_base_SG_SG_SG_bbb,comdat
.Lfunc_end121:
	.size	_ZN9rocsparseL38bsrgemm_block_per_row_atomic_multipassILj256ELj16ELj8ElldEEv20rocsparse_direction_T3_S2_PKS2_S4_NS_24const_host_device_scalarIT4_EEPKT2_S4_PKS6_SA_S4_SC_S7_SA_S4_SC_SA_PS2_PS6_PS8_21rocsparse_index_base_SG_SG_SG_bbb, .Lfunc_end121-_ZN9rocsparseL38bsrgemm_block_per_row_atomic_multipassILj256ELj16ELj8ElldEEv20rocsparse_direction_T3_S2_PKS2_S4_NS_24const_host_device_scalarIT4_EEPKT2_S4_PKS6_SA_S4_SC_S7_SA_S4_SC_SA_PS2_PS6_PS8_21rocsparse_index_base_SG_SG_SG_bbb
                                        ; -- End function
	.section	.AMDGPU.csdata,"",@progbits
; Kernel info:
; codeLenInByte = 4008
; NumSgprs: 66
; NumVgprs: 65
; ScratchSize: 0
; MemoryBound: 0
; FloatMode: 240
; IeeeMode: 1
; LDSByteSize: 10312 bytes/workgroup (compile time only)
; SGPRBlocks: 8
; VGPRBlocks: 8
; NumSGPRsForWavesPerEU: 66
; NumVGPRsForWavesPerEU: 65
; Occupancy: 16
; WaveLimiterHint : 1
; COMPUTE_PGM_RSRC2:SCRATCH_EN: 0
; COMPUTE_PGM_RSRC2:USER_SGPR: 15
; COMPUTE_PGM_RSRC2:TRAP_HANDLER: 0
; COMPUTE_PGM_RSRC2:TGID_X_EN: 1
; COMPUTE_PGM_RSRC2:TGID_Y_EN: 0
; COMPUTE_PGM_RSRC2:TGID_Z_EN: 0
; COMPUTE_PGM_RSRC2:TIDIG_COMP_CNT: 0
	.section	.text._ZN9rocsparseL38bsrgemm_block_per_row_atomic_multipassILj256ELj32ELj8ElldEEv20rocsparse_direction_T3_S2_PKS2_S4_NS_24const_host_device_scalarIT4_EEPKT2_S4_PKS6_SA_S4_SC_S7_SA_S4_SC_SA_PS2_PS6_PS8_21rocsparse_index_base_SG_SG_SG_bbb,"axG",@progbits,_ZN9rocsparseL38bsrgemm_block_per_row_atomic_multipassILj256ELj32ELj8ElldEEv20rocsparse_direction_T3_S2_PKS2_S4_NS_24const_host_device_scalarIT4_EEPKT2_S4_PKS6_SA_S4_SC_S7_SA_S4_SC_SA_PS2_PS6_PS8_21rocsparse_index_base_SG_SG_SG_bbb,comdat
	.globl	_ZN9rocsparseL38bsrgemm_block_per_row_atomic_multipassILj256ELj32ELj8ElldEEv20rocsparse_direction_T3_S2_PKS2_S4_NS_24const_host_device_scalarIT4_EEPKT2_S4_PKS6_SA_S4_SC_S7_SA_S4_SC_SA_PS2_PS6_PS8_21rocsparse_index_base_SG_SG_SG_bbb ; -- Begin function _ZN9rocsparseL38bsrgemm_block_per_row_atomic_multipassILj256ELj32ELj8ElldEEv20rocsparse_direction_T3_S2_PKS2_S4_NS_24const_host_device_scalarIT4_EEPKT2_S4_PKS6_SA_S4_SC_S7_SA_S4_SC_SA_PS2_PS6_PS8_21rocsparse_index_base_SG_SG_SG_bbb
	.p2align	8
	.type	_ZN9rocsparseL38bsrgemm_block_per_row_atomic_multipassILj256ELj32ELj8ElldEEv20rocsparse_direction_T3_S2_PKS2_S4_NS_24const_host_device_scalarIT4_EEPKT2_S4_PKS6_SA_S4_SC_S7_SA_S4_SC_SA_PS2_PS6_PS8_21rocsparse_index_base_SG_SG_SG_bbb,@function
_ZN9rocsparseL38bsrgemm_block_per_row_atomic_multipassILj256ELj32ELj8ElldEEv20rocsparse_direction_T3_S2_PKS2_S4_NS_24const_host_device_scalarIT4_EEPKT2_S4_PKS6_SA_S4_SC_S7_SA_S4_SC_SA_PS2_PS6_PS8_21rocsparse_index_base_SG_SG_SG_bbb: ; @_ZN9rocsparseL38bsrgemm_block_per_row_atomic_multipassILj256ELj32ELj8ElldEEv20rocsparse_direction_T3_S2_PKS2_S4_NS_24const_host_device_scalarIT4_EEPKT2_S4_PKS6_SA_S4_SC_S7_SA_S4_SC_SA_PS2_PS6_PS8_21rocsparse_index_base_SG_SG_SG_bbb
; %bb.0:
	s_clause 0x3
	s_load_b32 s3, s[0:1], 0xb0
	s_load_b64 s[6:7], s[0:1], 0x28
	s_load_b128 s[28:31], s[0:1], 0xa0
	s_load_b64 s[4:5], s[0:1], 0x60
	s_mov_b32 s2, s15
	s_waitcnt lgkmcnt(0)
	s_and_b32 s9, 1, s3
	s_bitcmp1_b32 s3, 16
	s_cselect_b32 s8, -1, 0
	s_cmp_eq_u32 s9, 1
	s_cselect_b32 s9, -1, 0
	s_delay_alu instid0(SALU_CYCLE_1)
	s_and_b32 s10, s9, exec_lo
	s_cselect_b32 s11, s7, 0
	s_cselect_b32 s10, s6, 0
	s_xor_b32 s12, s9, -1
	v_dual_mov_b32 v1, s10 :: v_dual_mov_b32 v2, s11
	s_or_b32 s12, s12, s8
	s_delay_alu instid0(SALU_CYCLE_1)
	s_and_b32 vcc_lo, exec_lo, s12
	s_cbranch_vccnz .LBB122_2
; %bb.1:
	v_dual_mov_b32 v1, s6 :: v_dual_mov_b32 v2, s7
	flat_load_b64 v[1:2], v[1:2]
.LBB122_2:
	s_load_b64 s[6:7], s[0:1], 0x20
	s_bitcmp1_b32 s3, 8
	s_cselect_b32 s33, -1, 0
	s_delay_alu instid0(SALU_CYCLE_1)
	s_and_b32 s3, s33, exec_lo
	s_cselect_b32 s11, s5, 0
	s_cselect_b32 s10, s4, 0
	s_xor_b32 s3, s33, -1
	v_dual_mov_b32 v3, s10 :: v_dual_mov_b32 v4, s11
	s_or_b32 s3, s3, s8
	s_delay_alu instid0(SALU_CYCLE_1)
	s_and_b32 vcc_lo, exec_lo, s3
	s_cbranch_vccnz .LBB122_4
; %bb.3:
	v_dual_mov_b32 v3, s4 :: v_dual_mov_b32 v4, s5
	flat_load_b64 v[3:4], v[3:4]
.LBB122_4:
	s_load_b64 s[4:5], s[0:1], 0x30
	s_mov_b64 s[34:35], 0
	s_waitcnt lgkmcnt(0)
	s_cmp_eq_u64 s[6:7], 0
	s_mov_b32 s3, 0
	s_cbranch_scc1 .LBB122_6
; %bb.5:
	s_load_b64 s[10:11], s[0:1], 0x18
	s_waitcnt lgkmcnt(0)
	s_load_b64 s[10:11], s[10:11], 0x0
	s_waitcnt lgkmcnt(0)
	s_lshl_b64 s[10:11], s[10:11], 3
	s_delay_alu instid0(SALU_CYCLE_1) | instskip(SKIP_2) | instid1(SALU_CYCLE_1)
	s_add_u32 s6, s6, s10
	s_addc_u32 s7, s7, s11
	s_lshl_b64 s[2:3], s[2:3], 3
	s_add_u32 s2, s6, s2
	s_addc_u32 s3, s7, s3
	s_load_b64 s[2:3], s[2:3], 0x0
.LBB122_6:
	s_and_not1_b32 vcc_lo, exec_lo, s9
	s_cbranch_vccz .LBB122_9
; %bb.7:
	s_and_not1_b32 vcc_lo, exec_lo, s9
	s_mov_b64 s[44:45], 0
	s_cbranch_vccz .LBB122_10
.LBB122_8:
	s_load_b128 s[36:39], s[0:1], 0x8
	s_waitcnt lgkmcnt(0)
	v_cmp_lt_i64_e64 s4, s[36:37], 1
	s_delay_alu instid0(VALU_DEP_1)
	s_and_b32 vcc_lo, exec_lo, s4
	s_cbranch_vccz .LBB122_11
	s_branch .LBB122_96
.LBB122_9:
	s_waitcnt lgkmcnt(0)
	s_lshl_b64 s[6:7], s[2:3], 3
	s_delay_alu instid0(SALU_CYCLE_1)
	s_add_u32 s6, s4, s6
	s_addc_u32 s7, s5, s7
	s_load_b64 s[6:7], s[6:7], 0x0
	s_waitcnt lgkmcnt(0)
	s_sub_u32 s34, s6, s28
	s_subb_u32 s35, s7, 0
	s_and_not1_b32 vcc_lo, exec_lo, s9
	s_mov_b64 s[44:45], 0
	s_cbranch_vccnz .LBB122_8
.LBB122_10:
	s_waitcnt lgkmcnt(0)
	s_lshl_b64 s[6:7], s[2:3], 3
	s_delay_alu instid0(SALU_CYCLE_1)
	s_add_u32 s4, s4, s6
	s_addc_u32 s5, s5, s7
	s_load_b64 s[4:5], s[4:5], 0x8
	s_waitcnt lgkmcnt(0)
	s_sub_u32 s44, s4, s28
	s_subb_u32 s45, s5, 0
	s_load_b128 s[36:39], s[0:1], 0x8
	s_waitcnt lgkmcnt(0)
	v_cmp_lt_i64_e64 s4, s[36:37], 1
	s_delay_alu instid0(VALU_DEP_1)
	s_and_b32 vcc_lo, exec_lo, s4
	s_cbranch_vccnz .LBB122_96
.LBB122_11:
	s_clause 0x4
	s_load_b256 s[12:19], s[0:1], 0x68
	s_load_b64 s[46:47], s[0:1], 0x98
	s_load_b128 s[40:43], s[0:1], 0x88
	s_load_b64 s[48:49], s[0:1], 0x58
	s_load_b256 s[20:27], s[0:1], 0x38
	v_bfe_u32 v13, v0, 3, 3
	s_lshl_b64 s[6:7], s[2:3], 3
	v_mov_b32_e32 v9, 0
	v_and_b32_e32 v7, 7, v0
	s_mul_i32 s4, s38, s39
	v_mad_u64_u32 v[10:11], null, v13, s38, 0
	v_and_b32_e32 v19, 63, v0
	s_mul_hi_u32 s8, s38, s38
	s_load_b32 s5, s[0:1], 0x0
	v_lshrrev_b32_e32 v5, 6, v0
	v_cmp_lt_i64_e64 s10, s[34:35], s[44:45]
	s_mov_b32 s56, s31
	s_delay_alu instid0(VALU_DEP_4)
	v_mov_b32_e32 v6, v11
	v_and_b32_e32 v44, 56, v0
	s_waitcnt lgkmcnt(0)
	s_add_u32 s2, s18, s6
	s_addc_u32 s3, s19, s7
	s_mov_b32 s50, 0
	s_load_b64 s[2:3], s[2:3], 0x0
	v_mad_u64_u32 v[11:12], null, v13, s39, v[6:7]
	v_mov_b32_e32 v6, v9
	v_mad_u64_u32 v[15:16], null, v7, s38, 0
	s_movk_i32 s11, 0x7c0
	s_mov_b32 s51, s50
	v_cmp_gt_u32_e64 s0, 32, v0
	v_cmp_eq_u32_e64 s1, 0, v0
	v_lshl_or_b32 v49, v0, 2, 0x4800
	v_lshl_or_b32 v59, v5, 2, 0x4800
	v_dual_mov_b32 v12, v16 :: v_dual_lshlrev_b32 v41, 3, v0
	v_mov_b32_e32 v8, v9
	v_mov_b32_e32 v14, v9
	;; [unrolled: 1-line block ×3, first 2 shown]
	s_delay_alu instid0(VALU_DEP_4)
	v_mad_u64_u32 v[16:17], null, v7, s39, v[12:13]
	v_lshlrev_b64 v[17:18], 3, v[10:11]
	v_lshlrev_b32_e32 v11, 3, v7
	s_waitcnt lgkmcnt(0)
	s_sub_u32 s52, s2, s30
	s_subb_u32 s53, s3, 0
	s_add_i32 s2, s8, s4
	v_cmp_gt_i64_e64 s3, s[38:39], v[7:8]
	s_add_i32 s19, s2, s4
	v_add_co_u32 v10, s2, s22, v17
	s_delay_alu instid0(VALU_DEP_1)
	v_add_co_ci_u32_e64 v20, s2, s23, v18, s2
	v_cmp_gt_i64_e64 s2, s[38:39], v[13:14]
	v_lshlrev_b64 v[15:16], 3, v[15:16]
	v_cmp_gt_u64_e32 vcc_lo, s[38:39], v[13:14]
	v_add_co_u32 v8, s4, v10, v11
	v_lshlrev_b64 v[13:14], 3, v[13:14]
	s_and_b32 s54, s3, s2
	s_delay_alu instid0(VALU_DEP_4) | instskip(SKIP_3) | instid1(VALU_DEP_1)
	v_add_co_u32 v10, s2, s42, v15
	v_add_co_ci_u32_e64 v43, s4, 0, v20, s4
	v_add_co_ci_u32_e64 v20, s2, s43, v16, s2
	v_add_co_u32 v21, s2, s42, v17
	v_add_co_ci_u32_e64 v22, s2, s43, v18, s2
	v_add_co_u32 v10, s2, v10, v13
	s_delay_alu instid0(VALU_DEP_1) | instskip(NEXT) | instid1(VALU_DEP_4)
	v_add_co_ci_u32_e64 v20, s2, v20, v14, s2
	v_add_co_u32 v21, s2, v21, v11
	s_delay_alu instid0(VALU_DEP_1) | instskip(SKIP_1) | instid1(VALU_DEP_1)
	v_add_co_ci_u32_e64 v22, s2, 0, v22, s2
	v_add_co_u32 v15, s2, s16, v15
	v_add_co_ci_u32_e64 v16, s2, s17, v16, s2
	v_sub_co_u32 v45, s2, v5, s31
	s_delay_alu instid0(VALU_DEP_1) | instskip(NEXT) | instid1(VALU_DEP_4)
	v_sub_co_ci_u32_e64 v46, null, 0, 0, s2
	v_add_co_u32 v13, s2, v15, v13
	s_delay_alu instid0(VALU_DEP_1)
	v_add_co_ci_u32_e64 v14, s2, v16, v14, s2
	v_add_co_u32 v16, s2, s16, v17
	v_dual_mov_b32 v12, v9 :: v_dual_and_b32 v15, 31, v0
	s_cmp_eq_u32 s5, 0
	v_add_co_ci_u32_e64 v17, s2, s17, v18, s2
	s_cselect_b32 s8, -1, 0
	s_cmp_lg_u32 s5, 0
	v_add_co_u32 v16, s2, v16, v11
	s_cselect_b32 s55, -1, 0
	s_add_u32 s22, s12, s6
	s_addc_u32 s23, s13, s7
	v_lshlrev_b32_e32 v18, 2, v15
	v_add_co_u32 v23, s31, v15, -1
	v_add_co_ci_u32_e64 v17, s2, 0, v17, s2
	s_and_b32 s58, s3, vcc_lo
	v_cmp_ne_u32_e64 s3, 0, v15
	v_cmp_lt_u32_e64 s4, 1, v15
	v_cmp_lt_u32_e64 s5, 3, v15
	;; [unrolled: 1-line block ×4, first 2 shown]
	v_or_b32_e32 v15, 0x400, v0
	v_cndmask_b32_e64 v55, v10, v21, s8
	v_lshlrev_b32_e32 v10, 9, v5
	v_cndmask_b32_e64 v57, v13, v16, s8
	v_add_co_u32 v13, s12, s48, v11
	v_cmp_eq_u32_e64 s2, 63, v19
	s_and_b32 s57, s9, s10
	v_cndmask_b32_e64 v54, v20, v22, s8
	v_mov_b32_e32 v21, 32
	v_or_b32_e32 v47, 0x4800, v18
	v_add_nc_u32_e32 v50, 0x47f8, v18
	v_add_nc_u32_e32 v51, 0x47f0, v18
	;; [unrolled: 1-line block ×3, first 2 shown]
	v_dual_mov_b32 v22, 0 :: v_dual_add_nc_u32 v53, 0x47c0, v18
	v_cndmask_b32_e64 v56, v14, v17, s8
	v_cmp_gt_u32_e64 s8, 0x700, v15
	v_mov_b32_e32 v19, 0
	v_mov_b32_e32 v15, s52
	;; [unrolled: 1-line block ×3, first 2 shown]
	v_or_b32_e32 v42, 0x4000, v41
	v_lshl_add_u32 v48, v23, 2, 0x4800
	v_cmp_gt_u32_e64 s9, 0x200, v0
	v_cmp_gt_u32_e64 s10, 0x100, v0
	s_add_u32 s59, s24, 8
	v_or3_b32 v0, v10, v44, 0x4000
	v_add_co_ci_u32_e64 v14, null, s49, 0, s12
	v_and_or_b32 v58, v41, s11, 0x4000
	v_mov_b32_e32 v20, 0
	v_mov_b32_e32 v16, s53
	v_mov_b32_e32 v18, s51
	s_mul_i32 s18, s38, s38
	s_addc_u32 s60, s25, 0
	s_add_u32 s61, s40, -8
	s_addc_u32 s52, s41, -1
	s_lshl_b64 s[16:17], s[38:39], 3
	s_lshl_b64 s[40:41], s[18:19], 3
	s_branch .LBB122_13
.LBB122_12:                             ;   in Loop: Header=BB122_13 Depth=1
	s_or_b32 exec_lo, exec_lo, s11
	s_waitcnt_vscnt null, 0x0
	s_barrier
	buffer_gl0_inv
	ds_load_b64 v[19:20], v9 offset:18560
	v_ashrrev_i32_e32 v21, 31, v10
	v_add_co_u32 v15, vcc_lo, v15, v10
	s_waitcnt lgkmcnt(0)
	s_barrier
	s_delay_alu instid0(VALU_DEP_2) | instskip(SKIP_3) | instid1(VALU_DEP_1)
	v_add_co_ci_u32_e32 v16, vcc_lo, v16, v21, vcc_lo
	buffer_gl0_inv
	v_cmp_le_i64_e32 vcc_lo, s[36:37], v[19:20]
	v_add_co_u32 v21, s11, v19, 32
	v_add_co_ci_u32_e64 v22, s11, 0, v20, s11
	s_cbranch_vccnz .LBB122_96
.LBB122_13:                             ; =>This Loop Header: Depth=1
                                        ;     Child Loop BB122_26 Depth 2
                                        ;       Child Loop BB122_40 Depth 3
                                        ;         Child Loop BB122_52 Depth 4
                                        ;         Child Loop BB122_48 Depth 4
	;; [unrolled: 1-line block ×3, first 2 shown]
                                        ;     Child Loop BB122_64 Depth 2
                                        ;       Child Loop BB122_69 Depth 3
                                        ;     Child Loop BB122_74 Depth 2
                                        ;     Child Loop BB122_93 Depth 2
	s_and_saveexec_b32 s11, s0
	s_cbranch_execz .LBB122_15
; %bb.14:                               ;   in Loop: Header=BB122_13 Depth=1
	ds_store_b32 v49, v9
.LBB122_15:                             ;   in Loop: Header=BB122_13 Depth=1
	s_or_b32 exec_lo, exec_lo, s11
	ds_store_2addr_stride64_b64 v41, v[17:18], v[17:18] offset1:4
	ds_store_2addr_stride64_b64 v41, v[17:18], v[17:18] offset0:8 offset1:12
	ds_store_b64 v41, v[17:18] offset:8192
	s_and_saveexec_b32 s11, s8
	s_delay_alu instid0(SALU_CYCLE_1)
	s_xor_b32 s11, exec_lo, s11
	s_cbranch_execz .LBB122_21
; %bb.16:                               ;   in Loop: Header=BB122_13 Depth=1
	v_mov_b32_e32 v10, v9
	ds_store_b64 v41, v[9:10] offset:10240
	s_and_saveexec_b32 s12, s9
	s_delay_alu instid0(SALU_CYCLE_1)
	s_xor_b32 s12, exec_lo, s12
	s_cbranch_execz .LBB122_20
; %bb.17:                               ;   in Loop: Header=BB122_13 Depth=1
	ds_store_b64 v41, v[9:10] offset:12288
	s_and_saveexec_b32 s13, s10
	s_delay_alu instid0(SALU_CYCLE_1)
	s_xor_b32 s13, exec_lo, s13
	s_cbranch_execz .LBB122_19
; %bb.18:                               ;   in Loop: Header=BB122_13 Depth=1
	v_mov_b32_e32 v10, v9
	ds_store_b64 v41, v[9:10] offset:14336
.LBB122_19:                             ;   in Loop: Header=BB122_13 Depth=1
	s_or_b32 exec_lo, exec_lo, s13
.LBB122_20:                             ;   in Loop: Header=BB122_13 Depth=1
	s_delay_alu instid0(SALU_CYCLE_1)
	s_or_b32 exec_lo, exec_lo, s12
.LBB122_21:                             ;   in Loop: Header=BB122_13 Depth=1
	s_delay_alu instid0(SALU_CYCLE_1)
	s_or_b32 exec_lo, exec_lo, s11
	s_and_saveexec_b32 s11, s1
	s_cbranch_execz .LBB122_23
; %bb.22:                               ;   in Loop: Header=BB122_13 Depth=1
	v_dual_mov_b32 v23, s36 :: v_dual_mov_b32 v24, s37
	ds_store_b64 v9, v[23:24] offset:18560
.LBB122_23:                             ;   in Loop: Header=BB122_13 Depth=1
	s_or_b32 exec_lo, exec_lo, s11
	v_dual_mov_b32 v23, s36 :: v_dual_mov_b32 v24, s37
	s_and_not1_b32 vcc_lo, exec_lo, s57
	s_waitcnt vmcnt(0) lgkmcnt(0)
	s_barrier
	buffer_gl0_inv
	s_cbranch_vccnz .LBB122_59
; %bb.24:                               ;   in Loop: Header=BB122_13 Depth=1
	v_cmp_ne_u64_e64 s11, 0, v[19:20]
	v_dual_mov_b32 v23, s36 :: v_dual_mov_b32 v24, s37
	s_mov_b64 s[42:43], s[34:35]
	s_branch .LBB122_26
.LBB122_25:                             ;   in Loop: Header=BB122_26 Depth=2
	s_or_b32 exec_lo, exec_lo, s13
	s_add_u32 s42, s42, 4
	s_addc_u32 s43, s43, 0
	s_delay_alu instid0(SALU_CYCLE_1) | instskip(NEXT) | instid1(VALU_DEP_1)
	v_cmp_lt_i64_e64 s12, s[42:43], s[44:45]
	s_and_b32 vcc_lo, exec_lo, s12
	s_cbranch_vccz .LBB122_59
.LBB122_26:                             ;   Parent Loop BB122_13 Depth=1
                                        ; =>  This Loop Header: Depth=2
                                        ;       Child Loop BB122_40 Depth 3
                                        ;         Child Loop BB122_52 Depth 4
                                        ;         Child Loop BB122_48 Depth 4
	;; [unrolled: 1-line block ×3, first 2 shown]
	v_add_co_u32 v25, s12, s42, v5
	s_delay_alu instid0(VALU_DEP_1) | instskip(NEXT) | instid1(VALU_DEP_1)
	v_add_co_ci_u32_e64 v26, null, s43, 0, s12
	s_waitcnt_vscnt null, 0x0
	s_barrier
	buffer_gl0_inv
	v_cmp_gt_i64_e64 s12, s[44:45], v[25:26]
	s_delay_alu instid0(VALU_DEP_1)
	s_and_saveexec_b32 s13, s12
	s_cbranch_execz .LBB122_30
; %bb.27:                               ;   in Loop: Header=BB122_26 Depth=2
	v_mov_b32_e32 v27, 0
	v_mov_b32_e32 v28, 0
	s_and_saveexec_b32 s50, s58
	s_cbranch_execz .LBB122_29
; %bb.28:                               ;   in Loop: Header=BB122_26 Depth=2
	v_mul_lo_u32 v10, v26, s18
	v_mul_lo_u32 v29, v25, s19
	v_mad_u64_u32 v[27:28], null, v25, s18, 0
	s_delay_alu instid0(VALU_DEP_1) | instskip(NEXT) | instid1(VALU_DEP_1)
	v_add3_u32 v28, v28, v29, v10
	v_lshlrev_b64 v[27:28], 3, v[27:28]
	s_delay_alu instid0(VALU_DEP_1) | instskip(NEXT) | instid1(VALU_DEP_2)
	v_add_co_u32 v27, vcc_lo, v8, v27
	v_add_co_ci_u32_e32 v28, vcc_lo, v43, v28, vcc_lo
	global_load_b64 v[27:28], v[27:28], off
.LBB122_29:                             ;   in Loop: Header=BB122_26 Depth=2
	s_or_b32 exec_lo, exec_lo, s50
	s_waitcnt vmcnt(0)
	ds_store_b64 v42, v[27:28]
.LBB122_30:                             ;   in Loop: Header=BB122_26 Depth=2
	s_or_b32 exec_lo, exec_lo, s13
	v_mov_b32_e32 v27, 0
	v_lshlrev_b64 v[25:26], 3, v[25:26]
	v_mov_b32_e32 v28, 0
	s_waitcnt lgkmcnt(0)
	s_barrier
	buffer_gl0_inv
	s_and_saveexec_b32 s53, s12
	s_cbranch_execz .LBB122_57
; %bb.31:                               ;   in Loop: Header=BB122_26 Depth=2
	v_add_co_u32 v27, vcc_lo, s20, v25
	v_add_co_ci_u32_e32 v28, vcc_lo, s21, v26, vcc_lo
	s_and_b32 vcc_lo, exec_lo, s11
	global_load_b64 v[29:30], v[27:28], off
	s_cbranch_vccz .LBB122_33
; %bb.32:                               ;   in Loop: Header=BB122_26 Depth=2
	v_add_co_u32 v27, vcc_lo, s46, v25
	v_add_co_ci_u32_e32 v28, vcc_lo, s47, v26, vcc_lo
	s_mov_b32 s13, 0
	global_load_b64 v[27:28], v[27:28], off
	s_branch .LBB122_34
.LBB122_33:                             ;   in Loop: Header=BB122_26 Depth=2
	s_mov_b32 s13, -1
                                        ; implicit-def: $vgpr27_vgpr28
.LBB122_34:                             ;   in Loop: Header=BB122_26 Depth=2
	s_waitcnt vmcnt(0)
	v_sub_co_u32 v29, vcc_lo, v29, s28
	v_subrev_co_ci_u32_e32 v30, vcc_lo, 0, v30, vcc_lo
	s_and_not1_b32 vcc_lo, exec_lo, s13
	s_delay_alu instid0(VALU_DEP_1)
	v_lshlrev_b64 v[29:30], 3, v[29:30]
	s_cbranch_vccnz .LBB122_36
; %bb.35:                               ;   in Loop: Header=BB122_26 Depth=2
	s_delay_alu instid0(VALU_DEP_1) | instskip(NEXT) | instid1(VALU_DEP_2)
	v_add_co_u32 v27, vcc_lo, s24, v29
	v_add_co_ci_u32_e32 v28, vcc_lo, s25, v30, vcc_lo
	global_load_b64 v[27:28], v[27:28], off
	s_waitcnt vmcnt(0)
	v_sub_co_u32 v27, vcc_lo, v27, s29
	v_subrev_co_ci_u32_e32 v28, vcc_lo, 0, v28, vcc_lo
.LBB122_36:                             ;   in Loop: Header=BB122_26 Depth=2
	s_delay_alu instid0(VALU_DEP_1) | instskip(NEXT) | instid1(VALU_DEP_2)
	v_add_co_u32 v29, vcc_lo, s59, v29
	v_add_co_ci_u32_e32 v30, vcc_lo, s60, v30, vcc_lo
	s_mov_b32 s62, exec_lo
	global_load_b64 v[29:30], v[29:30], off
	s_waitcnt vmcnt(0)
	v_sub_co_u32 v29, vcc_lo, v29, s29
	v_subrev_co_ci_u32_e32 v30, vcc_lo, 0, v30, vcc_lo
	s_delay_alu instid0(VALU_DEP_1)
	v_cmpx_lt_i64_e64 v[27:28], v[29:30]
	s_cbranch_execz .LBB122_56
; %bb.37:                               ;   in Loop: Header=BB122_26 Depth=2
	v_mad_u64_u32 v[35:36], null, s16, v27, v[11:12]
	v_mul_lo_u32 v10, s16, v28
	v_mul_lo_u32 v33, s17, v27
	v_mad_u64_u32 v[31:32], null, s40, v27, v[13:14]
	v_mul_lo_u32 v37, s40, v28
	s_mov_b32 s63, 0
	v_mul_lo_u32 v38, s39, v35
	s_delay_alu instid0(VALU_DEP_4) | instskip(SKIP_2) | instid1(VALU_DEP_3)
	v_add3_u32 v10, v33, v36, v10
	v_mul_lo_u32 v36, s41, v27
	v_mad_u64_u32 v[33:34], null, s38, v35, s[48:49]
	v_mul_lo_u32 v10, s38, v10
	s_delay_alu instid0(VALU_DEP_3) | instskip(SKIP_1) | instid1(VALU_DEP_3)
	v_add3_u32 v32, v36, v32, v37
	v_dual_mov_b32 v36, v28 :: v_dual_mov_b32 v35, v27
	v_add3_u32 v34, v38, v34, v10
	s_branch .LBB122_40
.LBB122_38:                             ;   in Loop: Header=BB122_40 Depth=3
	s_or_b32 exec_lo, exec_lo, s65
	s_delay_alu instid0(SALU_CYCLE_1)
	s_or_b32 s13, s13, exec_lo
.LBB122_39:                             ;   in Loop: Header=BB122_40 Depth=3
	s_or_b32 exec_lo, exec_lo, s64
	v_add_co_u32 v27, vcc_lo, v27, 1
	v_add_co_ci_u32_e32 v28, vcc_lo, 0, v28, vcc_lo
	s_xor_b32 s50, s13, -1
	v_add_co_u32 v33, s13, v33, s40
	s_delay_alu instid0(VALU_DEP_2)
	v_cmp_ge_i64_e32 vcc_lo, v[27:28], v[29:30]
	v_add_co_ci_u32_e64 v34, s13, s41, v34, s13
	s_or_b32 s13, s50, vcc_lo
	v_add_co_u32 v31, vcc_lo, v31, s40
	v_add_co_ci_u32_e32 v32, vcc_lo, s41, v32, vcc_lo
	s_and_b32 s13, exec_lo, s13
	s_delay_alu instid0(SALU_CYCLE_1) | instskip(NEXT) | instid1(SALU_CYCLE_1)
	s_or_b32 s63, s13, s63
	s_and_not1_b32 exec_lo, exec_lo, s63
	s_cbranch_execz .LBB122_55
.LBB122_40:                             ;   Parent Loop BB122_13 Depth=1
                                        ;     Parent Loop BB122_26 Depth=2
                                        ; =>    This Loop Header: Depth=3
                                        ;         Child Loop BB122_52 Depth 4
                                        ;         Child Loop BB122_48 Depth 4
                                        ;         Child Loop BB122_54 Depth 4
	v_lshlrev_b64 v[37:38], 3, v[27:28]
	s_delay_alu instid0(VALU_DEP_1) | instskip(NEXT) | instid1(VALU_DEP_2)
	v_add_co_u32 v37, vcc_lo, s26, v37
	v_add_co_ci_u32_e32 v38, vcc_lo, s27, v38, vcc_lo
	global_load_b64 v[37:38], v[37:38], off
	s_waitcnt vmcnt(0)
	v_sub_co_u32 v37, vcc_lo, v37, s29
	v_subrev_co_ci_u32_e32 v38, vcc_lo, 0, v38, vcc_lo
	s_delay_alu instid0(VALU_DEP_1) | instskip(SKIP_1) | instid1(VALU_DEP_2)
	v_cmp_lt_i64_e64 s13, v[37:38], v[19:20]
	v_cmp_ge_i64_e32 vcc_lo, v[37:38], v[21:22]
	s_or_b32 s50, s13, vcc_lo
                                        ; implicit-def: $sgpr13
	s_delay_alu instid0(SALU_CYCLE_1) | instskip(NEXT) | instid1(SALU_CYCLE_1)
	s_and_saveexec_b32 s51, s50
	s_xor_b32 s50, exec_lo, s51
	s_cbranch_execz .LBB122_44
; %bb.41:                               ;   in Loop: Header=BB122_40 Depth=3
	s_mov_b32 s51, -1
	s_and_saveexec_b32 s13, vcc_lo
; %bb.42:                               ;   in Loop: Header=BB122_40 Depth=3
	v_cmp_lt_i64_e32 vcc_lo, v[37:38], v[23:24]
	v_dual_mov_b32 v36, v28 :: v_dual_mov_b32 v35, v27
	s_xor_b32 s51, exec_lo, -1
	v_dual_cndmask_b32 v24, v24, v38 :: v_dual_cndmask_b32 v23, v23, v37
; %bb.43:                               ;   in Loop: Header=BB122_40 Depth=3
	s_or_b32 exec_lo, exec_lo, s13
	s_delay_alu instid0(SALU_CYCLE_1)
	s_and_b32 s13, s51, exec_lo
                                        ; implicit-def: $vgpr37_vgpr38
.LBB122_44:                             ;   in Loop: Header=BB122_40 Depth=3
	s_and_not1_saveexec_b32 s64, s50
	s_cbranch_execz .LBB122_39
; %bb.45:                               ;   in Loop: Header=BB122_40 Depth=3
	v_sub_nc_u32_e32 v10, v37, v19
	s_delay_alu instid0(VALU_DEP_1)
	v_lshlrev_b32_e32 v37, 2, v10
	ds_store_b32 v37, v60 offset:18432
	s_and_saveexec_b32 s65, s54
	s_cbranch_execz .LBB122_38
; %bb.46:                               ;   in Loop: Header=BB122_40 Depth=3
	s_and_not1_b32 vcc_lo, exec_lo, s55
	s_cbranch_vccnz .LBB122_50
; %bb.47:                               ;   in Loop: Header=BB122_40 Depth=3
	v_dual_mov_b32 v37, 0 :: v_dual_mov_b32 v40, v34
	v_dual_mov_b32 v38, 0 :: v_dual_mov_b32 v61, v0
	v_mov_b32_e32 v39, v33
	s_mov_b64 s[50:51], s[38:39]
.LBB122_48:                             ;   Parent Loop BB122_13 Depth=1
                                        ;     Parent Loop BB122_26 Depth=2
                                        ;       Parent Loop BB122_40 Depth=3
                                        ; =>      This Inner Loop Header: Depth=4
	global_load_b64 v[62:63], v[39:40], off
	ds_load_b64 v[64:65], v61
	v_add_co_u32 v39, vcc_lo, v39, 8
	v_add_co_ci_u32_e32 v40, vcc_lo, 0, v40, vcc_lo
	s_add_u32 s50, s50, -1
	v_add_nc_u32_e32 v61, 64, v61
	s_addc_u32 s51, s51, -1
	s_delay_alu instid0(SALU_CYCLE_1)
	s_cmp_lg_u64 s[50:51], 0
	s_waitcnt vmcnt(0) lgkmcnt(0)
	v_fma_f64 v[37:38], v[64:65], v[62:63], v[37:38]
	s_cbranch_scc1 .LBB122_48
; %bb.49:                               ;   in Loop: Header=BB122_40 Depth=3
	s_branch .LBB122_53
.LBB122_50:                             ;   in Loop: Header=BB122_40 Depth=3
                                        ; implicit-def: $vgpr37_vgpr38
	s_cbranch_execz .LBB122_53
; %bb.51:                               ;   in Loop: Header=BB122_40 Depth=3
	v_dual_mov_b32 v37, 0 :: v_dual_mov_b32 v40, v32
	v_dual_mov_b32 v38, 0 :: v_dual_mov_b32 v61, v58
	v_mov_b32_e32 v39, v31
	s_mov_b64 s[50:51], s[38:39]
.LBB122_52:                             ;   Parent Loop BB122_13 Depth=1
                                        ;     Parent Loop BB122_26 Depth=2
                                        ;       Parent Loop BB122_40 Depth=3
                                        ; =>      This Inner Loop Header: Depth=4
	global_load_b64 v[62:63], v[39:40], off
	ds_load_b64 v[64:65], v61
	v_add_co_u32 v39, vcc_lo, v39, s16
	s_add_u32 s50, s50, -1
	v_add_co_ci_u32_e32 v40, vcc_lo, s17, v40, vcc_lo
	v_add_nc_u32_e32 v61, 8, v61
	s_addc_u32 s51, s51, -1
	s_delay_alu instid0(SALU_CYCLE_1)
	s_cmp_eq_u64 s[50:51], 0
	s_waitcnt vmcnt(0) lgkmcnt(0)
	v_fma_f64 v[37:38], v[64:65], v[62:63], v[37:38]
	s_cbranch_scc0 .LBB122_52
.LBB122_53:                             ;   in Loop: Header=BB122_40 Depth=3
	s_delay_alu instid0(VALU_DEP_1) | instskip(SKIP_2) | instid1(VALU_DEP_1)
	v_mul_f64 v[37:38], v[1:2], v[37:38]
	v_lshlrev_b32_e32 v10, 6, v10
	s_mov_b32 s50, 0
	v_or3_b32 v10, v10, v44, v7
	s_delay_alu instid0(VALU_DEP_1)
	v_lshlrev_b32_e32 v10, 3, v10
	ds_load_b64 v[39:40], v10
.LBB122_54:                             ;   Parent Loop BB122_13 Depth=1
                                        ;     Parent Loop BB122_26 Depth=2
                                        ;       Parent Loop BB122_40 Depth=3
                                        ; =>      This Inner Loop Header: Depth=4
	s_waitcnt lgkmcnt(0)
	v_add_f64 v[61:62], v[39:40], v[37:38]
	ds_cmpstore_rtn_b64 v[61:62], v10, v[61:62], v[39:40]
	s_waitcnt lgkmcnt(0)
	v_cmp_eq_u64_e32 vcc_lo, v[61:62], v[39:40]
	v_dual_mov_b32 v39, v61 :: v_dual_mov_b32 v40, v62
	s_or_b32 s50, vcc_lo, s50
	s_delay_alu instid0(SALU_CYCLE_1)
	s_and_not1_b32 exec_lo, exec_lo, s50
	s_cbranch_execnz .LBB122_54
	s_branch .LBB122_38
.LBB122_55:                             ;   in Loop: Header=BB122_26 Depth=2
	s_or_b32 exec_lo, exec_lo, s63
	v_dual_mov_b32 v27, v35 :: v_dual_mov_b32 v28, v36
.LBB122_56:                             ;   in Loop: Header=BB122_26 Depth=2
	s_or_b32 exec_lo, exec_lo, s62
.LBB122_57:                             ;   in Loop: Header=BB122_26 Depth=2
	s_delay_alu instid0(SALU_CYCLE_1)
	s_or_b32 exec_lo, exec_lo, s53
	s_waitcnt lgkmcnt(0)
	s_barrier
	buffer_gl0_inv
	s_and_saveexec_b32 s13, s12
	s_cbranch_execz .LBB122_25
; %bb.58:                               ;   in Loop: Header=BB122_26 Depth=2
	v_add_co_u32 v25, vcc_lo, s46, v25
	v_add_co_ci_u32_e32 v26, vcc_lo, s47, v26, vcc_lo
	global_store_b64 v[25:26], v[27:28], off
	s_branch .LBB122_25
.LBB122_59:                             ;   in Loop: Header=BB122_13 Depth=1
	s_and_not1_b32 vcc_lo, exec_lo, s33
	s_cbranch_vccnz .LBB122_72
; %bb.60:                               ;   in Loop: Header=BB122_13 Depth=1
	s_load_b128 s[64:67], s[22:23], 0x0
	s_mov_b32 s42, exec_lo
	s_waitcnt lgkmcnt(0)
	v_add_co_u32 v25, vcc_lo, s64, v45
	v_add_co_ci_u32_e32 v26, vcc_lo, s65, v46, vcc_lo
	s_sub_u32 s12, s66, s56
	s_subb_u32 s13, s67, 0
	s_delay_alu instid0(VALU_DEP_1) | instid1(SALU_CYCLE_1)
	v_cmpx_gt_i64_e64 s[12:13], v[25:26]
	s_cbranch_execz .LBB122_71
; %bb.61:                               ;   in Loop: Header=BB122_13 Depth=1
	s_mov_b32 s43, 0
	s_branch .LBB122_64
.LBB122_62:                             ;   in Loop: Header=BB122_64 Depth=2
	s_or_b32 exec_lo, exec_lo, s51
	s_delay_alu instid0(SALU_CYCLE_1)
	s_or_b32 s11, s11, exec_lo
.LBB122_63:                             ;   in Loop: Header=BB122_64 Depth=2
	s_or_b32 exec_lo, exec_lo, s50
	v_add_co_u32 v25, vcc_lo, v25, 4
	v_add_co_ci_u32_e32 v26, vcc_lo, 0, v26, vcc_lo
	s_xor_b32 s11, s11, -1
	s_delay_alu instid0(VALU_DEP_1) | instskip(SKIP_1) | instid1(SALU_CYCLE_1)
	v_cmp_le_i64_e32 vcc_lo, s[12:13], v[25:26]
	s_or_b32 s11, s11, vcc_lo
	s_and_b32 s11, exec_lo, s11
	s_delay_alu instid0(SALU_CYCLE_1) | instskip(NEXT) | instid1(SALU_CYCLE_1)
	s_or_b32 s43, s11, s43
	s_and_not1_b32 exec_lo, exec_lo, s43
	s_cbranch_execz .LBB122_70
.LBB122_64:                             ;   Parent Loop BB122_13 Depth=1
                                        ; =>  This Loop Header: Depth=2
                                        ;       Child Loop BB122_69 Depth 3
	v_lshlrev_b64 v[27:28], 3, v[25:26]
	s_delay_alu instid0(VALU_DEP_1) | instskip(NEXT) | instid1(VALU_DEP_2)
	v_add_co_u32 v27, vcc_lo, s14, v27
	v_add_co_ci_u32_e32 v28, vcc_lo, s15, v28, vcc_lo
	global_load_b64 v[27:28], v[27:28], off
	s_waitcnt vmcnt(0)
	v_sub_co_u32 v27, vcc_lo, v27, s56
	v_subrev_co_ci_u32_e32 v28, vcc_lo, 0, v28, vcc_lo
	s_delay_alu instid0(VALU_DEP_1)
	v_cmp_lt_i64_e32 vcc_lo, v[27:28], v[21:22]
	v_cmp_lt_i64_e64 s11, v[27:28], v[19:20]
	s_xor_b32 s50, vcc_lo, -1
	s_delay_alu instid0(VALU_DEP_1) | instid1(SALU_CYCLE_1)
	s_or_b32 s50, s11, s50
                                        ; implicit-def: $sgpr11
	s_delay_alu instid0(SALU_CYCLE_1) | instskip(NEXT) | instid1(SALU_CYCLE_1)
	s_and_saveexec_b32 s51, s50
	s_xor_b32 s50, exec_lo, s51
; %bb.65:                               ;   in Loop: Header=BB122_64 Depth=2
	v_cmp_lt_i64_e64 s11, v[27:28], v[23:24]
	s_delay_alu instid0(VALU_DEP_1) | instskip(SKIP_2) | instid1(VALU_DEP_1)
	v_cndmask_b32_e64 v10, v23, v27, s11
	v_cndmask_b32_e64 v27, v24, v28, s11
	s_and_b32 s11, vcc_lo, exec_lo
	v_dual_cndmask_b32 v23, v10, v23 :: v_dual_cndmask_b32 v24, v27, v24
                                        ; implicit-def: $vgpr27
; %bb.66:                               ;   in Loop: Header=BB122_64 Depth=2
	s_and_not1_saveexec_b32 s50, s50
	s_cbranch_execz .LBB122_63
; %bb.67:                               ;   in Loop: Header=BB122_64 Depth=2
	v_sub_nc_u32_e32 v10, v27, v19
	s_delay_alu instid0(VALU_DEP_1)
	v_lshlrev_b32_e32 v27, 2, v10
	ds_store_b32 v27, v60 offset:18432
	s_and_saveexec_b32 s51, s58
	s_cbranch_execz .LBB122_62
; %bb.68:                               ;   in Loop: Header=BB122_64 Depth=2
	v_mul_lo_u32 v29, v26, s18
	v_mul_lo_u32 v30, v25, s19
	v_mad_u64_u32 v[27:28], null, v25, s18, 0
	v_lshlrev_b32_e32 v10, 6, v10
	s_mov_b32 s53, 0
	s_delay_alu instid0(VALU_DEP_1) | instskip(NEXT) | instid1(VALU_DEP_3)
	v_or3_b32 v10, v10, v44, v7
	v_add3_u32 v28, v28, v30, v29
	s_delay_alu instid0(VALU_DEP_2) | instskip(NEXT) | instid1(VALU_DEP_2)
	v_lshlrev_b32_e32 v10, 3, v10
	v_lshlrev_b64 v[27:28], 3, v[27:28]
	ds_load_b64 v[29:30], v10
	v_add_co_u32 v27, vcc_lo, v57, v27
	v_add_co_ci_u32_e32 v28, vcc_lo, v56, v28, vcc_lo
	global_load_b64 v[27:28], v[27:28], off
	s_waitcnt vmcnt(0)
	v_mul_f64 v[27:28], v[3:4], v[27:28]
.LBB122_69:                             ;   Parent Loop BB122_13 Depth=1
                                        ;     Parent Loop BB122_64 Depth=2
                                        ; =>    This Inner Loop Header: Depth=3
	s_waitcnt lgkmcnt(0)
	s_delay_alu instid0(VALU_DEP_1)
	v_add_f64 v[31:32], v[29:30], v[27:28]
	ds_cmpstore_rtn_b64 v[31:32], v10, v[31:32], v[29:30]
	s_waitcnt lgkmcnt(0)
	v_cmp_eq_u64_e32 vcc_lo, v[31:32], v[29:30]
	v_dual_mov_b32 v29, v31 :: v_dual_mov_b32 v30, v32
	s_or_b32 s53, vcc_lo, s53
	s_delay_alu instid0(SALU_CYCLE_1)
	s_and_not1_b32 exec_lo, exec_lo, s53
	s_cbranch_execnz .LBB122_69
	s_branch .LBB122_62
.LBB122_70:                             ;   in Loop: Header=BB122_13 Depth=1
	s_or_b32 exec_lo, exec_lo, s43
.LBB122_71:                             ;   in Loop: Header=BB122_13 Depth=1
	s_delay_alu instid0(SALU_CYCLE_1)
	s_or_b32 exec_lo, exec_lo, s42
.LBB122_72:                             ;   in Loop: Header=BB122_13 Depth=1
	s_and_saveexec_b32 s11, s2
	s_cbranch_execz .LBB122_77
; %bb.73:                               ;   in Loop: Header=BB122_13 Depth=1
	s_mov_b32 s42, exec_lo
	s_mov_b64 s[12:13], -1
.LBB122_74:                             ;   Parent Loop BB122_13 Depth=1
                                        ; =>  This Inner Loop Header: Depth=2
	s_ctz_i32_b32 s43, s42
	s_delay_alu instid0(SALU_CYCLE_1) | instskip(SKIP_1) | instid1(VALU_DEP_1)
	v_readlane_b32 s51, v24, s43
	v_readlane_b32 s50, v23, s43
	v_cmp_lt_u64_e64 s53, s[12:13], s[50:51]
	s_delay_alu instid0(VALU_DEP_1) | instskip(SKIP_3) | instid1(SALU_CYCLE_1)
	s_and_b32 s53, s53, exec_lo
	s_cselect_b32 s13, s13, s51
	s_cselect_b32 s12, s12, s50
	s_lshl_b32 s43, 1, s43
	s_and_not1_b32 s42, s42, s43
	s_delay_alu instid0(SALU_CYCLE_1)
	s_cmp_lg_u32 s42, 0
	s_cbranch_scc1 .LBB122_74
; %bb.75:                               ;   in Loop: Header=BB122_13 Depth=1
	v_mbcnt_lo_u32_b32 v10, exec_lo, 0
	s_mov_b32 s42, exec_lo
	s_delay_alu instid0(VALU_DEP_1)
	v_cmpx_eq_u32_e32 0, v10
	s_xor_b32 s42, exec_lo, s42
	s_cbranch_execz .LBB122_77
; %bb.76:                               ;   in Loop: Header=BB122_13 Depth=1
	v_dual_mov_b32 v22, s13 :: v_dual_mov_b32 v21, s12
	ds_min_u64 v9, v[21:22] offset:18560
.LBB122_77:                             ;   in Loop: Header=BB122_13 Depth=1
	s_or_b32 exec_lo, exec_lo, s11
	s_waitcnt lgkmcnt(0)
	s_waitcnt_vscnt null, 0x0
	s_barrier
	buffer_gl0_inv
	ds_load_b32 v21, v47
	s_waitcnt lgkmcnt(0)
	s_barrier
	buffer_gl0_inv
	s_and_saveexec_b32 s11, s3
	s_cbranch_execz .LBB122_79
; %bb.78:                               ;   in Loop: Header=BB122_13 Depth=1
	ds_load_b32 v10, v48
	s_waitcnt lgkmcnt(0)
	v_add_nc_u32_e32 v21, v10, v21
.LBB122_79:                             ;   in Loop: Header=BB122_13 Depth=1
	s_or_b32 exec_lo, exec_lo, s11
	s_barrier
	buffer_gl0_inv
	ds_store_b32 v47, v21
	s_waitcnt lgkmcnt(0)
	s_barrier
	buffer_gl0_inv
	s_and_saveexec_b32 s11, s4
	s_cbranch_execz .LBB122_81
; %bb.80:                               ;   in Loop: Header=BB122_13 Depth=1
	ds_load_b32 v10, v50
	s_waitcnt lgkmcnt(0)
	v_add_nc_u32_e32 v21, v10, v21
.LBB122_81:                             ;   in Loop: Header=BB122_13 Depth=1
	s_or_b32 exec_lo, exec_lo, s11
	s_barrier
	buffer_gl0_inv
	ds_store_b32 v47, v21
	;; [unrolled: 14-line block ×5, first 2 shown]
	s_waitcnt lgkmcnt(0)
	s_barrier
	buffer_gl0_inv
	ds_load_b32 v10, v9 offset:18556
	v_mov_b32_e32 v22, 0
	s_and_saveexec_b32 s11, s31
	s_cbranch_execz .LBB122_89
; %bb.88:                               ;   in Loop: Header=BB122_13 Depth=1
	ds_load_b32 v22, v48
.LBB122_89:                             ;   in Loop: Header=BB122_13 Depth=1
	s_or_b32 exec_lo, exec_lo, s11
	s_waitcnt lgkmcnt(0)
	v_cmp_eq_u32_e32 vcc_lo, v21, v22
	s_barrier
	buffer_gl0_inv
	s_and_b32 s12, s31, vcc_lo
	s_delay_alu instid0(SALU_CYCLE_1)
	s_and_saveexec_b32 s11, s12
	s_cbranch_execz .LBB122_91
; %bb.90:                               ;   in Loop: Header=BB122_13 Depth=1
	ds_store_b32 v47, v9
.LBB122_91:                             ;   in Loop: Header=BB122_13 Depth=1
	s_or_b32 exec_lo, exec_lo, s11
	v_add_co_u32 v21, vcc_lo, v15, -1
	v_add_co_ci_u32_e32 v22, vcc_lo, -1, v16, vcc_lo
	v_add_co_u32 v23, vcc_lo, s30, v19
	v_add_co_ci_u32_e32 v24, vcc_lo, 0, v20, vcc_lo
	v_dual_mov_b32 v25, v59 :: v_dual_mov_b32 v26, v41
	v_dual_mov_b32 v20, v6 :: v_dual_mov_b32 v19, v5
	s_mov_b32 s11, 0
	s_waitcnt lgkmcnt(0)
	s_barrier
	buffer_gl0_inv
	s_branch .LBB122_93
.LBB122_92:                             ;   in Loop: Header=BB122_93 Depth=2
	s_or_b32 exec_lo, exec_lo, s12
	v_add_co_u32 v19, vcc_lo, v19, 4
	v_add_co_ci_u32_e32 v20, vcc_lo, 0, v20, vcc_lo
	v_add_nc_u32_e32 v26, 0x800, v26
	s_delay_alu instid0(VALU_DEP_3) | instskip(SKIP_1) | instid1(VALU_DEP_2)
	v_add_nc_u32_e32 v27, -4, v19
	v_add_nc_u32_e32 v25, 16, v25
	v_cmp_lt_u32_e32 vcc_lo, 27, v27
	s_or_b32 s11, vcc_lo, s11
	s_delay_alu instid0(SALU_CYCLE_1)
	s_and_not1_b32 exec_lo, exec_lo, s11
	s_cbranch_execz .LBB122_12
.LBB122_93:                             ;   Parent Loop BB122_13 Depth=1
                                        ; =>  This Inner Loop Header: Depth=2
	ds_load_b32 v27, v25
	s_mov_b32 s12, exec_lo
	s_waitcnt lgkmcnt(0)
	v_cmpx_ne_u32_e32 0, v27
	s_cbranch_execz .LBB122_92
; %bb.94:                               ;   in Loop: Header=BB122_93 Depth=2
	v_ashrrev_i32_e32 v28, 31, v27
	v_add_co_u32 v29, vcc_lo, v15, v27
	s_delay_alu instid0(VALU_DEP_2) | instskip(SKIP_2) | instid1(VALU_DEP_3)
	v_add_co_ci_u32_e32 v30, vcc_lo, v16, v28, vcc_lo
	v_add_co_u32 v31, vcc_lo, v23, v19
	v_add_co_ci_u32_e32 v32, vcc_lo, v24, v20, vcc_lo
	v_lshlrev_b64 v[29:30], 3, v[29:30]
	s_delay_alu instid0(VALU_DEP_1) | instskip(NEXT) | instid1(VALU_DEP_2)
	v_add_co_u32 v29, vcc_lo, s61, v29
	v_add_co_ci_u32_e32 v30, vcc_lo, s52, v30, vcc_lo
	global_store_b64 v[29:30], v[31:32], off
	s_and_b32 exec_lo, exec_lo, s58
	s_cbranch_execz .LBB122_92
; %bb.95:                               ;   in Loop: Header=BB122_93 Depth=2
	v_add_co_u32 v29, vcc_lo, v21, v27
	v_add_co_ci_u32_e32 v27, vcc_lo, v22, v28, vcc_lo
	s_delay_alu instid0(VALU_DEP_2) | instskip(NEXT) | instid1(VALU_DEP_2)
	v_mul_lo_u32 v32, v29, s19
	v_mul_lo_u32 v31, v27, s18
	v_mad_u64_u32 v[27:28], null, v29, s18, 0
	ds_load_b64 v[29:30], v26
	v_add3_u32 v28, v28, v32, v31
	s_delay_alu instid0(VALU_DEP_1) | instskip(NEXT) | instid1(VALU_DEP_1)
	v_lshlrev_b64 v[27:28], 3, v[27:28]
	v_add_co_u32 v27, vcc_lo, v55, v27
	s_delay_alu instid0(VALU_DEP_2)
	v_add_co_ci_u32_e32 v28, vcc_lo, v54, v28, vcc_lo
	s_waitcnt lgkmcnt(0)
	global_store_b64 v[27:28], v[29:30], off
	s_branch .LBB122_92
.LBB122_96:
	s_endpgm
	.section	.rodata,"a",@progbits
	.p2align	6, 0x0
	.amdhsa_kernel _ZN9rocsparseL38bsrgemm_block_per_row_atomic_multipassILj256ELj32ELj8ElldEEv20rocsparse_direction_T3_S2_PKS2_S4_NS_24const_host_device_scalarIT4_EEPKT2_S4_PKS6_SA_S4_SC_S7_SA_S4_SC_SA_PS2_PS6_PS8_21rocsparse_index_base_SG_SG_SG_bbb
		.amdhsa_group_segment_fixed_size 18568
		.amdhsa_private_segment_fixed_size 0
		.amdhsa_kernarg_size 180
		.amdhsa_user_sgpr_count 15
		.amdhsa_user_sgpr_dispatch_ptr 0
		.amdhsa_user_sgpr_queue_ptr 0
		.amdhsa_user_sgpr_kernarg_segment_ptr 1
		.amdhsa_user_sgpr_dispatch_id 0
		.amdhsa_user_sgpr_private_segment_size 0
		.amdhsa_wavefront_size32 1
		.amdhsa_uses_dynamic_stack 0
		.amdhsa_enable_private_segment 0
		.amdhsa_system_sgpr_workgroup_id_x 1
		.amdhsa_system_sgpr_workgroup_id_y 0
		.amdhsa_system_sgpr_workgroup_id_z 0
		.amdhsa_system_sgpr_workgroup_info 0
		.amdhsa_system_vgpr_workitem_id 0
		.amdhsa_next_free_vgpr 66
		.amdhsa_next_free_sgpr 68
		.amdhsa_reserve_vcc 1
		.amdhsa_float_round_mode_32 0
		.amdhsa_float_round_mode_16_64 0
		.amdhsa_float_denorm_mode_32 3
		.amdhsa_float_denorm_mode_16_64 3
		.amdhsa_dx10_clamp 1
		.amdhsa_ieee_mode 1
		.amdhsa_fp16_overflow 0
		.amdhsa_workgroup_processor_mode 1
		.amdhsa_memory_ordered 1
		.amdhsa_forward_progress 0
		.amdhsa_shared_vgpr_count 0
		.amdhsa_exception_fp_ieee_invalid_op 0
		.amdhsa_exception_fp_denorm_src 0
		.amdhsa_exception_fp_ieee_div_zero 0
		.amdhsa_exception_fp_ieee_overflow 0
		.amdhsa_exception_fp_ieee_underflow 0
		.amdhsa_exception_fp_ieee_inexact 0
		.amdhsa_exception_int_div_zero 0
	.end_amdhsa_kernel
	.section	.text._ZN9rocsparseL38bsrgemm_block_per_row_atomic_multipassILj256ELj32ELj8ElldEEv20rocsparse_direction_T3_S2_PKS2_S4_NS_24const_host_device_scalarIT4_EEPKT2_S4_PKS6_SA_S4_SC_S7_SA_S4_SC_SA_PS2_PS6_PS8_21rocsparse_index_base_SG_SG_SG_bbb,"axG",@progbits,_ZN9rocsparseL38bsrgemm_block_per_row_atomic_multipassILj256ELj32ELj8ElldEEv20rocsparse_direction_T3_S2_PKS2_S4_NS_24const_host_device_scalarIT4_EEPKT2_S4_PKS6_SA_S4_SC_S7_SA_S4_SC_SA_PS2_PS6_PS8_21rocsparse_index_base_SG_SG_SG_bbb,comdat
.Lfunc_end122:
	.size	_ZN9rocsparseL38bsrgemm_block_per_row_atomic_multipassILj256ELj32ELj8ElldEEv20rocsparse_direction_T3_S2_PKS2_S4_NS_24const_host_device_scalarIT4_EEPKT2_S4_PKS6_SA_S4_SC_S7_SA_S4_SC_SA_PS2_PS6_PS8_21rocsparse_index_base_SG_SG_SG_bbb, .Lfunc_end122-_ZN9rocsparseL38bsrgemm_block_per_row_atomic_multipassILj256ELj32ELj8ElldEEv20rocsparse_direction_T3_S2_PKS2_S4_NS_24const_host_device_scalarIT4_EEPKT2_S4_PKS6_SA_S4_SC_S7_SA_S4_SC_SA_PS2_PS6_PS8_21rocsparse_index_base_SG_SG_SG_bbb
                                        ; -- End function
	.section	.AMDGPU.csdata,"",@progbits
; Kernel info:
; codeLenInByte = 4184
; NumSgprs: 70
; NumVgprs: 66
; ScratchSize: 0
; MemoryBound: 0
; FloatMode: 240
; IeeeMode: 1
; LDSByteSize: 18568 bytes/workgroup (compile time only)
; SGPRBlocks: 8
; VGPRBlocks: 8
; NumSGPRsForWavesPerEU: 70
; NumVGPRsForWavesPerEU: 66
; Occupancy: 14
; WaveLimiterHint : 1
; COMPUTE_PGM_RSRC2:SCRATCH_EN: 0
; COMPUTE_PGM_RSRC2:USER_SGPR: 15
; COMPUTE_PGM_RSRC2:TRAP_HANDLER: 0
; COMPUTE_PGM_RSRC2:TGID_X_EN: 1
; COMPUTE_PGM_RSRC2:TGID_Y_EN: 0
; COMPUTE_PGM_RSRC2:TGID_Z_EN: 0
; COMPUTE_PGM_RSRC2:TIDIG_COMP_CNT: 0
	.section	.text._ZN9rocsparseL31bsrgemm_block_per_row_multipassILj256ELj8ELj16ElldEEv20rocsparse_direction_T3_S2_PKS2_S4_NS_24const_host_device_scalarIT4_EEPKT2_S4_PKS6_SA_S4_SC_S7_SA_S4_SC_SA_PS2_PS6_PS8_21rocsparse_index_base_SG_SG_SG_bbb,"axG",@progbits,_ZN9rocsparseL31bsrgemm_block_per_row_multipassILj256ELj8ELj16ElldEEv20rocsparse_direction_T3_S2_PKS2_S4_NS_24const_host_device_scalarIT4_EEPKT2_S4_PKS6_SA_S4_SC_S7_SA_S4_SC_SA_PS2_PS6_PS8_21rocsparse_index_base_SG_SG_SG_bbb,comdat
	.globl	_ZN9rocsparseL31bsrgemm_block_per_row_multipassILj256ELj8ELj16ElldEEv20rocsparse_direction_T3_S2_PKS2_S4_NS_24const_host_device_scalarIT4_EEPKT2_S4_PKS6_SA_S4_SC_S7_SA_S4_SC_SA_PS2_PS6_PS8_21rocsparse_index_base_SG_SG_SG_bbb ; -- Begin function _ZN9rocsparseL31bsrgemm_block_per_row_multipassILj256ELj8ELj16ElldEEv20rocsparse_direction_T3_S2_PKS2_S4_NS_24const_host_device_scalarIT4_EEPKT2_S4_PKS6_SA_S4_SC_S7_SA_S4_SC_SA_PS2_PS6_PS8_21rocsparse_index_base_SG_SG_SG_bbb
	.p2align	8
	.type	_ZN9rocsparseL31bsrgemm_block_per_row_multipassILj256ELj8ELj16ElldEEv20rocsparse_direction_T3_S2_PKS2_S4_NS_24const_host_device_scalarIT4_EEPKT2_S4_PKS6_SA_S4_SC_S7_SA_S4_SC_SA_PS2_PS6_PS8_21rocsparse_index_base_SG_SG_SG_bbb,@function
_ZN9rocsparseL31bsrgemm_block_per_row_multipassILj256ELj8ELj16ElldEEv20rocsparse_direction_T3_S2_PKS2_S4_NS_24const_host_device_scalarIT4_EEPKT2_S4_PKS6_SA_S4_SC_S7_SA_S4_SC_SA_PS2_PS6_PS8_21rocsparse_index_base_SG_SG_SG_bbb: ; @_ZN9rocsparseL31bsrgemm_block_per_row_multipassILj256ELj8ELj16ElldEEv20rocsparse_direction_T3_S2_PKS2_S4_NS_24const_host_device_scalarIT4_EEPKT2_S4_PKS6_SA_S4_SC_S7_SA_S4_SC_SA_PS2_PS6_PS8_21rocsparse_index_base_SG_SG_SG_bbb
; %bb.0:
	s_clause 0x3
	s_load_b32 s3, s[0:1], 0xb0
	s_load_b64 s[6:7], s[0:1], 0x28
	s_load_b128 s[24:27], s[0:1], 0xa0
	s_load_b64 s[4:5], s[0:1], 0x60
	s_mov_b32 s2, s15
	s_waitcnt lgkmcnt(0)
	s_and_b32 s9, 1, s3
	s_bitcmp1_b32 s3, 16
	s_cselect_b32 s8, -1, 0
	s_cmp_eq_u32 s9, 1
	s_cselect_b32 s48, -1, 0
	s_delay_alu instid0(SALU_CYCLE_1)
	s_and_b32 s9, s48, exec_lo
	s_cselect_b32 s11, s7, 0
	s_cselect_b32 s10, s6, 0
	s_xor_b32 s9, s48, -1
	v_dual_mov_b32 v1, s10 :: v_dual_mov_b32 v2, s11
	s_or_b32 s9, s9, s8
	s_delay_alu instid0(SALU_CYCLE_1)
	s_and_b32 vcc_lo, exec_lo, s9
	s_cbranch_vccnz .LBB123_2
; %bb.1:
	v_dual_mov_b32 v1, s6 :: v_dual_mov_b32 v2, s7
	flat_load_b64 v[1:2], v[1:2]
.LBB123_2:
	s_load_b64 s[6:7], s[0:1], 0x20
	s_bitcmp1_b32 s3, 8
	s_cselect_b32 s33, -1, 0
	s_delay_alu instid0(SALU_CYCLE_1)
	s_and_b32 s3, s33, exec_lo
	s_cselect_b32 s11, s5, 0
	s_cselect_b32 s10, s4, 0
	s_xor_b32 s3, s33, -1
	v_dual_mov_b32 v3, s10 :: v_dual_mov_b32 v4, s11
	s_or_b32 s3, s3, s8
	s_delay_alu instid0(SALU_CYCLE_1)
	s_and_b32 vcc_lo, exec_lo, s3
	s_cbranch_vccnz .LBB123_4
; %bb.3:
	v_dual_mov_b32 v3, s4 :: v_dual_mov_b32 v4, s5
	flat_load_b64 v[3:4], v[3:4]
.LBB123_4:
	s_load_b64 s[4:5], s[0:1], 0x30
	s_mov_b64 s[34:35], 0
	s_waitcnt lgkmcnt(0)
	s_cmp_eq_u64 s[6:7], 0
	s_mov_b32 s3, 0
	s_cbranch_scc1 .LBB123_6
; %bb.5:
	s_load_b64 s[8:9], s[0:1], 0x18
	s_waitcnt lgkmcnt(0)
	s_load_b64 s[8:9], s[8:9], 0x0
	s_waitcnt lgkmcnt(0)
	s_lshl_b64 s[8:9], s[8:9], 3
	s_delay_alu instid0(SALU_CYCLE_1) | instskip(SKIP_2) | instid1(SALU_CYCLE_1)
	s_add_u32 s6, s6, s8
	s_addc_u32 s7, s7, s9
	s_lshl_b64 s[2:3], s[2:3], 3
	s_add_u32 s2, s6, s2
	s_addc_u32 s3, s7, s3
	s_load_b64 s[2:3], s[2:3], 0x0
.LBB123_6:
	s_and_not1_b32 vcc_lo, exec_lo, s48
	s_cbranch_vccz .LBB123_9
; %bb.7:
	s_and_not1_b32 vcc_lo, exec_lo, s48
	s_mov_b64 s[40:41], 0
	s_cbranch_vccz .LBB123_10
.LBB123_8:
	s_load_b128 s[28:31], s[0:1], 0x8
	s_waitcnt lgkmcnt(0)
	v_cmp_lt_i64_e64 s4, s[28:29], 1
	s_delay_alu instid0(VALU_DEP_1)
	s_and_b32 vcc_lo, exec_lo, s4
	s_cbranch_vccz .LBB123_11
	s_branch .LBB123_98
.LBB123_9:
	s_waitcnt lgkmcnt(0)
	s_lshl_b64 s[6:7], s[2:3], 3
	s_delay_alu instid0(SALU_CYCLE_1)
	s_add_u32 s6, s4, s6
	s_addc_u32 s7, s5, s7
	s_load_b64 s[6:7], s[6:7], 0x0
	s_waitcnt lgkmcnt(0)
	s_sub_u32 s34, s6, s24
	s_subb_u32 s35, s7, 0
	s_and_not1_b32 vcc_lo, exec_lo, s48
	s_mov_b64 s[40:41], 0
	s_cbranch_vccnz .LBB123_8
.LBB123_10:
	s_waitcnt lgkmcnt(0)
	s_lshl_b64 s[6:7], s[2:3], 3
	s_delay_alu instid0(SALU_CYCLE_1)
	s_add_u32 s4, s4, s6
	s_addc_u32 s5, s5, s7
	s_load_b64 s[4:5], s[4:5], 0x8
	s_waitcnt lgkmcnt(0)
	s_sub_u32 s40, s4, s24
	s_subb_u32 s41, s5, 0
	s_load_b128 s[28:31], s[0:1], 0x8
	s_waitcnt lgkmcnt(0)
	v_cmp_lt_i64_e64 s4, s[28:29], 1
	s_delay_alu instid0(VALU_DEP_1)
	s_and_b32 vcc_lo, exec_lo, s4
	s_cbranch_vccnz .LBB123_98
.LBB123_11:
	s_load_b256 s[16:23], s[0:1], 0x68
	v_and_b32_e32 v5, 15, v0
	v_lshrrev_b32_e32 v11, 4, v0
	s_lshl_b64 s[6:7], s[2:3], 3
	s_clause 0x4
	s_load_b64 s[42:43], s[0:1], 0x98
	s_load_b128 s[36:39], s[0:1], 0x88
	s_load_b64 s[44:45], s[0:1], 0x58
	s_load_b256 s[8:15], s[0:1], 0x38
	s_load_b32 s46, s[0:1], 0x0
	v_mad_u64_u32 v[8:9], null, v5, s30, 0
	v_mad_u64_u32 v[13:14], null, v11, s30, 0
	s_mov_b32 s47, 0
	v_lshlrev_b32_e32 v41, 3, v0
	s_delay_alu instid0(VALU_DEP_3) | instskip(NEXT) | instid1(VALU_DEP_3)
	v_dual_mov_b32 v45, 1 :: v_dual_mov_b32 v6, v9
	v_mov_b32_e32 v7, v14
	s_waitcnt lgkmcnt(0)
	s_add_u32 s0, s22, s6
	s_delay_alu instid0(VALU_DEP_1)
	v_mad_u64_u32 v[9:10], null, v5, s31, v[6:7]
	s_addc_u32 s1, s23, s7
	v_mad_u64_u32 v[14:15], null, v11, s31, v[7:8]
	s_load_b64 s[2:3], s[0:1], 0x0
	v_mov_b32_e32 v7, 0
	v_cmp_lt_i64_e64 s22, s[34:35], s[40:41]
	s_delay_alu instid0(VALU_DEP_4)
	v_lshlrev_b64 v[15:16], 3, v[8:9]
	v_lshlrev_b32_e32 v9, 3, v5
	v_cmp_gt_u32_e64 s0, 8, v0
	v_mov_b32_e32 v6, v7
	v_mov_b32_e32 v12, v7
	v_lshlrev_b64 v[13:14], 3, v[13:14]
	s_delay_alu instid0(VALU_DEP_3) | instskip(NEXT) | instid1(VALU_DEP_3)
	v_cmp_gt_i64_e32 vcc_lo, s[30:31], v[5:6]
	v_lshlrev_b64 v[17:18], 3, v[11:12]
	v_add_co_u32 v6, s1, s20, v15
	s_delay_alu instid0(VALU_DEP_1) | instskip(SKIP_1) | instid1(VALU_DEP_1)
	v_add_co_ci_u32_e64 v8, s1, s21, v16, s1
	v_add_co_u32 v10, s1, s20, v13
	v_add_co_ci_u32_e64 v19, s1, s21, v14, s1
	s_delay_alu instid0(VALU_DEP_4)
	v_add_co_u32 v20, s1, v6, v17
	s_waitcnt lgkmcnt(0)
	s_sub_u32 s4, s2, s26
	v_add_co_ci_u32_e64 v8, s1, v8, v18, s1
	s_subb_u32 s5, s3, 0
	v_add_co_u32 v21, s1, v10, v9
	s_cmp_eq_u32 s46, 0
	v_add_co_ci_u32_e64 v19, s1, 0, v19, s1
	s_cselect_b32 s1, -1, 0
	s_cmp_lg_u32 s46, 0
	s_mul_i32 s3, s30, s31
	s_mul_hi_u32 s2, s30, s30
	s_cselect_b32 s62, -1, 0
	s_add_i32 s20, s2, s3
	v_cmp_gt_u64_e64 s2, s[30:31], v[11:12]
	s_add_i32 s21, s20, s3
	v_add_co_u32 v12, s3, s38, v15
	s_delay_alu instid0(VALU_DEP_1) | instskip(SKIP_1) | instid1(VALU_DEP_2)
	v_add_co_ci_u32_e64 v15, s3, s39, v16, s3
	s_add_u32 s16, s16, s6
	v_add_co_u32 v37, s3, v12, v17
	s_delay_alu instid0(VALU_DEP_1) | instskip(SKIP_1) | instid1(VALU_DEP_1)
	v_add_co_ci_u32_e64 v38, s3, v15, v18, s3
	v_add_co_u32 v12, s3, s38, v13
	v_add_co_ci_u32_e64 v13, s3, s39, v14, s3
	s_mul_i32 s20, s30, s30
	s_delay_alu instid0(VALU_DEP_2)
	v_add_co_u32 v39, s3, v12, v9
	s_addc_u32 s17, s17, s7
	s_and_b32 s63, s48, s22
	s_and_b32 s64, vcc_lo, s2
	v_add_co_ci_u32_e64 v40, s3, 0, v13, s3
	s_add_u32 s65, s12, 8
	s_addc_u32 s66, s13, 0
	s_mul_i32 s2, s34, s21
	s_mul_hi_u32 s3, s34, s20
	s_add_u32 s67, s36, -8
	s_addc_u32 s68, s37, -1
	s_add_i32 s2, s3, s2
	s_mul_i32 s3, s35, s20
	s_lshl_b64 s[22:23], s[30:31], 3
	s_add_i32 s3, s2, s3
	s_mul_i32 s2, s34, s20
	s_lshl_b64 s[38:39], s[20:21], 3
	s_lshl_b64 s[2:3], s[2:3], 3
	v_and_b32_e32 v6, 0xf0, v0
	s_add_u32 s6, s10, s2
	s_mul_i32 s2, s34, s31
	s_mul_hi_u32 s7, s34, s30
	s_addc_u32 s50, s11, s3
	s_add_i32 s2, s7, s2
	s_mul_i32 s3, s35, s30
	v_cndmask_b32_e64 v12, v8, v19, s1
	v_lshlrev_b32_e32 v8, 3, v11
	s_add_i32 s3, s2, s3
	s_mul_i32 s2, s34, s30
	v_or_b32_e32 v14, v6, v5
	s_lshl_b64 s[2:3], s[2:3], 3
	v_or_b32_e32 v13, 0x400, v0
	v_add_co_u32 v15, s2, s2, v8
	s_delay_alu instid0(VALU_DEP_3)
	v_lshlrev_b32_e32 v42, 3, v14
	v_add_co_ci_u32_e64 v14, null, s3, 0, s2
	v_cndmask_b32_e64 v11, v20, v21, s1
	v_cndmask_b32_e64 v43, v38, v40, s1
	;; [unrolled: 1-line block ×3, first 2 shown]
	v_cmp_gt_u32_e64 s1, 0x700, v13
	v_mul_lo_u32 v17, s30, v14
	v_mul_lo_u32 v18, s31, v15
	v_mad_u64_u32 v[13:14], null, s30, v15, s[10:11]
	s_mov_b32 s46, s27
	v_add_co_u32 v15, s6, s6, v8
	s_delay_alu instid0(VALU_DEP_1) | instskip(SKIP_1) | instid1(VALU_DEP_3)
	v_add_co_ci_u32_e64 v16, null, s50, 0, s6
	s_lshl_b64 s[6:7], s[46:47], 3
	v_add3_u32 v14, v18, v14, v17
	s_sub_u32 s69, s18, s6
	s_subb_u32 s70, s19, s7
	s_mov_b32 s7, s47
	v_add_co_u32 v17, s10, s44, v9
	s_mov_b32 s6, s47
	v_mov_b32_e32 v22, s5
	v_mov_b32_e32 v20, s7
	v_dual_mov_b32 v10, v7 :: v_dual_mov_b32 v21, s4
	v_cmp_gt_u32_e64 s2, 0x200, v0
	v_cmp_gt_u32_e64 s3, 0x100, v0
	v_add_co_ci_u32_e64 v18, null, s45, 0, s10
	v_mov_b32_e32 v19, s6
	s_sub_u32 s27, 1, s27
	s_mov_b64 s[48:49], 8
	s_subb_u32 s47, 0, 0
	s_mov_b64 s[18:19], 0
	s_branch .LBB123_14
.LBB123_12:                             ;   in Loop: Header=BB123_14 Depth=1
	s_or_b32 exec_lo, exec_lo, s4
.LBB123_13:                             ;   in Loop: Header=BB123_14 Depth=1
	v_cmp_lt_i64_e64 s4, s[10:11], s[28:29]
	s_waitcnt lgkmcnt(0)
	v_dual_mov_b32 v21, v23 :: v_dual_mov_b32 v22, v24
	s_waitcnt_vscnt null, 0x0
	s_barrier
	buffer_gl0_inv
	s_and_b32 vcc_lo, s4, exec_lo
	s_cselect_b32 s18, s10, s28
	s_cselect_b32 s19, s11, s29
	s_add_u32 s48, s18, 8
	s_addc_u32 s49, s19, 0
	s_barrier
	buffer_gl0_inv
	s_cbranch_vccz .LBB123_98
.LBB123_14:                             ; =>This Loop Header: Depth=1
                                        ;     Child Loop BB123_24 Depth 2
                                        ;       Child Loop BB123_29 Depth 3
                                        ;         Child Loop BB123_41 Depth 4
                                        ;         Child Loop BB123_37 Depth 4
                                        ;     Child Loop BB123_53 Depth 2
	s_and_saveexec_b32 s4, s0
	s_cbranch_execz .LBB123_16
; %bb.15:                               ;   in Loop: Header=BB123_14 Depth=1
	ds_store_b8 v0, v7 offset:16384
.LBB123_16:                             ;   in Loop: Header=BB123_14 Depth=1
	s_or_b32 exec_lo, exec_lo, s4
	ds_store_2addr_stride64_b64 v41, v[19:20], v[19:20] offset1:4
	ds_store_2addr_stride64_b64 v41, v[19:20], v[19:20] offset0:8 offset1:12
	ds_store_b64 v41, v[19:20] offset:8192
	s_and_saveexec_b32 s4, s1
	s_delay_alu instid0(SALU_CYCLE_1)
	s_xor_b32 s4, exec_lo, s4
	s_cbranch_execz .LBB123_22
; %bb.17:                               ;   in Loop: Header=BB123_14 Depth=1
	v_mov_b32_e32 v8, v7
	ds_store_b64 v41, v[7:8] offset:10240
	s_and_saveexec_b32 s5, s2
	s_delay_alu instid0(SALU_CYCLE_1)
	s_xor_b32 s5, exec_lo, s5
	s_cbranch_execz .LBB123_21
; %bb.18:                               ;   in Loop: Header=BB123_14 Depth=1
	ds_store_b64 v41, v[7:8] offset:12288
	s_and_saveexec_b32 s6, s3
	s_delay_alu instid0(SALU_CYCLE_1)
	s_xor_b32 s6, exec_lo, s6
	s_cbranch_execz .LBB123_20
; %bb.19:                               ;   in Loop: Header=BB123_14 Depth=1
	v_mov_b32_e32 v8, v7
	ds_store_b64 v41, v[7:8] offset:14336
.LBB123_20:                             ;   in Loop: Header=BB123_14 Depth=1
	s_or_b32 exec_lo, exec_lo, s6
.LBB123_21:                             ;   in Loop: Header=BB123_14 Depth=1
	s_delay_alu instid0(SALU_CYCLE_1)
	s_or_b32 exec_lo, exec_lo, s5
.LBB123_22:                             ;   in Loop: Header=BB123_14 Depth=1
	s_delay_alu instid0(SALU_CYCLE_1) | instskip(NEXT) | instid1(SALU_CYCLE_1)
	s_or_b32 exec_lo, exec_lo, s4
	s_and_not1_b32 vcc_lo, exec_lo, s63
	s_mov_b64 s[10:11], s[28:29]
	s_waitcnt vmcnt(0) lgkmcnt(0)
	s_barrier
	buffer_gl0_inv
	s_cbranch_vccnz .LBB123_50
; %bb.23:                               ;   in Loop: Header=BB123_14 Depth=1
	v_dual_mov_b32 v24, v14 :: v_dual_mov_b32 v23, v13
	v_dual_mov_b32 v26, v16 :: v_dual_mov_b32 v25, v15
	s_cmp_lg_u64 s[18:19], 0
	s_mov_b64 s[50:51], s[28:29]
	s_cselect_b32 s71, -1, 0
	s_mov_b64 s[4:5], s[34:35]
.LBB123_24:                             ;   Parent Loop BB123_14 Depth=1
                                        ; =>  This Loop Header: Depth=2
                                        ;       Child Loop BB123_29 Depth 3
                                        ;         Child Loop BB123_41 Depth 4
                                        ;         Child Loop BB123_37 Depth 4
	s_delay_alu instid0(SALU_CYCLE_1) | instskip(NEXT) | instid1(SALU_CYCLE_1)
	s_lshl_b64 s[6:7], s[4:5], 3
	s_add_u32 s10, s8, s6
	s_addc_u32 s11, s9, s7
	s_load_b64 s[10:11], s[10:11], 0x0
	s_waitcnt lgkmcnt(0)
	s_sub_u32 s10, s10, s24
	s_subb_u32 s11, s11, 0
	s_and_b32 vcc_lo, exec_lo, s71
	s_cbranch_vccz .LBB123_49
; %bb.25:                               ;   in Loop: Header=BB123_24 Depth=2
	s_add_u32 s52, s42, s6
	s_addc_u32 s53, s43, s7
	global_load_b64 v[27:28], v7, s[52:53]
	s_waitcnt vmcnt(0)
	v_readfirstlane_b32 s52, v27
	v_readfirstlane_b32 s53, v28
	s_cbranch_execnz .LBB123_27
.LBB123_26:                             ;   in Loop: Header=BB123_24 Depth=2
	s_lshl_b64 s[52:53], s[10:11], 3
	s_delay_alu instid0(SALU_CYCLE_1)
	s_add_u32 s52, s12, s52
	s_addc_u32 s53, s13, s53
	s_load_b64 s[52:53], s[52:53], 0x0
	s_waitcnt lgkmcnt(0)
	s_sub_u32 s52, s52, s25
	s_subb_u32 s53, s53, 0
.LBB123_27:                             ;   in Loop: Header=BB123_24 Depth=2
	s_lshl_b64 s[10:11], s[10:11], 3
	s_delay_alu instid0(SALU_CYCLE_1)
	s_add_u32 s10, s65, s10
	s_addc_u32 s11, s66, s11
	s_load_b64 s[10:11], s[10:11], 0x0
	s_waitcnt lgkmcnt(0)
	s_sub_u32 s54, s10, s25
	s_subb_u32 s55, s11, 0
	s_delay_alu instid0(SALU_CYCLE_1) | instskip(NEXT) | instid1(VALU_DEP_1)
	v_cmp_ge_i64_e64 s10, s[52:53], s[54:55]
	s_and_b32 vcc_lo, exec_lo, s10
	s_cbranch_vccnz .LBB123_46
; %bb.28:                               ;   in Loop: Header=BB123_24 Depth=2
	v_mad_u64_u32 v[29:30], null, s22, s52, v[9:10]
	s_mul_i32 s10, s23, s52
	s_mul_i32 s11, s22, s53
	s_mov_b64 s[56:57], s[52:53]
	s_delay_alu instid0(VALU_DEP_1) | instskip(NEXT) | instid1(VALU_DEP_2)
	v_add3_u32 v8, s11, s10, v30
	v_mul_lo_u32 v31, s31, v29
	v_mad_u64_u32 v[27:28], null, s30, v29, s[44:45]
	v_mad_u64_u32 v[29:30], null, s38, s52, v[17:18]
	s_delay_alu instid0(VALU_DEP_4)
	v_mul_lo_u32 v8, s30, v8
	s_mul_i32 s10, s39, s52
	s_mul_i32 s11, s38, s53
	s_delay_alu instid0(VALU_DEP_2) | instid1(SALU_CYCLE_1)
	v_add3_u32 v30, s11, s10, v30
	s_delay_alu instid0(VALU_DEP_2)
	v_add3_u32 v28, v31, v28, v8
.LBB123_29:                             ;   Parent Loop BB123_14 Depth=1
                                        ;     Parent Loop BB123_24 Depth=2
                                        ; =>    This Loop Header: Depth=3
                                        ;         Child Loop BB123_41 Depth 4
                                        ;         Child Loop BB123_37 Depth 4
	s_lshl_b64 s[10:11], s[52:53], 3
	s_mov_b32 s73, -1
	s_add_u32 s10, s14, s10
	s_addc_u32 s11, s15, s11
                                        ; implicit-def: $sgpr58_sgpr59
                                        ; implicit-def: $sgpr72
	s_load_b64 s[10:11], s[10:11], 0x0
	s_waitcnt lgkmcnt(0)
	s_sub_u32 s60, s10, s25
	s_subb_u32 s61, s11, 0
	s_delay_alu instid0(SALU_CYCLE_1) | instskip(SKIP_2) | instid1(VALU_DEP_2)
	v_cmp_ge_i64_e64 s10, s[60:61], s[18:19]
	v_cmp_lt_i64_e64 s11, s[60:61], s[48:49]
	v_cmp_ge_i64_e64 s74, s[60:61], s[48:49]
	s_and_b32 s10, s10, s11
	s_delay_alu instid0(SALU_CYCLE_1)
	s_and_not1_b32 vcc_lo, exec_lo, s10
                                        ; implicit-def: $sgpr10_sgpr11
	s_cbranch_vccz .LBB123_33
; %bb.30:                               ;   in Loop: Header=BB123_29 Depth=3
	s_mov_b32 s72, -1
	s_delay_alu instid0(VALU_DEP_1)
	s_and_not1_b32 vcc_lo, exec_lo, s74
	s_mov_b64 s[58:59], s[56:57]
	s_mov_b64 s[10:11], s[50:51]
	s_cbranch_vccnz .LBB123_32
; %bb.31:                               ;   in Loop: Header=BB123_29 Depth=3
	v_cmp_lt_i64_e64 s10, s[60:61], s[50:51]
	s_mov_b32 s72, 0
	s_mov_b64 s[58:59], s[52:53]
	s_delay_alu instid0(VALU_DEP_1)
	s_and_b32 s10, s10, exec_lo
	s_cselect_b32 s11, s61, s51
	s_cselect_b32 s10, s60, s50
.LBB123_32:                             ;   in Loop: Header=BB123_29 Depth=3
	s_mov_b32 s73, 0
.LBB123_33:                             ;   in Loop: Header=BB123_29 Depth=3
	s_delay_alu instid0(SALU_CYCLE_1)
	s_and_not1_b32 vcc_lo, exec_lo, s73
	s_cbranch_vccnz .LBB123_44
; %bb.34:                               ;   in Loop: Header=BB123_29 Depth=3
	s_sub_i32 s59, s60, s18
	s_delay_alu instid0(SALU_CYCLE_1)
	v_mov_b32_e32 v8, s59
	ds_store_b8 v8, v45 offset:16384
	s_and_saveexec_b32 s58, s64
	s_cbranch_execz .LBB123_43
; %bb.35:                               ;   in Loop: Header=BB123_29 Depth=3
	s_and_not1_b32 vcc_lo, exec_lo, s62
	s_cbranch_vccnz .LBB123_39
; %bb.36:                               ;   in Loop: Header=BB123_29 Depth=3
	v_dual_mov_b32 v31, 0 :: v_dual_mov_b32 v34, v26
	v_dual_mov_b32 v32, 0 :: v_dual_mov_b32 v33, v25
	;; [unrolled: 1-line block ×3, first 2 shown]
	s_mov_b64 s[10:11], s[30:31]
.LBB123_37:                             ;   Parent Loop BB123_14 Depth=1
                                        ;     Parent Loop BB123_24 Depth=2
                                        ;       Parent Loop BB123_29 Depth=3
                                        ; =>      This Inner Loop Header: Depth=4
	global_load_b64 v[46:47], v[33:34], off
	global_load_b64 v[48:49], v[35:36], off
	v_add_co_u32 v35, vcc_lo, v35, 8
	v_add_co_ci_u32_e32 v36, vcc_lo, 0, v36, vcc_lo
	v_add_co_u32 v33, vcc_lo, v33, s22
	s_add_u32 s10, s10, -1
	v_add_co_ci_u32_e32 v34, vcc_lo, s23, v34, vcc_lo
	s_addc_u32 s11, s11, -1
	s_delay_alu instid0(SALU_CYCLE_1)
	s_cmp_lg_u64 s[10:11], 0
	s_waitcnt vmcnt(0)
	v_fma_f64 v[31:32], v[46:47], v[48:49], v[31:32]
	s_cbranch_scc1 .LBB123_37
; %bb.38:                               ;   in Loop: Header=BB123_29 Depth=3
	s_branch .LBB123_42
.LBB123_39:                             ;   in Loop: Header=BB123_29 Depth=3
                                        ; implicit-def: $vgpr31_vgpr32
	s_cbranch_execz .LBB123_42
; %bb.40:                               ;   in Loop: Header=BB123_29 Depth=3
	v_dual_mov_b32 v31, 0 :: v_dual_mov_b32 v34, v30
	v_dual_mov_b32 v32, 0 :: v_dual_mov_b32 v33, v29
	v_dual_mov_b32 v36, v24 :: v_dual_mov_b32 v35, v23
	s_mov_b64 s[10:11], s[30:31]
.LBB123_41:                             ;   Parent Loop BB123_14 Depth=1
                                        ;     Parent Loop BB123_24 Depth=2
                                        ;       Parent Loop BB123_29 Depth=3
                                        ; =>      This Inner Loop Header: Depth=4
	global_load_b64 v[46:47], v[35:36], off
	global_load_b64 v[48:49], v[33:34], off
	v_add_co_u32 v35, vcc_lo, v35, 8
	v_add_co_ci_u32_e32 v36, vcc_lo, 0, v36, vcc_lo
	v_add_co_u32 v33, vcc_lo, v33, s22
	s_add_u32 s10, s10, -1
	v_add_co_ci_u32_e32 v34, vcc_lo, s23, v34, vcc_lo
	s_addc_u32 s11, s11, -1
	s_delay_alu instid0(SALU_CYCLE_1)
	s_cmp_eq_u64 s[10:11], 0
	s_waitcnt vmcnt(0)
	v_fma_f64 v[31:32], v[46:47], v[48:49], v[31:32]
	s_cbranch_scc0 .LBB123_41
.LBB123_42:                             ;   in Loop: Header=BB123_29 Depth=3
	s_lshl_b32 s10, s59, 8
	s_delay_alu instid0(SALU_CYCLE_1) | instskip(NEXT) | instid1(VALU_DEP_1)
	v_or3_b32 v8, s10, v6, v5
	v_lshlrev_b32_e32 v8, 3, v8
	ds_load_b64 v[33:34], v8
	s_waitcnt lgkmcnt(0)
	v_fma_f64 v[31:32], v[1:2], v[31:32], v[33:34]
	ds_store_b64 v8, v[31:32]
.LBB123_43:                             ;   in Loop: Header=BB123_29 Depth=3
	s_or_b32 exec_lo, exec_lo, s58
	s_mov_b32 s72, -1
	s_mov_b64 s[58:59], s[56:57]
	s_mov_b64 s[10:11], s[50:51]
	s_waitcnt lgkmcnt(0)
	s_waitcnt_vscnt null, 0x0
	s_barrier
	buffer_gl0_inv
.LBB123_44:                             ;   in Loop: Header=BB123_29 Depth=3
	s_add_u32 s52, s52, 1
	s_addc_u32 s53, s53, 0
	v_add_co_u32 v27, vcc_lo, v27, s38
	v_cmp_lt_i64_e64 s50, s[52:53], s[54:55]
	v_add_co_ci_u32_e32 v28, vcc_lo, s39, v28, vcc_lo
	v_add_co_u32 v29, vcc_lo, v29, s38
	v_add_co_ci_u32_e32 v30, vcc_lo, s39, v30, vcc_lo
	s_delay_alu instid0(VALU_DEP_4) | instskip(NEXT) | instid1(SALU_CYCLE_1)
	s_and_b32 s50, s72, s50
	s_and_b32 vcc_lo, exec_lo, s50
	s_cbranch_vccz .LBB123_47
; %bb.45:                               ;   in Loop: Header=BB123_29 Depth=3
	s_mov_b64 s[56:57], s[58:59]
	s_mov_b64 s[50:51], s[10:11]
	s_branch .LBB123_29
.LBB123_46:                             ;   in Loop: Header=BB123_24 Depth=2
	s_mov_b64 s[58:59], s[52:53]
	s_mov_b64 s[10:11], s[50:51]
.LBB123_47:                             ;   in Loop: Header=BB123_24 Depth=2
	s_add_u32 s6, s42, s6
	s_addc_u32 s7, s43, s7
	s_add_u32 s4, s4, 1
	s_addc_u32 s5, s5, 0
	v_add_co_u32 v25, vcc_lo, v25, s38
	v_cmp_lt_i64_e64 s50, s[4:5], s[40:41]
	v_add_co_ci_u32_e32 v26, vcc_lo, s39, v26, vcc_lo
	v_add_co_u32 v23, vcc_lo, v23, s38
	v_dual_mov_b32 v27, s58 :: v_dual_mov_b32 v28, s59
	v_add_co_ci_u32_e32 v24, vcc_lo, s39, v24, vcc_lo
	s_and_b32 vcc_lo, exec_lo, s50
	global_store_b64 v7, v[27:28], s[6:7]
	s_cbranch_vccz .LBB123_50
; %bb.48:                               ;   in Loop: Header=BB123_24 Depth=2
	s_mov_b64 s[50:51], s[10:11]
	s_branch .LBB123_24
.LBB123_49:                             ;   in Loop: Header=BB123_24 Depth=2
                                        ; implicit-def: $sgpr52_sgpr53
	s_branch .LBB123_26
.LBB123_50:                             ;   in Loop: Header=BB123_14 Depth=1
	s_and_not1_b32 vcc_lo, exec_lo, s33
	s_cbranch_vccnz .LBB123_62
; %bb.51:                               ;   in Loop: Header=BB123_14 Depth=1
	s_load_b128 s[4:7], s[16:17], 0x0
	s_waitcnt lgkmcnt(0)
	v_cmp_ge_i64_e64 s50, s[4:5], s[6:7]
	s_delay_alu instid0(VALU_DEP_1)
	s_and_b32 vcc_lo, exec_lo, s50
	s_cbranch_vccnz .LBB123_62
; %bb.52:                               ;   in Loop: Header=BB123_14 Depth=1
	s_sub_u32 s6, s6, s46
	s_subb_u32 s7, s7, 0
	s_sub_u32 s52, s4, s46
	s_subb_u32 s53, s5, 0
	v_mad_u64_u32 v[23:24], null, s38, s52, v[11:12]
	s_lshl_b64 s[50:51], s[4:5], 3
	s_mul_i32 s52, s39, s52
	s_mul_i32 s53, s38, s53
	s_add_u32 s50, s69, s50
	s_addc_u32 s51, s70, s51
	s_add_u32 s4, s27, s4
	s_delay_alu instid0(VALU_DEP_1)
	v_add3_u32 v24, s53, s52, v24
	s_addc_u32 s5, s47, s5
.LBB123_53:                             ;   Parent Loop BB123_14 Depth=1
                                        ; =>  This Inner Loop Header: Depth=2
	s_load_b64 s[52:53], s[50:51], 0x0
	s_mov_b32 s57, -1
	s_waitcnt lgkmcnt(0)
	s_sub_u32 s54, s52, s46
	s_subb_u32 s55, s53, 0
	s_delay_alu instid0(SALU_CYCLE_1) | instskip(SKIP_1) | instid1(VALU_DEP_1)
	v_cmp_ge_i64_e64 s52, s[54:55], s[18:19]
	v_cmp_lt_i64_e64 s56, s[54:55], s[48:49]
	s_and_b32 s52, s52, s56
	s_delay_alu instid0(SALU_CYCLE_1)
	s_and_not1_b32 vcc_lo, exec_lo, s52
                                        ; implicit-def: $sgpr52_sgpr53
	s_cbranch_vccz .LBB123_55
; %bb.54:                               ;   in Loop: Header=BB123_53 Depth=2
	v_cmp_lt_i64_e64 s52, s[54:55], s[10:11]
	s_mov_b32 s57, 0
	s_delay_alu instid0(VALU_DEP_1)
	s_and_b32 s52, s52, exec_lo
	s_cselect_b32 s52, s54, s10
	s_cselect_b32 s53, s55, s11
	s_and_b32 s55, s56, exec_lo
	s_cselect_b32 s53, s11, s53
	s_cselect_b32 s52, s10, s52
.LBB123_55:                             ;   in Loop: Header=BB123_53 Depth=2
	s_and_not1_b32 vcc_lo, exec_lo, s57
	s_cbranch_vccnz .LBB123_59
; %bb.56:                               ;   in Loop: Header=BB123_53 Depth=2
	s_sub_i32 s53, s54, s18
	s_delay_alu instid0(SALU_CYCLE_1)
	v_mov_b32_e32 v8, s53
	ds_store_b8 v8, v45 offset:16384
	s_and_saveexec_b32 s52, s64
	s_cbranch_execz .LBB123_58
; %bb.57:                               ;   in Loop: Header=BB123_53 Depth=2
	global_load_b64 v[25:26], v[23:24], off
	s_lshl_b32 s53, s53, 8
	s_delay_alu instid0(SALU_CYCLE_1) | instskip(NEXT) | instid1(VALU_DEP_1)
	v_or3_b32 v8, s53, v6, v5
	v_lshlrev_b32_e32 v8, 3, v8
	ds_load_b64 v[27:28], v8
	s_waitcnt vmcnt(0) lgkmcnt(0)
	v_fma_f64 v[25:26], v[3:4], v[25:26], v[27:28]
	ds_store_b64 v8, v[25:26]
.LBB123_58:                             ;   in Loop: Header=BB123_53 Depth=2
	s_or_b32 exec_lo, exec_lo, s52
	s_mov_b32 s56, -1
	s_mov_b64 s[52:53], s[10:11]
	s_waitcnt lgkmcnt(0)
	s_waitcnt_vscnt null, 0x0
	s_barrier
	buffer_gl0_inv
.LBB123_59:                             ;   in Loop: Header=BB123_53 Depth=2
	v_cmp_lt_i64_e64 s10, s[4:5], s[6:7]
	v_add_co_u32 v23, vcc_lo, v23, s38
	v_add_co_ci_u32_e32 v24, vcc_lo, s39, v24, vcc_lo
	s_delay_alu instid0(VALU_DEP_3)
	s_and_b32 s10, s56, s10
	s_add_u32 s50, s50, 8
	s_addc_u32 s51, s51, 0
	s_add_u32 s4, s4, 1
	s_addc_u32 s5, s5, 0
	s_and_b32 vcc_lo, exec_lo, s10
	s_cbranch_vccz .LBB123_61
; %bb.60:                               ;   in Loop: Header=BB123_53 Depth=2
	s_mov_b64 s[10:11], s[52:53]
	s_branch .LBB123_53
.LBB123_61:                             ;   in Loop: Header=BB123_14 Depth=1
	s_mov_b64 s[10:11], s[52:53]
.LBB123_62:                             ;   in Loop: Header=BB123_14 Depth=1
	s_waitcnt_vscnt null, 0x0
	s_barrier
	buffer_gl0_inv
	ds_load_u8 v8, v7 offset:16384
	s_add_u32 s6, s18, s26
	s_addc_u32 s7, s19, 0
	s_mov_b32 s5, 0
	s_waitcnt lgkmcnt(0)
	v_cmp_eq_u32_e32 vcc_lo, 0, v8
	s_cbranch_vccnz .LBB123_66
; %bb.63:                               ;   in Loop: Header=BB123_14 Depth=1
	v_lshlrev_b64 v[23:24], 3, v[21:22]
	v_dual_mov_b32 v26, s7 :: v_dual_mov_b32 v25, s6
	s_delay_alu instid0(VALU_DEP_2) | instskip(NEXT) | instid1(VALU_DEP_3)
	v_add_co_u32 v23, vcc_lo, s36, v23
	v_add_co_ci_u32_e32 v24, vcc_lo, s37, v24, vcc_lo
	global_store_b64 v[23:24], v[25:26], off
	s_and_saveexec_b32 s4, s64
	s_cbranch_execz .LBB123_65
; %bb.64:                               ;   in Loop: Header=BB123_14 Depth=1
	v_mul_lo_u32 v8, v22, s20
	v_mul_lo_u32 v27, v21, s21
	v_mad_u64_u32 v[23:24], null, v21, s20, 0
	ds_load_b64 v[25:26], v41
	v_add3_u32 v24, v24, v27, v8
	s_delay_alu instid0(VALU_DEP_1) | instskip(NEXT) | instid1(VALU_DEP_1)
	v_lshlrev_b64 v[23:24], 3, v[23:24]
	v_add_co_u32 v23, vcc_lo, v44, v23
	s_delay_alu instid0(VALU_DEP_2)
	v_add_co_ci_u32_e32 v24, vcc_lo, v43, v24, vcc_lo
	s_waitcnt lgkmcnt(0)
	global_store_b64 v[23:24], v[25:26], off
.LBB123_65:                             ;   in Loop: Header=BB123_14 Depth=1
	s_or_b32 exec_lo, exec_lo, s4
	s_mov_b32 s5, 1
.LBB123_66:                             ;   in Loop: Header=BB123_14 Depth=1
	ds_load_u8 v8, v7 offset:16385
	s_waitcnt lgkmcnt(0)
	v_cmp_eq_u32_e32 vcc_lo, 0, v8
	v_add_co_u32 v8, s4, v21, -1
	s_delay_alu instid0(VALU_DEP_1)
	v_add_co_ci_u32_e64 v25, s4, -1, v22, s4
	s_cbranch_vccz .LBB123_72
; %bb.67:                               ;   in Loop: Header=BB123_14 Depth=1
	ds_load_u8 v23, v7 offset:16386
	s_waitcnt lgkmcnt(0)
	v_cmp_eq_u32_e32 vcc_lo, 0, v23
	s_cbranch_vccz .LBB123_75
.LBB123_68:                             ;   in Loop: Header=BB123_14 Depth=1
	ds_load_u8 v23, v7 offset:16387
	s_waitcnt lgkmcnt(0)
	v_cmp_eq_u32_e32 vcc_lo, 0, v23
	s_cbranch_vccz .LBB123_78
.LBB123_69:                             ;   in Loop: Header=BB123_14 Depth=1
	ds_load_u8 v23, v7 offset:16388
	s_waitcnt lgkmcnt(0)
	v_cmp_eq_u32_e32 vcc_lo, 0, v23
	s_cbranch_vccz .LBB123_81
.LBB123_70:                             ;   in Loop: Header=BB123_14 Depth=1
	ds_load_u8 v23, v7 offset:16389
	s_waitcnt lgkmcnt(0)
	v_cmp_eq_u32_e32 vcc_lo, 0, v23
	s_cbranch_vccz .LBB123_84
.LBB123_71:                             ;   in Loop: Header=BB123_14 Depth=1
	ds_load_u8 v23, v7 offset:16390
	s_waitcnt lgkmcnt(0)
	v_cmp_eq_u32_e32 vcc_lo, 0, v23
	s_cbranch_vccz .LBB123_87
	s_branch .LBB123_90
.LBB123_72:                             ;   in Loop: Header=BB123_14 Depth=1
	s_add_i32 s5, s5, 1
	s_add_u32 s18, s6, 1
	v_add_co_u32 v23, vcc_lo, v21, s5
	v_add_co_ci_u32_e32 v24, vcc_lo, 0, v22, vcc_lo
	s_addc_u32 s19, s7, 0
	s_delay_alu instid0(SALU_CYCLE_1) | instskip(NEXT) | instid1(VALU_DEP_2)
	v_dual_mov_b32 v27, s19 :: v_dual_mov_b32 v26, s18
	v_lshlrev_b64 v[23:24], 3, v[23:24]
	s_delay_alu instid0(VALU_DEP_1) | instskip(NEXT) | instid1(VALU_DEP_2)
	v_add_co_u32 v23, vcc_lo, s67, v23
	v_add_co_ci_u32_e32 v24, vcc_lo, s68, v24, vcc_lo
	global_store_b64 v[23:24], v[26:27], off
	s_and_saveexec_b32 s4, s64
	s_cbranch_execz .LBB123_74
; %bb.73:                               ;   in Loop: Header=BB123_14 Depth=1
	v_add_co_u32 v26, vcc_lo, v8, s5
	v_add_co_ci_u32_e32 v23, vcc_lo, 0, v25, vcc_lo
	s_delay_alu instid0(VALU_DEP_2) | instskip(NEXT) | instid1(VALU_DEP_2)
	v_mul_lo_u32 v29, v26, s21
	v_mul_lo_u32 v28, v23, s20
	v_mad_u64_u32 v[23:24], null, v26, s20, 0
	ds_load_b64 v[26:27], v42 offset:2048
	v_add3_u32 v24, v24, v29, v28
	s_delay_alu instid0(VALU_DEP_1) | instskip(NEXT) | instid1(VALU_DEP_1)
	v_lshlrev_b64 v[23:24], 3, v[23:24]
	v_add_co_u32 v23, vcc_lo, v44, v23
	s_delay_alu instid0(VALU_DEP_2)
	v_add_co_ci_u32_e32 v24, vcc_lo, v43, v24, vcc_lo
	s_waitcnt lgkmcnt(0)
	global_store_b64 v[23:24], v[26:27], off
.LBB123_74:                             ;   in Loop: Header=BB123_14 Depth=1
	s_or_b32 exec_lo, exec_lo, s4
	ds_load_u8 v23, v7 offset:16386
	s_waitcnt lgkmcnt(0)
	v_cmp_eq_u32_e32 vcc_lo, 0, v23
	s_cbranch_vccnz .LBB123_68
.LBB123_75:                             ;   in Loop: Header=BB123_14 Depth=1
	s_add_i32 s5, s5, 1
	s_add_u32 s18, s6, 2
	v_add_co_u32 v23, vcc_lo, v21, s5
	v_add_co_ci_u32_e32 v24, vcc_lo, 0, v22, vcc_lo
	s_addc_u32 s19, s7, 0
	s_delay_alu instid0(SALU_CYCLE_1) | instskip(NEXT) | instid1(VALU_DEP_2)
	v_dual_mov_b32 v27, s19 :: v_dual_mov_b32 v26, s18
	v_lshlrev_b64 v[23:24], 3, v[23:24]
	s_delay_alu instid0(VALU_DEP_1) | instskip(NEXT) | instid1(VALU_DEP_2)
	v_add_co_u32 v23, vcc_lo, s67, v23
	v_add_co_ci_u32_e32 v24, vcc_lo, s68, v24, vcc_lo
	global_store_b64 v[23:24], v[26:27], off
	s_and_saveexec_b32 s4, s64
	s_cbranch_execz .LBB123_77
; %bb.76:                               ;   in Loop: Header=BB123_14 Depth=1
	v_add_co_u32 v26, vcc_lo, v8, s5
	v_add_co_ci_u32_e32 v23, vcc_lo, 0, v25, vcc_lo
	s_delay_alu instid0(VALU_DEP_2) | instskip(NEXT) | instid1(VALU_DEP_2)
	v_mul_lo_u32 v29, v26, s21
	v_mul_lo_u32 v28, v23, s20
	v_mad_u64_u32 v[23:24], null, v26, s20, 0
	ds_load_b64 v[26:27], v42 offset:4096
	v_add3_u32 v24, v24, v29, v28
	s_delay_alu instid0(VALU_DEP_1) | instskip(NEXT) | instid1(VALU_DEP_1)
	v_lshlrev_b64 v[23:24], 3, v[23:24]
	v_add_co_u32 v23, vcc_lo, v44, v23
	s_delay_alu instid0(VALU_DEP_2)
	v_add_co_ci_u32_e32 v24, vcc_lo, v43, v24, vcc_lo
	s_waitcnt lgkmcnt(0)
	global_store_b64 v[23:24], v[26:27], off
.LBB123_77:                             ;   in Loop: Header=BB123_14 Depth=1
	s_or_b32 exec_lo, exec_lo, s4
	ds_load_u8 v23, v7 offset:16387
	s_waitcnt lgkmcnt(0)
	v_cmp_eq_u32_e32 vcc_lo, 0, v23
	s_cbranch_vccnz .LBB123_69
.LBB123_78:                             ;   in Loop: Header=BB123_14 Depth=1
	s_add_i32 s5, s5, 1
	s_add_u32 s18, s6, 3
	v_add_co_u32 v23, vcc_lo, v21, s5
	v_add_co_ci_u32_e32 v24, vcc_lo, 0, v22, vcc_lo
	s_addc_u32 s19, s7, 0
	s_delay_alu instid0(SALU_CYCLE_1) | instskip(NEXT) | instid1(VALU_DEP_2)
	v_dual_mov_b32 v27, s19 :: v_dual_mov_b32 v26, s18
	v_lshlrev_b64 v[23:24], 3, v[23:24]
	s_delay_alu instid0(VALU_DEP_1) | instskip(NEXT) | instid1(VALU_DEP_2)
	v_add_co_u32 v23, vcc_lo, s67, v23
	v_add_co_ci_u32_e32 v24, vcc_lo, s68, v24, vcc_lo
	global_store_b64 v[23:24], v[26:27], off
	s_and_saveexec_b32 s4, s64
	s_cbranch_execz .LBB123_80
; %bb.79:                               ;   in Loop: Header=BB123_14 Depth=1
	v_add_co_u32 v26, vcc_lo, v8, s5
	v_add_co_ci_u32_e32 v23, vcc_lo, 0, v25, vcc_lo
	s_delay_alu instid0(VALU_DEP_2) | instskip(NEXT) | instid1(VALU_DEP_2)
	v_mul_lo_u32 v29, v26, s21
	v_mul_lo_u32 v28, v23, s20
	v_mad_u64_u32 v[23:24], null, v26, s20, 0
	ds_load_b64 v[26:27], v42 offset:6144
	v_add3_u32 v24, v24, v29, v28
	s_delay_alu instid0(VALU_DEP_1) | instskip(NEXT) | instid1(VALU_DEP_1)
	v_lshlrev_b64 v[23:24], 3, v[23:24]
	v_add_co_u32 v23, vcc_lo, v44, v23
	s_delay_alu instid0(VALU_DEP_2)
	v_add_co_ci_u32_e32 v24, vcc_lo, v43, v24, vcc_lo
	s_waitcnt lgkmcnt(0)
	global_store_b64 v[23:24], v[26:27], off
.LBB123_80:                             ;   in Loop: Header=BB123_14 Depth=1
	s_or_b32 exec_lo, exec_lo, s4
	ds_load_u8 v23, v7 offset:16388
	s_waitcnt lgkmcnt(0)
	v_cmp_eq_u32_e32 vcc_lo, 0, v23
	s_cbranch_vccnz .LBB123_70
.LBB123_81:                             ;   in Loop: Header=BB123_14 Depth=1
	s_add_i32 s5, s5, 1
	s_add_u32 s18, s6, 4
	v_add_co_u32 v23, vcc_lo, v21, s5
	v_add_co_ci_u32_e32 v24, vcc_lo, 0, v22, vcc_lo
	s_addc_u32 s19, s7, 0
	s_delay_alu instid0(SALU_CYCLE_1) | instskip(NEXT) | instid1(VALU_DEP_2)
	v_dual_mov_b32 v27, s19 :: v_dual_mov_b32 v26, s18
	v_lshlrev_b64 v[23:24], 3, v[23:24]
	s_delay_alu instid0(VALU_DEP_1) | instskip(NEXT) | instid1(VALU_DEP_2)
	v_add_co_u32 v23, vcc_lo, s67, v23
	v_add_co_ci_u32_e32 v24, vcc_lo, s68, v24, vcc_lo
	global_store_b64 v[23:24], v[26:27], off
	s_and_saveexec_b32 s4, s64
	s_cbranch_execz .LBB123_83
; %bb.82:                               ;   in Loop: Header=BB123_14 Depth=1
	v_add_co_u32 v26, vcc_lo, v8, s5
	v_add_co_ci_u32_e32 v23, vcc_lo, 0, v25, vcc_lo
	s_delay_alu instid0(VALU_DEP_2) | instskip(NEXT) | instid1(VALU_DEP_2)
	v_mul_lo_u32 v29, v26, s21
	v_mul_lo_u32 v28, v23, s20
	v_mad_u64_u32 v[23:24], null, v26, s20, 0
	ds_load_b64 v[26:27], v41 offset:8192
	v_add3_u32 v24, v24, v29, v28
	s_delay_alu instid0(VALU_DEP_1) | instskip(NEXT) | instid1(VALU_DEP_1)
	v_lshlrev_b64 v[23:24], 3, v[23:24]
	v_add_co_u32 v23, vcc_lo, v44, v23
	s_delay_alu instid0(VALU_DEP_2)
	v_add_co_ci_u32_e32 v24, vcc_lo, v43, v24, vcc_lo
	s_waitcnt lgkmcnt(0)
	global_store_b64 v[23:24], v[26:27], off
.LBB123_83:                             ;   in Loop: Header=BB123_14 Depth=1
	s_or_b32 exec_lo, exec_lo, s4
	ds_load_u8 v23, v7 offset:16389
	s_waitcnt lgkmcnt(0)
	v_cmp_eq_u32_e32 vcc_lo, 0, v23
	s_cbranch_vccnz .LBB123_71
.LBB123_84:                             ;   in Loop: Header=BB123_14 Depth=1
	s_add_i32 s5, s5, 1
	s_add_u32 s18, s6, 5
	v_add_co_u32 v23, vcc_lo, v21, s5
	v_add_co_ci_u32_e32 v24, vcc_lo, 0, v22, vcc_lo
	s_addc_u32 s19, s7, 0
	s_delay_alu instid0(SALU_CYCLE_1) | instskip(NEXT) | instid1(VALU_DEP_2)
	v_dual_mov_b32 v27, s19 :: v_dual_mov_b32 v26, s18
	v_lshlrev_b64 v[23:24], 3, v[23:24]
	s_delay_alu instid0(VALU_DEP_1) | instskip(NEXT) | instid1(VALU_DEP_2)
	v_add_co_u32 v23, vcc_lo, s67, v23
	v_add_co_ci_u32_e32 v24, vcc_lo, s68, v24, vcc_lo
	global_store_b64 v[23:24], v[26:27], off
	s_and_saveexec_b32 s4, s64
	s_cbranch_execz .LBB123_86
; %bb.85:                               ;   in Loop: Header=BB123_14 Depth=1
	v_add_co_u32 v26, vcc_lo, v8, s5
	v_add_co_ci_u32_e32 v23, vcc_lo, 0, v25, vcc_lo
	s_delay_alu instid0(VALU_DEP_2) | instskip(NEXT) | instid1(VALU_DEP_2)
	v_mul_lo_u32 v29, v26, s21
	v_mul_lo_u32 v28, v23, s20
	v_mad_u64_u32 v[23:24], null, v26, s20, 0
	ds_load_b64 v[26:27], v42 offset:10240
	v_add3_u32 v24, v24, v29, v28
	s_delay_alu instid0(VALU_DEP_1) | instskip(NEXT) | instid1(VALU_DEP_1)
	v_lshlrev_b64 v[23:24], 3, v[23:24]
	v_add_co_u32 v23, vcc_lo, v44, v23
	s_delay_alu instid0(VALU_DEP_2)
	v_add_co_ci_u32_e32 v24, vcc_lo, v43, v24, vcc_lo
	s_waitcnt lgkmcnt(0)
	global_store_b64 v[23:24], v[26:27], off
.LBB123_86:                             ;   in Loop: Header=BB123_14 Depth=1
	s_or_b32 exec_lo, exec_lo, s4
	ds_load_u8 v23, v7 offset:16390
	s_waitcnt lgkmcnt(0)
	v_cmp_eq_u32_e32 vcc_lo, 0, v23
	s_cbranch_vccnz .LBB123_90
.LBB123_87:                             ;   in Loop: Header=BB123_14 Depth=1
	s_add_i32 s5, s5, 1
	s_add_u32 s18, s6, 6
	v_add_co_u32 v23, vcc_lo, v21, s5
	v_add_co_ci_u32_e32 v24, vcc_lo, 0, v22, vcc_lo
	s_addc_u32 s19, s7, 0
	s_delay_alu instid0(SALU_CYCLE_1) | instskip(NEXT) | instid1(VALU_DEP_2)
	v_dual_mov_b32 v27, s19 :: v_dual_mov_b32 v26, s18
	v_lshlrev_b64 v[23:24], 3, v[23:24]
	s_delay_alu instid0(VALU_DEP_1) | instskip(NEXT) | instid1(VALU_DEP_2)
	v_add_co_u32 v23, vcc_lo, s67, v23
	v_add_co_ci_u32_e32 v24, vcc_lo, s68, v24, vcc_lo
	global_store_b64 v[23:24], v[26:27], off
	s_and_saveexec_b32 s4, s64
	s_cbranch_execz .LBB123_89
; %bb.88:                               ;   in Loop: Header=BB123_14 Depth=1
	v_add_co_u32 v26, vcc_lo, v8, s5
	v_add_co_ci_u32_e32 v23, vcc_lo, 0, v25, vcc_lo
	s_delay_alu instid0(VALU_DEP_2) | instskip(NEXT) | instid1(VALU_DEP_2)
	v_mul_lo_u32 v29, v26, s21
	v_mul_lo_u32 v28, v23, s20
	v_mad_u64_u32 v[23:24], null, v26, s20, 0
	ds_load_b64 v[26:27], v42 offset:12288
	v_add3_u32 v24, v24, v29, v28
	s_delay_alu instid0(VALU_DEP_1) | instskip(NEXT) | instid1(VALU_DEP_1)
	v_lshlrev_b64 v[23:24], 3, v[23:24]
	v_add_co_u32 v23, vcc_lo, v44, v23
	s_delay_alu instid0(VALU_DEP_2)
	v_add_co_ci_u32_e32 v24, vcc_lo, v43, v24, vcc_lo
	s_waitcnt lgkmcnt(0)
	global_store_b64 v[23:24], v[26:27], off
.LBB123_89:                             ;   in Loop: Header=BB123_14 Depth=1
	s_or_b32 exec_lo, exec_lo, s4
.LBB123_90:                             ;   in Loop: Header=BB123_14 Depth=1
	ds_load_u8 v23, v7 offset:16391
	s_waitcnt lgkmcnt(0)
	v_and_b32_e32 v23, 1, v23
	s_delay_alu instid0(VALU_DEP_1)
	v_cmp_eq_u32_e32 vcc_lo, 1, v23
	s_cbranch_vccnz .LBB123_92
; %bb.91:                               ;   in Loop: Header=BB123_14 Depth=1
	v_add_co_u32 v23, vcc_lo, s5, v21
	v_add_co_ci_u32_e32 v24, vcc_lo, 0, v22, vcc_lo
	s_cbranch_execnz .LBB123_13
	s_branch .LBB123_93
.LBB123_92:                             ;   in Loop: Header=BB123_14 Depth=1
                                        ; implicit-def: $vgpr23_vgpr24
.LBB123_93:                             ;   in Loop: Header=BB123_14 Depth=1
	s_add_i32 s5, s5, 1
	s_add_u32 s6, s6, 7
	v_add_co_u32 v23, vcc_lo, v21, s5
	v_add_co_ci_u32_e32 v24, vcc_lo, 0, v22, vcc_lo
	s_addc_u32 s7, s7, 0
	s_delay_alu instid0(SALU_CYCLE_1) | instskip(NEXT) | instid1(VALU_DEP_2)
	v_dual_mov_b32 v27, s7 :: v_dual_mov_b32 v26, s6
	v_lshlrev_b64 v[21:22], 3, v[23:24]
	s_delay_alu instid0(VALU_DEP_1) | instskip(NEXT) | instid1(VALU_DEP_2)
	v_add_co_u32 v21, vcc_lo, s67, v21
	v_add_co_ci_u32_e32 v22, vcc_lo, s68, v22, vcc_lo
	global_store_b64 v[21:22], v[26:27], off
	s_and_saveexec_b32 s4, s64
	s_cbranch_execz .LBB123_12
; %bb.94:                               ;   in Loop: Header=BB123_14 Depth=1
	v_add_co_u32 v8, vcc_lo, v8, s5
	v_add_co_ci_u32_e32 v21, vcc_lo, 0, v25, vcc_lo
	s_and_not1_b32 vcc_lo, exec_lo, s62
	s_delay_alu instid0(VALU_DEP_2) | instskip(SKIP_1) | instid1(VALU_DEP_3)
	v_mul_lo_u32 v28, v8, s21
	v_mad_u64_u32 v[25:26], null, v8, s20, 0
	v_mul_lo_u32 v27, v21, s20
	ds_load_b64 v[21:22], v42 offset:14336
	v_add3_u32 v26, v26, v28, v27
	s_delay_alu instid0(VALU_DEP_1)
	v_lshlrev_b64 v[25:26], 3, v[25:26]
	s_cbranch_vccnz .LBB123_96
; %bb.95:                               ;   in Loop: Header=BB123_14 Depth=1
	s_delay_alu instid0(VALU_DEP_1) | instskip(NEXT) | instid1(VALU_DEP_2)
	v_add_co_u32 v27, vcc_lo, v37, v25
	v_add_co_ci_u32_e32 v28, vcc_lo, v38, v26, vcc_lo
	s_waitcnt lgkmcnt(0)
	global_store_b64 v[27:28], v[21:22], off
	s_cbranch_execnz .LBB123_12
	s_branch .LBB123_97
.LBB123_96:                             ;   in Loop: Header=BB123_14 Depth=1
.LBB123_97:                             ;   in Loop: Header=BB123_14 Depth=1
	s_delay_alu instid0(VALU_DEP_1) | instskip(NEXT) | instid1(VALU_DEP_2)
	v_add_co_u32 v25, vcc_lo, v39, v25
	v_add_co_ci_u32_e32 v26, vcc_lo, v40, v26, vcc_lo
	s_waitcnt lgkmcnt(0)
	global_store_b64 v[25:26], v[21:22], off
	s_branch .LBB123_12
.LBB123_98:
	s_endpgm
	.section	.rodata,"a",@progbits
	.p2align	6, 0x0
	.amdhsa_kernel _ZN9rocsparseL31bsrgemm_block_per_row_multipassILj256ELj8ELj16ElldEEv20rocsparse_direction_T3_S2_PKS2_S4_NS_24const_host_device_scalarIT4_EEPKT2_S4_PKS6_SA_S4_SC_S7_SA_S4_SC_SA_PS2_PS6_PS8_21rocsparse_index_base_SG_SG_SG_bbb
		.amdhsa_group_segment_fixed_size 16392
		.amdhsa_private_segment_fixed_size 0
		.amdhsa_kernarg_size 180
		.amdhsa_user_sgpr_count 15
		.amdhsa_user_sgpr_dispatch_ptr 0
		.amdhsa_user_sgpr_queue_ptr 0
		.amdhsa_user_sgpr_kernarg_segment_ptr 1
		.amdhsa_user_sgpr_dispatch_id 0
		.amdhsa_user_sgpr_private_segment_size 0
		.amdhsa_wavefront_size32 1
		.amdhsa_uses_dynamic_stack 0
		.amdhsa_enable_private_segment 0
		.amdhsa_system_sgpr_workgroup_id_x 1
		.amdhsa_system_sgpr_workgroup_id_y 0
		.amdhsa_system_sgpr_workgroup_id_z 0
		.amdhsa_system_sgpr_workgroup_info 0
		.amdhsa_system_vgpr_workitem_id 0
		.amdhsa_next_free_vgpr 50
		.amdhsa_next_free_sgpr 75
		.amdhsa_reserve_vcc 1
		.amdhsa_float_round_mode_32 0
		.amdhsa_float_round_mode_16_64 0
		.amdhsa_float_denorm_mode_32 3
		.amdhsa_float_denorm_mode_16_64 3
		.amdhsa_dx10_clamp 1
		.amdhsa_ieee_mode 1
		.amdhsa_fp16_overflow 0
		.amdhsa_workgroup_processor_mode 1
		.amdhsa_memory_ordered 1
		.amdhsa_forward_progress 0
		.amdhsa_shared_vgpr_count 0
		.amdhsa_exception_fp_ieee_invalid_op 0
		.amdhsa_exception_fp_denorm_src 0
		.amdhsa_exception_fp_ieee_div_zero 0
		.amdhsa_exception_fp_ieee_overflow 0
		.amdhsa_exception_fp_ieee_underflow 0
		.amdhsa_exception_fp_ieee_inexact 0
		.amdhsa_exception_int_div_zero 0
	.end_amdhsa_kernel
	.section	.text._ZN9rocsparseL31bsrgemm_block_per_row_multipassILj256ELj8ELj16ElldEEv20rocsparse_direction_T3_S2_PKS2_S4_NS_24const_host_device_scalarIT4_EEPKT2_S4_PKS6_SA_S4_SC_S7_SA_S4_SC_SA_PS2_PS6_PS8_21rocsparse_index_base_SG_SG_SG_bbb,"axG",@progbits,_ZN9rocsparseL31bsrgemm_block_per_row_multipassILj256ELj8ELj16ElldEEv20rocsparse_direction_T3_S2_PKS2_S4_NS_24const_host_device_scalarIT4_EEPKT2_S4_PKS6_SA_S4_SC_S7_SA_S4_SC_SA_PS2_PS6_PS8_21rocsparse_index_base_SG_SG_SG_bbb,comdat
.Lfunc_end123:
	.size	_ZN9rocsparseL31bsrgemm_block_per_row_multipassILj256ELj8ELj16ElldEEv20rocsparse_direction_T3_S2_PKS2_S4_NS_24const_host_device_scalarIT4_EEPKT2_S4_PKS6_SA_S4_SC_S7_SA_S4_SC_SA_PS2_PS6_PS8_21rocsparse_index_base_SG_SG_SG_bbb, .Lfunc_end123-_ZN9rocsparseL31bsrgemm_block_per_row_multipassILj256ELj8ELj16ElldEEv20rocsparse_direction_T3_S2_PKS2_S4_NS_24const_host_device_scalarIT4_EEPKT2_S4_PKS6_SA_S4_SC_S7_SA_S4_SC_SA_PS2_PS6_PS8_21rocsparse_index_base_SG_SG_SG_bbb
                                        ; -- End function
	.section	.AMDGPU.csdata,"",@progbits
; Kernel info:
; codeLenInByte = 4572
; NumSgprs: 77
; NumVgprs: 50
; ScratchSize: 0
; MemoryBound: 1
; FloatMode: 240
; IeeeMode: 1
; LDSByteSize: 16392 bytes/workgroup (compile time only)
; SGPRBlocks: 9
; VGPRBlocks: 6
; NumSGPRsForWavesPerEU: 77
; NumVGPRsForWavesPerEU: 50
; Occupancy: 14
; WaveLimiterHint : 1
; COMPUTE_PGM_RSRC2:SCRATCH_EN: 0
; COMPUTE_PGM_RSRC2:USER_SGPR: 15
; COMPUTE_PGM_RSRC2:TRAP_HANDLER: 0
; COMPUTE_PGM_RSRC2:TGID_X_EN: 1
; COMPUTE_PGM_RSRC2:TGID_Y_EN: 0
; COMPUTE_PGM_RSRC2:TGID_Z_EN: 0
; COMPUTE_PGM_RSRC2:TIDIG_COMP_CNT: 0
	.section	.text._ZN9rocsparseL31bsrgemm_block_per_row_multipassILj256ELj2ELj32ElldEEv20rocsparse_direction_T3_S2_PKS2_S4_NS_24const_host_device_scalarIT4_EEPKT2_S4_PKS6_SA_S4_SC_S7_SA_S4_SC_SA_PS2_PS6_PS8_21rocsparse_index_base_SG_SG_SG_bbb,"axG",@progbits,_ZN9rocsparseL31bsrgemm_block_per_row_multipassILj256ELj2ELj32ElldEEv20rocsparse_direction_T3_S2_PKS2_S4_NS_24const_host_device_scalarIT4_EEPKT2_S4_PKS6_SA_S4_SC_S7_SA_S4_SC_SA_PS2_PS6_PS8_21rocsparse_index_base_SG_SG_SG_bbb,comdat
	.globl	_ZN9rocsparseL31bsrgemm_block_per_row_multipassILj256ELj2ELj32ElldEEv20rocsparse_direction_T3_S2_PKS2_S4_NS_24const_host_device_scalarIT4_EEPKT2_S4_PKS6_SA_S4_SC_S7_SA_S4_SC_SA_PS2_PS6_PS8_21rocsparse_index_base_SG_SG_SG_bbb ; -- Begin function _ZN9rocsparseL31bsrgemm_block_per_row_multipassILj256ELj2ELj32ElldEEv20rocsparse_direction_T3_S2_PKS2_S4_NS_24const_host_device_scalarIT4_EEPKT2_S4_PKS6_SA_S4_SC_S7_SA_S4_SC_SA_PS2_PS6_PS8_21rocsparse_index_base_SG_SG_SG_bbb
	.p2align	8
	.type	_ZN9rocsparseL31bsrgemm_block_per_row_multipassILj256ELj2ELj32ElldEEv20rocsparse_direction_T3_S2_PKS2_S4_NS_24const_host_device_scalarIT4_EEPKT2_S4_PKS6_SA_S4_SC_S7_SA_S4_SC_SA_PS2_PS6_PS8_21rocsparse_index_base_SG_SG_SG_bbb,@function
_ZN9rocsparseL31bsrgemm_block_per_row_multipassILj256ELj2ELj32ElldEEv20rocsparse_direction_T3_S2_PKS2_S4_NS_24const_host_device_scalarIT4_EEPKT2_S4_PKS6_SA_S4_SC_S7_SA_S4_SC_SA_PS2_PS6_PS8_21rocsparse_index_base_SG_SG_SG_bbb: ; @_ZN9rocsparseL31bsrgemm_block_per_row_multipassILj256ELj2ELj32ElldEEv20rocsparse_direction_T3_S2_PKS2_S4_NS_24const_host_device_scalarIT4_EEPKT2_S4_PKS6_SA_S4_SC_S7_SA_S4_SC_SA_PS2_PS6_PS8_21rocsparse_index_base_SG_SG_SG_bbb
; %bb.0:
	s_clause 0x3
	s_load_b32 s3, s[0:1], 0xb0
	s_load_b64 s[6:7], s[0:1], 0x28
	s_load_b128 s[20:23], s[0:1], 0xa0
	s_load_b64 s[4:5], s[0:1], 0x60
	s_mov_b32 s2, s15
	s_waitcnt lgkmcnt(0)
	s_and_b32 s9, 1, s3
	s_bitcmp1_b32 s3, 16
	s_cselect_b32 s8, -1, 0
	s_cmp_eq_u32 s9, 1
	s_cselect_b32 s38, -1, 0
	s_delay_alu instid0(SALU_CYCLE_1)
	s_and_b32 s9, s38, exec_lo
	s_cselect_b32 s11, s7, 0
	s_cselect_b32 s10, s6, 0
	s_xor_b32 s9, s38, -1
	v_dual_mov_b32 v1, s10 :: v_dual_mov_b32 v2, s11
	s_or_b32 s9, s9, s8
	s_delay_alu instid0(SALU_CYCLE_1)
	s_and_b32 vcc_lo, exec_lo, s9
	s_cbranch_vccnz .LBB124_2
; %bb.1:
	v_dual_mov_b32 v1, s6 :: v_dual_mov_b32 v2, s7
	flat_load_b64 v[1:2], v[1:2]
.LBB124_2:
	s_load_b64 s[6:7], s[0:1], 0x20
	s_bitcmp1_b32 s3, 8
	s_cselect_b32 s33, -1, 0
	s_delay_alu instid0(SALU_CYCLE_1)
	s_and_b32 s3, s33, exec_lo
	s_cselect_b32 s11, s5, 0
	s_cselect_b32 s10, s4, 0
	s_xor_b32 s3, s33, -1
	v_dual_mov_b32 v3, s10 :: v_dual_mov_b32 v4, s11
	s_or_b32 s3, s3, s8
	s_delay_alu instid0(SALU_CYCLE_1)
	s_and_b32 vcc_lo, exec_lo, s3
	s_cbranch_vccnz .LBB124_4
; %bb.3:
	v_dual_mov_b32 v3, s4 :: v_dual_mov_b32 v4, s5
	flat_load_b64 v[3:4], v[3:4]
.LBB124_4:
	s_load_b64 s[4:5], s[0:1], 0x30
	s_mov_b64 s[34:35], 0
	s_waitcnt lgkmcnt(0)
	s_cmp_eq_u64 s[6:7], 0
	s_mov_b32 s3, 0
	s_cbranch_scc1 .LBB124_6
; %bb.5:
	s_load_b64 s[8:9], s[0:1], 0x18
	s_waitcnt lgkmcnt(0)
	s_load_b64 s[8:9], s[8:9], 0x0
	s_waitcnt lgkmcnt(0)
	s_lshl_b64 s[8:9], s[8:9], 3
	s_delay_alu instid0(SALU_CYCLE_1) | instskip(SKIP_2) | instid1(SALU_CYCLE_1)
	s_add_u32 s6, s6, s8
	s_addc_u32 s7, s7, s9
	s_lshl_b64 s[2:3], s[2:3], 3
	s_add_u32 s2, s6, s2
	s_addc_u32 s3, s7, s3
	s_load_b64 s[2:3], s[2:3], 0x0
.LBB124_6:
	s_and_not1_b32 vcc_lo, exec_lo, s38
	s_cbranch_vccz .LBB124_9
; %bb.7:
	s_and_not1_b32 vcc_lo, exec_lo, s38
	s_mov_b64 s[40:41], 0
	s_cbranch_vccz .LBB124_10
.LBB124_8:
	s_load_b128 s[24:27], s[0:1], 0x8
	s_waitcnt lgkmcnt(0)
	v_cmp_lt_i64_e64 s4, s[24:25], 1
	s_delay_alu instid0(VALU_DEP_1)
	s_and_b32 vcc_lo, exec_lo, s4
	s_cbranch_vccz .LBB124_11
	s_branch .LBB124_117
.LBB124_9:
	s_waitcnt lgkmcnt(0)
	s_lshl_b64 s[6:7], s[2:3], 3
	s_delay_alu instid0(SALU_CYCLE_1)
	s_add_u32 s6, s4, s6
	s_addc_u32 s7, s5, s7
	s_load_b64 s[6:7], s[6:7], 0x0
	s_waitcnt lgkmcnt(0)
	s_sub_u32 s34, s6, s20
	s_subb_u32 s35, s7, 0
	s_and_not1_b32 vcc_lo, exec_lo, s38
	s_mov_b64 s[40:41], 0
	s_cbranch_vccnz .LBB124_8
.LBB124_10:
	s_waitcnt lgkmcnt(0)
	s_lshl_b64 s[6:7], s[2:3], 3
	s_delay_alu instid0(SALU_CYCLE_1)
	s_add_u32 s4, s4, s6
	s_addc_u32 s5, s5, s7
	s_load_b64 s[4:5], s[4:5], 0x8
	s_waitcnt lgkmcnt(0)
	s_sub_u32 s40, s4, s20
	s_subb_u32 s41, s5, 0
	s_load_b128 s[24:27], s[0:1], 0x8
	s_waitcnt lgkmcnt(0)
	v_cmp_lt_i64_e64 s4, s[24:25], 1
	s_delay_alu instid0(VALU_DEP_1)
	s_and_b32 vcc_lo, exec_lo, s4
	s_cbranch_vccnz .LBB124_117
.LBB124_11:
	s_clause 0x4
	s_load_b256 s[4:11], s[0:1], 0x68
	s_load_b64 s[42:43], s[0:1], 0x98
	s_load_b128 s[28:31], s[0:1], 0x88
	s_load_b64 s[44:45], s[0:1], 0x58
	s_load_b256 s[12:19], s[0:1], 0x38
	v_lshrrev_b32_e32 v11, 3, v0
	s_lshl_b64 s[48:49], s[2:3], 3
	v_mov_b32_e32 v7, 0
	s_load_b32 s39, s[0:1], 0x0
	s_mul_hi_u32 s51, s26, s26
	v_mad_u64_u32 v[13:14], null, v11, s26, 0
	v_and_b32_e32 v5, 7, v0
	v_cmp_lt_i64_e64 s50, s[34:35], s[40:41]
	s_mov_b32 s47, 0
	s_mov_b32 s46, s23
	v_cmp_gt_u32_e64 s0, 2, v0
	s_mov_b64 s[52:53], 2
	s_delay_alu instid0(VALU_DEP_4)
	v_mov_b32_e32 v6, v14
	v_or_b32_e32 v17, 8, v5
	s_waitcnt lgkmcnt(0)
	s_add_u32 s2, s10, s48
	s_addc_u32 s3, s11, s49
	s_mul_i32 s11, s26, s27
	s_load_b64 s[2:3], s[2:3], 0x0
	v_mad_u64_u32 v[8:9], null, v11, s27, v[6:7]
	v_mad_u64_u32 v[9:10], null, v5, s26, 0
	v_or_b32_e32 v19, 16, v5
	v_or_b32_e32 v21, 24, v5
	v_lshlrev_b32_e32 v53, 5, v11
	v_dual_mov_b32 v14, v8 :: v_dual_lshlrev_b32 v61, 3, v0
	v_mov_b32_e32 v12, v7
	v_mov_b32_e32 v6, v7
	;; [unrolled: 1-line block ×4, first 2 shown]
	v_lshlrev_b64 v[13:14], 3, v[13:14]
	v_cmp_gt_u64_e32 vcc_lo, s[26:27], v[11:12]
	v_lshlrev_b64 v[11:12], 3, v[11:12]
	v_mov_b32_e32 v22, v7
	s_mul_i32 s10, s26, s26
	v_mad_u64_u32 v[15:16], null, v21, s26, 0
	s_waitcnt lgkmcnt(0)
	s_sub_u32 s36, s2, s22
	v_add_co_u32 v54, s2, s30, v11
	s_delay_alu instid0(VALU_DEP_1)
	v_add_co_ci_u32_e64 v55, s2, s31, v12, s2
	s_subb_u32 s37, s3, 0
	v_add_co_u32 v56, s2, s30, v13
	s_cmp_eq_u32 s39, 0
	v_add_co_ci_u32_e64 v57, s2, s31, v14, s2
	s_cselect_b32 s1, -1, 0
	s_cmp_lg_u32 s39, 0
	v_cmp_gt_i64_e64 s2, s[26:27], v[5:6]
	s_cselect_b32 s68, -1, 0
	s_add_i32 s3, s51, s11
	v_mov_b32_e32 v20, v7
	s_add_i32 s11, s3, s11
	s_add_u32 s30, s4, s48
	s_addc_u32 s31, s5, s49
	s_and_b32 s69, s2, vcc_lo
	v_cmp_gt_i64_e64 s2, s[26:27], v[17:18]
	v_mad_u64_u32 v[10:11], null, v5, s27, v[8:9]
	v_mad_u64_u32 v[11:12], null, v17, s26, 0
	v_cmp_gt_i64_e64 s3, s[26:27], v[19:20]
	s_delay_alu instid0(VALU_DEP_4) | instskip(SKIP_3) | instid1(VALU_DEP_3)
	s_and_b32 s70, s2, vcc_lo
	v_cmp_gt_i64_e64 s2, s[26:27], v[21:22]
	v_mad_u64_u32 v[13:14], null, v19, s26, 0
	s_and_b32 s5, s38, s50
	s_and_b32 s71, s3, vcc_lo
	s_delay_alu instid0(VALU_DEP_4) | instskip(NEXT) | instid1(VALU_DEP_3)
	v_mov_b32_e32 v6, v12
	s_and_b32 s72, s2, vcc_lo
	s_add_u32 s73, s16, 8
	s_addc_u32 s74, s17, 0
	s_mul_i32 s2, s34, s11
	s_mul_hi_u32 s3, s34, s10
	v_dual_mov_b32 v8, v14 :: v_dual_mov_b32 v73, 1
	s_add_u32 s75, s28, -8
	s_addc_u32 s76, s29, -1
	s_add_i32 s2, s3, s2
	s_mul_i32 s3, s35, s10
	v_mad_u64_u32 v[23:24], null, v17, s27, v[6:7]
	s_add_i32 s3, s2, s3
	s_mul_i32 s2, s34, s10
	v_mad_u64_u32 v[24:25], null, v19, s27, v[8:9]
	v_or_b32_e32 v8, v53, v17
	v_or_b32_e32 v17, v53, v19
	s_lshl_b64 s[2:3], s[2:3], 3
	s_lshl_b64 s[48:49], s[26:27], 3
	;; [unrolled: 1-line block ×3, first 2 shown]
	s_add_u32 s38, s14, s2
	s_mul_i32 s2, s34, s27
	s_mul_hi_u32 s4, s34, s26
	s_addc_u32 s39, s15, s3
	s_add_i32 s2, s4, s2
	s_mul_i32 s3, s35, s26
	v_dual_mov_b32 v6, v16 :: v_dual_lshlrev_b32 v59, 3, v17
	v_and_b32_e32 v17, 0xf8, v0
	s_add_i32 s3, s2, s3
	s_mul_i32 s2, s34, s26
	v_lshlrev_b32_e32 v58, 3, v8
	v_or_b32_e32 v8, v53, v21
	s_lshl_b64 s[2:3], s[2:3], 3
	v_mad_u64_u32 v[25:26], null, v21, s27, v[6:7]
	v_add_co_u32 v18, s2, s2, v17
	v_lshlrev_b32_e32 v21, 3, v5
	v_lshlrev_b32_e32 v60, 3, v8
	v_or_b32_e32 v8, 0x400, v0
	v_add_co_ci_u32_e64 v19, null, s3, 0, s2
	s_delay_alu instid0(VALU_DEP_4) | instskip(SKIP_1) | instid1(VALU_DEP_4)
	v_or_b32_e32 v62, 64, v21
	v_mov_b32_e32 v12, v23
	v_cmp_gt_u32_e64 s2, 0x700, v8
	s_delay_alu instid0(VALU_DEP_4)
	v_mul_lo_u32 v8, s26, v19
	v_mad_u64_u32 v[19:20], null, s26, v18, s[14:15]
	v_add_co_u32 v23, s14, s38, v17
	v_mov_b32_e32 v16, v25
	v_mul_lo_u32 v25, s27, v18
	v_or_b32_e32 v65, 0x80, v21
	v_mov_b32_e32 v14, v24
	v_add_co_ci_u32_e64 v24, null, s39, 0, s14
	v_add_co_u32 v63, s14, s44, v21
	v_or_b32_e32 v68, 0xc0, v21
	v_add_co_ci_u32_e64 v64, null, s45, 0, s14
	v_add_co_u32 v66, s14, s44, v62
	v_or_b32_e32 v6, v53, v5
	v_add_co_ci_u32_e64 v67, null, s45, 0, s14
	v_add_co_u32 v69, s14, s44, v65
	s_delay_alu instid0(VALU_DEP_1)
	v_add_co_ci_u32_e64 v70, null, s45, 0, s14
	s_lshl_b64 s[14:15], s[46:47], 3
	v_add_co_u32 v71, s38, s44, v68
	v_add3_u32 v20, v25, v20, v8
	v_dual_mov_b32 v25, s36 :: v_dual_lshlrev_b32 v6, 3, v6
	v_cmp_gt_u32_e64 s3, 0x200, v0
	v_cmp_gt_u32_e64 s4, 0x100, v0
	v_mov_b32_e32 v18, v7
	v_add_co_ci_u32_e64 v72, null, s45, 0, s38
	s_sub_u32 s77, s6, s14
	v_mov_b32_e32 v26, s37
	s_subb_u32 s78, s7, s15
	s_sub_u32 s23, 1, s23
	s_subb_u32 s79, 0, 0
	s_mov_b64 s[14:15], 0
	s_mov_b32 s6, s47
	s_mov_b32 s7, s47
	s_branch .LBB124_14
.LBB124_12:                             ;   in Loop: Header=BB124_14 Depth=1
	s_or_b32 exec_lo, exec_lo, s14
.LBB124_13:                             ;   in Loop: Header=BB124_14 Depth=1
	v_cmp_lt_i64_e64 s14, s[54:55], s[24:25]
	s_waitcnt lgkmcnt(0)
	v_dual_mov_b32 v25, v27 :: v_dual_mov_b32 v26, v28
	s_waitcnt_vscnt null, 0x0
	s_barrier
	buffer_gl0_inv
	s_and_b32 vcc_lo, s14, exec_lo
	s_cselect_b32 s14, s54, s24
	s_cselect_b32 s15, s55, s25
	s_add_u32 s52, s14, 2
	s_addc_u32 s53, s15, 0
	s_barrier
	buffer_gl0_inv
	s_cbranch_vccz .LBB124_117
.LBB124_14:                             ; =>This Loop Header: Depth=1
                                        ;     Child Loop BB124_24 Depth 2
                                        ;       Child Loop BB124_29 Depth 3
                                        ;         Child Loop BB124_44 Depth 4
                                        ;         Child Loop BB124_40 Depth 4
	;; [unrolled: 1-line block ×8, first 2 shown]
                                        ;     Child Loop BB124_82 Depth 2
	s_and_saveexec_b32 s36, s0
	s_cbranch_execz .LBB124_16
; %bb.15:                               ;   in Loop: Header=BB124_14 Depth=1
	ds_store_b8 v0, v7 offset:16384
.LBB124_16:                             ;   in Loop: Header=BB124_14 Depth=1
	s_or_b32 exec_lo, exec_lo, s36
	v_dual_mov_b32 v28, s7 :: v_dual_mov_b32 v27, s6
	ds_store_2addr_stride64_b64 v61, v[27:28], v[27:28] offset1:4
	ds_store_2addr_stride64_b64 v61, v[27:28], v[27:28] offset0:8 offset1:12
	ds_store_b64 v61, v[27:28] offset:8192
	s_and_saveexec_b32 s36, s2
	s_delay_alu instid0(SALU_CYCLE_1)
	s_xor_b32 s36, exec_lo, s36
	s_cbranch_execz .LBB124_22
; %bb.17:                               ;   in Loop: Header=BB124_14 Depth=1
	v_mov_b32_e32 v8, v7
	ds_store_b64 v61, v[7:8] offset:10240
	s_and_saveexec_b32 s37, s3
	s_delay_alu instid0(SALU_CYCLE_1)
	s_xor_b32 s37, exec_lo, s37
	s_cbranch_execz .LBB124_21
; %bb.18:                               ;   in Loop: Header=BB124_14 Depth=1
	ds_store_b64 v61, v[7:8] offset:12288
	s_and_saveexec_b32 s38, s4
	s_delay_alu instid0(SALU_CYCLE_1)
	s_xor_b32 s38, exec_lo, s38
	s_cbranch_execz .LBB124_20
; %bb.19:                               ;   in Loop: Header=BB124_14 Depth=1
	v_mov_b32_e32 v8, v7
	ds_store_b64 v61, v[7:8] offset:14336
.LBB124_20:                             ;   in Loop: Header=BB124_14 Depth=1
	s_or_b32 exec_lo, exec_lo, s38
.LBB124_21:                             ;   in Loop: Header=BB124_14 Depth=1
	s_delay_alu instid0(SALU_CYCLE_1)
	s_or_b32 exec_lo, exec_lo, s37
.LBB124_22:                             ;   in Loop: Header=BB124_14 Depth=1
	s_delay_alu instid0(SALU_CYCLE_1) | instskip(NEXT) | instid1(SALU_CYCLE_1)
	s_or_b32 exec_lo, exec_lo, s36
	s_and_not1_b32 vcc_lo, exec_lo, s5
	s_mov_b64 s[54:55], s[24:25]
	s_waitcnt vmcnt(0) lgkmcnt(0)
	s_barrier
	buffer_gl0_inv
	s_cbranch_vccnz .LBB124_77
; %bb.23:                               ;   in Loop: Header=BB124_14 Depth=1
	v_dual_mov_b32 v28, v20 :: v_dual_mov_b32 v27, v19
	v_dual_mov_b32 v30, v24 :: v_dual_mov_b32 v29, v23
	s_cmp_lg_u64 s[14:15], 0
	s_mov_b64 s[58:59], s[24:25]
	s_cselect_b32 s47, -1, 0
	s_mov_b64 s[36:37], s[34:35]
.LBB124_24:                             ;   Parent Loop BB124_14 Depth=1
                                        ; =>  This Loop Header: Depth=2
                                        ;       Child Loop BB124_29 Depth 3
                                        ;         Child Loop BB124_44 Depth 4
                                        ;         Child Loop BB124_40 Depth 4
	;; [unrolled: 1-line block ×8, first 2 shown]
	s_delay_alu instid0(SALU_CYCLE_1) | instskip(NEXT) | instid1(SALU_CYCLE_1)
	s_lshl_b64 s[38:39], s[36:37], 3
	s_add_u32 s54, s12, s38
	s_addc_u32 s55, s13, s39
	s_load_b64 s[54:55], s[54:55], 0x0
	s_waitcnt lgkmcnt(0)
	s_sub_u32 s54, s54, s20
	s_subb_u32 s55, s55, 0
	s_and_b32 vcc_lo, exec_lo, s47
	s_cbranch_vccz .LBB124_76
; %bb.25:                               ;   in Loop: Header=BB124_24 Depth=2
	s_add_u32 s56, s42, s38
	s_addc_u32 s57, s43, s39
	global_load_b64 v[31:32], v7, s[56:57]
	s_waitcnt vmcnt(0)
	v_readfirstlane_b32 s56, v31
	v_readfirstlane_b32 s57, v32
	s_cbranch_execnz .LBB124_27
.LBB124_26:                             ;   in Loop: Header=BB124_24 Depth=2
	s_lshl_b64 s[56:57], s[54:55], 3
	s_delay_alu instid0(SALU_CYCLE_1)
	s_add_u32 s56, s16, s56
	s_addc_u32 s57, s17, s57
	s_load_b64 s[56:57], s[56:57], 0x0
	s_waitcnt lgkmcnt(0)
	s_sub_u32 s56, s56, s21
	s_subb_u32 s57, s57, 0
.LBB124_27:                             ;   in Loop: Header=BB124_24 Depth=2
	s_lshl_b64 s[54:55], s[54:55], 3
	s_delay_alu instid0(SALU_CYCLE_1)
	s_add_u32 s54, s73, s54
	s_addc_u32 s55, s74, s55
	s_load_b64 s[54:55], s[54:55], 0x0
	s_waitcnt lgkmcnt(0)
	s_sub_u32 s60, s54, s21
	s_subb_u32 s61, s55, 0
	s_delay_alu instid0(SALU_CYCLE_1) | instskip(NEXT) | instid1(VALU_DEP_1)
	v_cmp_ge_i64_e64 s54, s[56:57], s[60:61]
	s_and_b32 vcc_lo, exec_lo, s54
	s_cbranch_vccnz .LBB124_73
; %bb.28:                               ;   in Loop: Header=BB124_24 Depth=2
	s_mul_i32 s54, s48, s57
	s_mul_hi_u32 s55, s48, s56
	s_mul_i32 s62, s49, s56
	s_add_i32 s54, s55, s54
	s_mul_i32 s55, s48, s56
	s_add_i32 s54, s54, s62
	v_add_co_u32 v8, s62, v21, s55
	s_delay_alu instid0(VALU_DEP_1) | instskip(SKIP_1) | instid1(VALU_DEP_2)
	v_add_co_ci_u32_e64 v31, null, 0, s54, s62
	s_mul_i32 s62, s50, s57
	v_mul_lo_u32 v35, s27, v8
	s_delay_alu instid0(VALU_DEP_2) | instskip(SKIP_2) | instid1(VALU_DEP_1)
	v_mul_lo_u32 v36, s26, v31
	v_mad_u64_u32 v[31:32], null, s26, v8, s[44:45]
	v_add_co_u32 v8, s63, v62, s55
	v_add_co_ci_u32_e64 v33, null, 0, s54, s63
	s_mul_hi_u32 s63, s50, s56
	s_delay_alu instid0(VALU_DEP_2) | instskip(SKIP_1) | instid1(VALU_DEP_2)
	v_mul_lo_u32 v38, s27, v8
	s_add_i32 s62, s63, s62
	v_mul_lo_u32 v37, s26, v33
	v_mad_u64_u32 v[33:34], null, s26, v8, s[44:45]
	v_add_co_u32 v8, s64, v65, s55
	v_add_co_u32 v41, s55, v68, s55
	s_mul_i32 s63, s51, s56
	v_add_co_ci_u32_e64 v39, null, 0, s54, s55
	s_delay_alu instid0(VALU_DEP_4) | instskip(SKIP_4) | instid1(VALU_DEP_2)
	v_add3_u32 v34, v38, v34, v37
	v_add_co_ci_u32_e64 v37, null, 0, s54, s64
	s_add_i32 s62, s62, s63
	s_mul_i32 s63, s50, s56
	v_mul_lo_u32 v44, s27, v8
	v_mul_lo_u32 v43, s26, v37
	v_mad_u64_u32 v[37:38], null, s26, v8, s[44:45]
	v_add3_u32 v32, v35, v32, v36
	v_add_co_u32 v35, vcc_lo, v63, s63
	v_mul_lo_u32 v8, s26, v39
	v_mul_lo_u32 v45, s27, v41
	v_mad_u64_u32 v[39:40], null, s26, v41, s[44:45]
	v_add_co_ci_u32_e32 v36, vcc_lo, s62, v64, vcc_lo
	v_add_co_u32 v41, vcc_lo, v66, s63
	v_add_co_ci_u32_e32 v42, vcc_lo, s62, v67, vcc_lo
	v_add3_u32 v38, v44, v38, v43
	v_add_co_u32 v43, vcc_lo, v69, s63
	v_add_co_ci_u32_e32 v44, vcc_lo, s62, v70, vcc_lo
	v_add3_u32 v40, v45, v40, v8
	v_add_co_u32 v45, vcc_lo, v71, s63
	v_add_co_ci_u32_e32 v46, vcc_lo, s62, v72, vcc_lo
	s_mov_b64 s[62:63], s[56:57]
.LBB124_29:                             ;   Parent Loop BB124_14 Depth=1
                                        ;     Parent Loop BB124_24 Depth=2
                                        ; =>    This Loop Header: Depth=3
                                        ;         Child Loop BB124_44 Depth 4
                                        ;         Child Loop BB124_40 Depth 4
	;; [unrolled: 1-line block ×8, first 2 shown]
	s_lshl_b64 s[54:55], s[56:57], 3
	s_mov_b32 s81, -1
	s_add_u32 s54, s18, s54
	s_addc_u32 s55, s19, s55
                                        ; implicit-def: $sgpr64_sgpr65
                                        ; implicit-def: $sgpr80
	s_load_b64 s[54:55], s[54:55], 0x0
	s_waitcnt lgkmcnt(0)
	s_sub_u32 s66, s54, s21
	s_subb_u32 s67, s55, 0
	s_delay_alu instid0(SALU_CYCLE_1) | instskip(SKIP_2) | instid1(VALU_DEP_2)
	v_cmp_ge_i64_e64 s54, s[66:67], s[14:15]
	v_cmp_lt_i64_e64 s55, s[66:67], s[52:53]
	v_cmp_ge_i64_e64 s82, s[66:67], s[52:53]
	s_and_b32 s54, s54, s55
	s_delay_alu instid0(SALU_CYCLE_1)
	s_and_not1_b32 vcc_lo, exec_lo, s54
                                        ; implicit-def: $sgpr54_sgpr55
	s_cbranch_vccz .LBB124_33
; %bb.30:                               ;   in Loop: Header=BB124_29 Depth=3
	s_mov_b32 s80, -1
	s_delay_alu instid0(VALU_DEP_1)
	s_and_not1_b32 vcc_lo, exec_lo, s82
	s_mov_b64 s[64:65], s[62:63]
	s_mov_b64 s[54:55], s[58:59]
	s_cbranch_vccnz .LBB124_32
; %bb.31:                               ;   in Loop: Header=BB124_29 Depth=3
	v_cmp_lt_i64_e64 s54, s[66:67], s[58:59]
	s_mov_b32 s80, 0
	s_mov_b64 s[64:65], s[56:57]
	s_delay_alu instid0(VALU_DEP_1)
	s_and_b32 s54, s54, exec_lo
	s_cselect_b32 s55, s67, s59
	s_cselect_b32 s54, s66, s58
.LBB124_32:                             ;   in Loop: Header=BB124_29 Depth=3
	s_mov_b32 s81, 0
.LBB124_33:                             ;   in Loop: Header=BB124_29 Depth=3
	s_delay_alu instid0(SALU_CYCLE_1)
	s_and_not1_b32 vcc_lo, exec_lo, s81
	s_cbranch_vccnz .LBB124_71
; %bb.34:                               ;   in Loop: Header=BB124_29 Depth=3
	s_sub_i32 s54, s66, s14
	s_delay_alu instid0(SALU_CYCLE_1)
	v_mov_b32_e32 v47, s54
	v_lshl_add_u32 v8, s54, 10, v53
	ds_store_b8 v47, v73 offset:16384
	s_and_saveexec_b32 s64, s69
	s_cbranch_execnz .LBB124_38
; %bb.35:                               ;   in Loop: Header=BB124_29 Depth=3
	s_or_b32 exec_lo, exec_lo, s64
	s_and_saveexec_b32 s64, s70
	s_cbranch_execnz .LBB124_46
.LBB124_36:                             ;   in Loop: Header=BB124_29 Depth=3
	s_or_b32 exec_lo, exec_lo, s64
	s_and_saveexec_b32 s64, s71
	s_cbranch_execnz .LBB124_54
.LBB124_37:                             ;   in Loop: Header=BB124_29 Depth=3
	s_or_b32 exec_lo, exec_lo, s64
	s_and_saveexec_b32 s64, s72
	s_cbranch_execnz .LBB124_62
	s_branch .LBB124_70
.LBB124_38:                             ;   in Loop: Header=BB124_29 Depth=3
	s_and_not1_b32 vcc_lo, exec_lo, s68
	s_cbranch_vccnz .LBB124_42
; %bb.39:                               ;   in Loop: Header=BB124_29 Depth=3
	v_dual_mov_b32 v47, 0 :: v_dual_mov_b32 v50, v30
	v_dual_mov_b32 v48, 0 :: v_dual_mov_b32 v49, v29
	;; [unrolled: 1-line block ×3, first 2 shown]
	s_mov_b64 s[54:55], s[26:27]
.LBB124_40:                             ;   Parent Loop BB124_14 Depth=1
                                        ;     Parent Loop BB124_24 Depth=2
                                        ;       Parent Loop BB124_29 Depth=3
                                        ; =>      This Inner Loop Header: Depth=4
	global_load_b64 v[74:75], v[49:50], off
	global_load_b64 v[76:77], v[51:52], off
	v_add_co_u32 v51, vcc_lo, v51, 8
	v_add_co_ci_u32_e32 v52, vcc_lo, 0, v52, vcc_lo
	v_add_co_u32 v49, vcc_lo, v49, s48
	s_add_u32 s54, s54, -1
	v_add_co_ci_u32_e32 v50, vcc_lo, s49, v50, vcc_lo
	s_addc_u32 s55, s55, -1
	s_delay_alu instid0(SALU_CYCLE_1)
	s_cmp_lg_u64 s[54:55], 0
	s_waitcnt vmcnt(0)
	v_fma_f64 v[47:48], v[74:75], v[76:77], v[47:48]
	s_cbranch_scc1 .LBB124_40
; %bb.41:                               ;   in Loop: Header=BB124_29 Depth=3
	s_branch .LBB124_45
.LBB124_42:                             ;   in Loop: Header=BB124_29 Depth=3
                                        ; implicit-def: $vgpr47_vgpr48
	s_cbranch_execz .LBB124_45
; %bb.43:                               ;   in Loop: Header=BB124_29 Depth=3
	v_dual_mov_b32 v47, 0 :: v_dual_mov_b32 v50, v36
	v_dual_mov_b32 v48, 0 :: v_dual_mov_b32 v49, v35
	;; [unrolled: 1-line block ×3, first 2 shown]
	s_mov_b64 s[54:55], s[26:27]
.LBB124_44:                             ;   Parent Loop BB124_14 Depth=1
                                        ;     Parent Loop BB124_24 Depth=2
                                        ;       Parent Loop BB124_29 Depth=3
                                        ; =>      This Inner Loop Header: Depth=4
	global_load_b64 v[74:75], v[51:52], off
	global_load_b64 v[76:77], v[49:50], off
	v_add_co_u32 v51, vcc_lo, v51, 8
	v_add_co_ci_u32_e32 v52, vcc_lo, 0, v52, vcc_lo
	v_add_co_u32 v49, vcc_lo, v49, s48
	s_add_u32 s54, s54, -1
	v_add_co_ci_u32_e32 v50, vcc_lo, s49, v50, vcc_lo
	s_addc_u32 s55, s55, -1
	s_delay_alu instid0(SALU_CYCLE_1)
	s_cmp_eq_u64 s[54:55], 0
	s_waitcnt vmcnt(0)
	v_fma_f64 v[47:48], v[74:75], v[76:77], v[47:48]
	s_cbranch_scc0 .LBB124_44
.LBB124_45:                             ;   in Loop: Header=BB124_29 Depth=3
	v_or_b32_e32 v49, v8, v5
	s_delay_alu instid0(VALU_DEP_1)
	v_lshlrev_b32_e32 v51, 3, v49
	ds_load_b64 v[49:50], v51
	s_waitcnt lgkmcnt(0)
	v_fma_f64 v[47:48], v[1:2], v[47:48], v[49:50]
	ds_store_b64 v51, v[47:48]
	s_or_b32 exec_lo, exec_lo, s64
	s_and_saveexec_b32 s64, s70
	s_cbranch_execz .LBB124_36
.LBB124_46:                             ;   in Loop: Header=BB124_29 Depth=3
	s_and_not1_b32 vcc_lo, exec_lo, s68
	s_cbranch_vccnz .LBB124_50
; %bb.47:                               ;   in Loop: Header=BB124_29 Depth=3
	v_dual_mov_b32 v47, 0 :: v_dual_mov_b32 v50, v30
	v_dual_mov_b32 v48, 0 :: v_dual_mov_b32 v49, v29
	;; [unrolled: 1-line block ×3, first 2 shown]
	s_mov_b64 s[54:55], s[26:27]
.LBB124_48:                             ;   Parent Loop BB124_14 Depth=1
                                        ;     Parent Loop BB124_24 Depth=2
                                        ;       Parent Loop BB124_29 Depth=3
                                        ; =>      This Inner Loop Header: Depth=4
	global_load_b64 v[74:75], v[49:50], off
	global_load_b64 v[76:77], v[51:52], off
	v_add_co_u32 v51, vcc_lo, v51, 8
	v_add_co_ci_u32_e32 v52, vcc_lo, 0, v52, vcc_lo
	v_add_co_u32 v49, vcc_lo, v49, s48
	s_add_u32 s54, s54, -1
	v_add_co_ci_u32_e32 v50, vcc_lo, s49, v50, vcc_lo
	s_addc_u32 s55, s55, -1
	s_delay_alu instid0(SALU_CYCLE_1)
	s_cmp_eq_u64 s[54:55], 0
	s_waitcnt vmcnt(0)
	v_fma_f64 v[47:48], v[74:75], v[76:77], v[47:48]
	s_cbranch_scc0 .LBB124_48
; %bb.49:                               ;   in Loop: Header=BB124_29 Depth=3
	s_branch .LBB124_53
.LBB124_50:                             ;   in Loop: Header=BB124_29 Depth=3
                                        ; implicit-def: $vgpr47_vgpr48
	s_cbranch_execz .LBB124_53
; %bb.51:                               ;   in Loop: Header=BB124_29 Depth=3
	v_dual_mov_b32 v47, 0 :: v_dual_mov_b32 v50, v42
	v_dual_mov_b32 v48, 0 :: v_dual_mov_b32 v49, v41
	;; [unrolled: 1-line block ×3, first 2 shown]
	s_mov_b64 s[54:55], s[26:27]
.LBB124_52:                             ;   Parent Loop BB124_14 Depth=1
                                        ;     Parent Loop BB124_24 Depth=2
                                        ;       Parent Loop BB124_29 Depth=3
                                        ; =>      This Inner Loop Header: Depth=4
	global_load_b64 v[74:75], v[51:52], off
	global_load_b64 v[76:77], v[49:50], off
	v_add_co_u32 v51, vcc_lo, v51, 8
	v_add_co_ci_u32_e32 v52, vcc_lo, 0, v52, vcc_lo
	v_add_co_u32 v49, vcc_lo, v49, s48
	s_add_u32 s54, s54, -1
	v_add_co_ci_u32_e32 v50, vcc_lo, s49, v50, vcc_lo
	s_addc_u32 s55, s55, -1
	s_delay_alu instid0(SALU_CYCLE_1)
	s_cmp_eq_u64 s[54:55], 0
	s_waitcnt vmcnt(0)
	v_fma_f64 v[47:48], v[74:75], v[76:77], v[47:48]
	s_cbranch_scc0 .LBB124_52
.LBB124_53:                             ;   in Loop: Header=BB124_29 Depth=3
	v_add_lshl_u32 v51, v8, v5, 3
	ds_load_b64 v[49:50], v51 offset:64
	s_waitcnt lgkmcnt(0)
	v_fma_f64 v[47:48], v[1:2], v[47:48], v[49:50]
	ds_store_b64 v51, v[47:48] offset:64
	s_or_b32 exec_lo, exec_lo, s64
	s_and_saveexec_b32 s64, s71
	s_cbranch_execz .LBB124_37
.LBB124_54:                             ;   in Loop: Header=BB124_29 Depth=3
	s_and_not1_b32 vcc_lo, exec_lo, s68
	s_cbranch_vccnz .LBB124_58
; %bb.55:                               ;   in Loop: Header=BB124_29 Depth=3
	v_dual_mov_b32 v47, 0 :: v_dual_mov_b32 v50, v30
	v_dual_mov_b32 v48, 0 :: v_dual_mov_b32 v49, v29
	;; [unrolled: 1-line block ×3, first 2 shown]
	s_mov_b64 s[54:55], s[26:27]
.LBB124_56:                             ;   Parent Loop BB124_14 Depth=1
                                        ;     Parent Loop BB124_24 Depth=2
                                        ;       Parent Loop BB124_29 Depth=3
                                        ; =>      This Inner Loop Header: Depth=4
	global_load_b64 v[74:75], v[49:50], off
	global_load_b64 v[76:77], v[51:52], off
	v_add_co_u32 v51, vcc_lo, v51, 8
	v_add_co_ci_u32_e32 v52, vcc_lo, 0, v52, vcc_lo
	v_add_co_u32 v49, vcc_lo, v49, s48
	s_add_u32 s54, s54, -1
	v_add_co_ci_u32_e32 v50, vcc_lo, s49, v50, vcc_lo
	s_addc_u32 s55, s55, -1
	s_delay_alu instid0(SALU_CYCLE_1)
	s_cmp_eq_u64 s[54:55], 0
	s_waitcnt vmcnt(0)
	v_fma_f64 v[47:48], v[74:75], v[76:77], v[47:48]
	s_cbranch_scc0 .LBB124_56
; %bb.57:                               ;   in Loop: Header=BB124_29 Depth=3
	s_branch .LBB124_61
.LBB124_58:                             ;   in Loop: Header=BB124_29 Depth=3
                                        ; implicit-def: $vgpr47_vgpr48
	s_cbranch_execz .LBB124_61
; %bb.59:                               ;   in Loop: Header=BB124_29 Depth=3
	v_dual_mov_b32 v47, 0 :: v_dual_mov_b32 v50, v44
	v_dual_mov_b32 v48, 0 :: v_dual_mov_b32 v49, v43
	;; [unrolled: 1-line block ×3, first 2 shown]
	s_mov_b64 s[54:55], s[26:27]
.LBB124_60:                             ;   Parent Loop BB124_14 Depth=1
                                        ;     Parent Loop BB124_24 Depth=2
                                        ;       Parent Loop BB124_29 Depth=3
                                        ; =>      This Inner Loop Header: Depth=4
	global_load_b64 v[74:75], v[51:52], off
	global_load_b64 v[76:77], v[49:50], off
	v_add_co_u32 v51, vcc_lo, v51, 8
	v_add_co_ci_u32_e32 v52, vcc_lo, 0, v52, vcc_lo
	v_add_co_u32 v49, vcc_lo, v49, s48
	s_add_u32 s54, s54, -1
	v_add_co_ci_u32_e32 v50, vcc_lo, s49, v50, vcc_lo
	s_addc_u32 s55, s55, -1
	s_delay_alu instid0(SALU_CYCLE_1)
	s_cmp_eq_u64 s[54:55], 0
	s_waitcnt vmcnt(0)
	v_fma_f64 v[47:48], v[74:75], v[76:77], v[47:48]
	s_cbranch_scc0 .LBB124_60
.LBB124_61:                             ;   in Loop: Header=BB124_29 Depth=3
	v_add_lshl_u32 v51, v8, v5, 3
	ds_load_b64 v[49:50], v51 offset:128
	s_waitcnt lgkmcnt(0)
	v_fma_f64 v[47:48], v[1:2], v[47:48], v[49:50]
	ds_store_b64 v51, v[47:48] offset:128
	s_or_b32 exec_lo, exec_lo, s64
	s_and_saveexec_b32 s64, s72
	s_cbranch_execz .LBB124_70
.LBB124_62:                             ;   in Loop: Header=BB124_29 Depth=3
	s_and_not1_b32 vcc_lo, exec_lo, s68
	s_cbranch_vccnz .LBB124_66
; %bb.63:                               ;   in Loop: Header=BB124_29 Depth=3
	v_dual_mov_b32 v47, 0 :: v_dual_mov_b32 v50, v30
	v_dual_mov_b32 v48, 0 :: v_dual_mov_b32 v49, v29
	;; [unrolled: 1-line block ×3, first 2 shown]
	s_mov_b64 s[54:55], s[26:27]
.LBB124_64:                             ;   Parent Loop BB124_14 Depth=1
                                        ;     Parent Loop BB124_24 Depth=2
                                        ;       Parent Loop BB124_29 Depth=3
                                        ; =>      This Inner Loop Header: Depth=4
	global_load_b64 v[74:75], v[49:50], off
	global_load_b64 v[76:77], v[51:52], off
	v_add_co_u32 v51, vcc_lo, v51, 8
	v_add_co_ci_u32_e32 v52, vcc_lo, 0, v52, vcc_lo
	v_add_co_u32 v49, vcc_lo, v49, s48
	s_add_u32 s54, s54, -1
	v_add_co_ci_u32_e32 v50, vcc_lo, s49, v50, vcc_lo
	s_addc_u32 s55, s55, -1
	s_delay_alu instid0(SALU_CYCLE_1)
	s_cmp_eq_u64 s[54:55], 0
	s_waitcnt vmcnt(0)
	v_fma_f64 v[47:48], v[74:75], v[76:77], v[47:48]
	s_cbranch_scc0 .LBB124_64
; %bb.65:                               ;   in Loop: Header=BB124_29 Depth=3
	s_branch .LBB124_69
.LBB124_66:                             ;   in Loop: Header=BB124_29 Depth=3
                                        ; implicit-def: $vgpr47_vgpr48
	s_cbranch_execz .LBB124_69
; %bb.67:                               ;   in Loop: Header=BB124_29 Depth=3
	v_dual_mov_b32 v47, 0 :: v_dual_mov_b32 v50, v46
	v_dual_mov_b32 v48, 0 :: v_dual_mov_b32 v49, v45
	;; [unrolled: 1-line block ×3, first 2 shown]
	s_mov_b64 s[54:55], s[26:27]
.LBB124_68:                             ;   Parent Loop BB124_14 Depth=1
                                        ;     Parent Loop BB124_24 Depth=2
                                        ;       Parent Loop BB124_29 Depth=3
                                        ; =>      This Inner Loop Header: Depth=4
	global_load_b64 v[74:75], v[51:52], off
	global_load_b64 v[76:77], v[49:50], off
	v_add_co_u32 v51, vcc_lo, v51, 8
	v_add_co_ci_u32_e32 v52, vcc_lo, 0, v52, vcc_lo
	v_add_co_u32 v49, vcc_lo, v49, s48
	s_add_u32 s54, s54, -1
	v_add_co_ci_u32_e32 v50, vcc_lo, s49, v50, vcc_lo
	s_addc_u32 s55, s55, -1
	s_delay_alu instid0(SALU_CYCLE_1)
	s_cmp_eq_u64 s[54:55], 0
	s_waitcnt vmcnt(0)
	v_fma_f64 v[47:48], v[74:75], v[76:77], v[47:48]
	s_cbranch_scc0 .LBB124_68
.LBB124_69:                             ;   in Loop: Header=BB124_29 Depth=3
	v_add_lshl_u32 v8, v8, v5, 3
	ds_load_b64 v[49:50], v8 offset:192
	s_waitcnt lgkmcnt(0)
	v_fma_f64 v[47:48], v[1:2], v[47:48], v[49:50]
	ds_store_b64 v8, v[47:48] offset:192
.LBB124_70:                             ;   in Loop: Header=BB124_29 Depth=3
	s_or_b32 exec_lo, exec_lo, s64
	s_mov_b32 s80, -1
	s_mov_b64 s[64:65], s[62:63]
	s_mov_b64 s[54:55], s[58:59]
	s_waitcnt lgkmcnt(0)
	s_waitcnt_vscnt null, 0x0
	s_barrier
	buffer_gl0_inv
.LBB124_71:                             ;   in Loop: Header=BB124_29 Depth=3
	v_add_co_u32 v31, vcc_lo, v31, s50
	v_add_co_ci_u32_e32 v32, vcc_lo, s51, v32, vcc_lo
	v_add_co_u32 v35, vcc_lo, v35, s50
	v_add_co_ci_u32_e32 v36, vcc_lo, s51, v36, vcc_lo
	;; [unrolled: 2-line block ×5, first 2 shown]
	s_add_u32 s56, s56, 1
	v_add_co_u32 v43, vcc_lo, v43, s50
	s_addc_u32 s57, s57, 0
	v_add_co_ci_u32_e32 v44, vcc_lo, s51, v44, vcc_lo
	v_cmp_lt_i64_e64 s58, s[56:57], s[60:61]
	v_add_co_u32 v39, vcc_lo, v39, s50
	v_add_co_ci_u32_e32 v40, vcc_lo, s51, v40, vcc_lo
	v_add_co_u32 v45, vcc_lo, v45, s50
	v_add_co_ci_u32_e32 v46, vcc_lo, s51, v46, vcc_lo
	s_and_b32 s58, s80, s58
	s_delay_alu instid0(SALU_CYCLE_1)
	s_and_b32 vcc_lo, exec_lo, s58
	s_cbranch_vccz .LBB124_74
; %bb.72:                               ;   in Loop: Header=BB124_29 Depth=3
	s_mov_b64 s[62:63], s[64:65]
	s_mov_b64 s[58:59], s[54:55]
	s_branch .LBB124_29
.LBB124_73:                             ;   in Loop: Header=BB124_24 Depth=2
	s_mov_b64 s[64:65], s[56:57]
	s_mov_b64 s[54:55], s[58:59]
.LBB124_74:                             ;   in Loop: Header=BB124_24 Depth=2
	s_add_u32 s38, s42, s38
	s_addc_u32 s39, s43, s39
	s_add_u32 s36, s36, 1
	s_addc_u32 s37, s37, 0
	v_add_co_u32 v29, vcc_lo, v29, s50
	v_cmp_lt_i64_e64 s56, s[36:37], s[40:41]
	v_add_co_ci_u32_e32 v30, vcc_lo, s51, v30, vcc_lo
	v_add_co_u32 v27, vcc_lo, v27, s50
	v_dual_mov_b32 v31, s64 :: v_dual_mov_b32 v32, s65
	v_add_co_ci_u32_e32 v28, vcc_lo, s51, v28, vcc_lo
	s_and_b32 vcc_lo, exec_lo, s56
	global_store_b64 v7, v[31:32], s[38:39]
	s_cbranch_vccz .LBB124_77
; %bb.75:                               ;   in Loop: Header=BB124_24 Depth=2
	s_mov_b64 s[58:59], s[54:55]
	s_branch .LBB124_24
.LBB124_76:                             ;   in Loop: Header=BB124_24 Depth=2
                                        ; implicit-def: $sgpr56_sgpr57
	s_branch .LBB124_26
.LBB124_77:                             ;   in Loop: Header=BB124_14 Depth=1
	s_and_not1_b32 vcc_lo, exec_lo, s33
	s_cbranch_vccnz .LBB124_93
; %bb.78:                               ;   in Loop: Header=BB124_14 Depth=1
	s_load_b128 s[36:39], s[30:31], 0x0
	s_waitcnt lgkmcnt(0)
	v_cmp_ge_i64_e64 s47, s[36:37], s[38:39]
	s_delay_alu instid0(VALU_DEP_1)
	s_and_b32 vcc_lo, exec_lo, s47
	s_cbranch_vccnz .LBB124_93
; %bb.79:                               ;   in Loop: Header=BB124_14 Depth=1
	s_sub_u32 s38, s38, s46
	s_subb_u32 s39, s39, 0
	s_sub_u32 s47, s36, s46
	s_subb_u32 s58, s37, 0
	s_lshl_b64 s[56:57], s[36:37], 3
	s_mul_i32 s58, s48, s58
	s_mul_hi_u32 s59, s48, s47
	s_add_u32 s56, s77, s56
	s_addc_u32 s57, s78, s57
	s_add_i32 s58, s59, s58
	s_mul_i32 s59, s49, s47
	s_mul_i32 s47, s48, s47
	s_add_i32 s58, s58, s59
	v_add_co_u32 v8, s59, v17, s47
	s_delay_alu instid0(VALU_DEP_1) | instskip(SKIP_1) | instid1(VALU_DEP_2)
	v_add_co_ci_u32_e64 v27, null, 0, s58, s59
	s_add_u32 s36, s23, s36
	v_mul_lo_u32 v38, s27, v8
	s_addc_u32 s37, s79, s37
	s_delay_alu instid0(VALU_DEP_2) | instskip(SKIP_2) | instid1(VALU_DEP_1)
	v_mul_lo_u32 v37, s26, v27
	v_mad_u64_u32 v[27:28], null, s26, v8, v[21:22]
	v_add_co_u32 v8, s59, v21, s47
	v_add_co_ci_u32_e64 v29, null, 0, s58, s59
	v_add_co_u32 v33, s59, v62, s47
	s_delay_alu instid0(VALU_DEP_1)
	v_add_co_ci_u32_e64 v31, null, 0, s58, s59
	v_add_co_u32 v35, s59, v65, s47
	v_add_co_u32 v42, s47, v68, s47
	v_mul_lo_u32 v39, s26, v29
	v_mul_lo_u32 v40, s27, v8
	v_mad_u64_u32 v[29:30], null, s26, v8, v[17:18]
	v_mul_lo_u32 v8, s26, v31
	v_mul_lo_u32 v41, s27, v33
	v_mad_u64_u32 v[31:32], null, s26, v33, v[17:18]
	v_add_co_ci_u32_e64 v33, null, 0, s58, s59
	v_add_co_ci_u32_e64 v36, null, 0, s58, s47
	v_mul_lo_u32 v44, s27, v35
	s_delay_alu instid0(VALU_DEP_3) | instskip(SKIP_1) | instid1(VALU_DEP_4)
	v_mul_lo_u32 v43, s26, v33
	v_mad_u64_u32 v[33:34], null, s26, v35, v[17:18]
	v_mul_lo_u32 v45, s26, v36
	v_mul_lo_u32 v46, s27, v42
	v_mad_u64_u32 v[35:36], null, s26, v42, v[17:18]
	v_add3_u32 v28, v38, v28, v37
	v_add3_u32 v30, v40, v30, v39
	;; [unrolled: 1-line block ×4, first 2 shown]
	s_mov_b64 s[58:59], s[8:9]
	v_add3_u32 v36, v46, v36, v45
	s_branch .LBB124_82
.LBB124_80:                             ;   in Loop: Header=BB124_82 Depth=2
	s_or_b32 exec_lo, exec_lo, s47
	s_mov_b32 s47, -1
	s_mov_b64 s[60:61], s[54:55]
	s_waitcnt lgkmcnt(0)
	s_waitcnt_vscnt null, 0x0
	s_barrier
	buffer_gl0_inv
.LBB124_81:                             ;   in Loop: Header=BB124_82 Depth=2
	v_cmp_lt_i64_e64 s54, s[36:37], s[38:39]
	s_delay_alu instid0(VALU_DEP_1)
	s_and_b32 s47, s47, s54
	s_add_u32 s56, s56, 8
	s_addc_u32 s57, s57, 0
	s_add_u32 s58, s58, s50
	s_addc_u32 s59, s59, s51
	;; [unrolled: 2-line block ×3, first 2 shown]
	s_mov_b64 s[54:55], s[60:61]
	s_and_b32 vcc_lo, exec_lo, s47
	s_cbranch_vccz .LBB124_93
.LBB124_82:                             ;   Parent Loop BB124_14 Depth=1
                                        ; =>  This Inner Loop Header: Depth=2
	s_load_b64 s[60:61], s[56:57], 0x0
	s_mov_b32 s64, -1
	s_waitcnt lgkmcnt(0)
	s_sub_u32 s62, s60, s46
	s_subb_u32 s63, s61, 0
	s_delay_alu instid0(SALU_CYCLE_1) | instskip(SKIP_1) | instid1(VALU_DEP_1)
	v_cmp_ge_i64_e64 s60, s[62:63], s[14:15]
	v_cmp_lt_i64_e64 s47, s[62:63], s[52:53]
	s_and_b32 s60, s60, s47
	s_delay_alu instid0(SALU_CYCLE_1)
	s_and_not1_b32 vcc_lo, exec_lo, s60
                                        ; implicit-def: $sgpr60_sgpr61
	s_cbranch_vccz .LBB124_84
; %bb.83:                               ;   in Loop: Header=BB124_82 Depth=2
	v_cmp_lt_i64_e64 s60, s[62:63], s[54:55]
	s_mov_b32 s64, 0
	s_delay_alu instid0(VALU_DEP_1)
	s_and_b32 s60, s60, exec_lo
	s_cselect_b32 s60, s62, s54
	s_cselect_b32 s61, s63, s55
	s_and_b32 s63, s47, exec_lo
	s_cselect_b32 s61, s55, s61
	s_cselect_b32 s60, s54, s60
.LBB124_84:                             ;   in Loop: Header=BB124_82 Depth=2
	s_and_not1_b32 vcc_lo, exec_lo, s64
	s_cbranch_vccnz .LBB124_81
; %bb.85:                               ;   in Loop: Header=BB124_82 Depth=2
	s_sub_i32 s47, s62, s14
	s_delay_alu instid0(SALU_CYCLE_1)
	v_mov_b32_e32 v37, s47
	v_lshl_add_u32 v8, s47, 10, v53
	ds_store_b8 v37, v73 offset:16384
	s_and_saveexec_b32 s47, s69
	s_cbranch_execnz .LBB124_89
; %bb.86:                               ;   in Loop: Header=BB124_82 Depth=2
	s_or_b32 exec_lo, exec_lo, s47
	v_add_lshl_u32 v8, v8, v5, 3
	s_and_saveexec_b32 s47, s70
	s_cbranch_execnz .LBB124_90
.LBB124_87:                             ;   in Loop: Header=BB124_82 Depth=2
	s_or_b32 exec_lo, exec_lo, s47
	s_and_saveexec_b32 s47, s71
	s_cbranch_execnz .LBB124_91
.LBB124_88:                             ;   in Loop: Header=BB124_82 Depth=2
	s_or_b32 exec_lo, exec_lo, s47
	s_and_saveexec_b32 s47, s72
	s_cbranch_execz .LBB124_80
	s_branch .LBB124_92
.LBB124_89:                             ;   in Loop: Header=BB124_82 Depth=2
	v_cndmask_b32_e64 v37, v29, v27, s1
	v_cndmask_b32_e64 v38, v30, v28, s1
	v_or_b32_e32 v39, v8, v5
	s_delay_alu instid0(VALU_DEP_3) | instskip(NEXT) | instid1(VALU_DEP_3)
	v_add_co_u32 v37, vcc_lo, s58, v37
	v_add_co_ci_u32_e32 v38, vcc_lo, s59, v38, vcc_lo
	s_delay_alu instid0(VALU_DEP_3)
	v_lshlrev_b32_e32 v41, 3, v39
	global_load_b64 v[37:38], v[37:38], off
	ds_load_b64 v[39:40], v41
	s_waitcnt vmcnt(0) lgkmcnt(0)
	v_fma_f64 v[37:38], v[3:4], v[37:38], v[39:40]
	ds_store_b64 v41, v[37:38]
	s_or_b32 exec_lo, exec_lo, s47
	v_add_lshl_u32 v8, v8, v5, 3
	s_and_saveexec_b32 s47, s70
	s_cbranch_execz .LBB124_87
.LBB124_90:                             ;   in Loop: Header=BB124_82 Depth=2
	v_add_co_u32 v37, vcc_lo, s58, v27
	v_add_co_ci_u32_e32 v38, vcc_lo, s59, v28, vcc_lo
	s_delay_alu instid0(VALU_DEP_2) | instskip(NEXT) | instid1(VALU_DEP_2)
	v_add_co_u32 v37, vcc_lo, v37, 64
	v_add_co_ci_u32_e32 v38, vcc_lo, 0, v38, vcc_lo
	v_add_co_u32 v39, vcc_lo, s58, v31
	v_add_co_ci_u32_e32 v40, vcc_lo, s59, v32, vcc_lo
	s_delay_alu instid0(VALU_DEP_2) | instskip(NEXT) | instid1(VALU_DEP_2)
	v_cndmask_b32_e64 v37, v39, v37, s1
	v_cndmask_b32_e64 v38, v40, v38, s1
	ds_load_b64 v[39:40], v8 offset:64
	global_load_b64 v[37:38], v[37:38], off
	s_waitcnt vmcnt(0) lgkmcnt(0)
	v_fma_f64 v[37:38], v[3:4], v[37:38], v[39:40]
	ds_store_b64 v8, v[37:38] offset:64
	s_or_b32 exec_lo, exec_lo, s47
	s_and_saveexec_b32 s47, s71
	s_cbranch_execz .LBB124_88
.LBB124_91:                             ;   in Loop: Header=BB124_82 Depth=2
	v_add_co_u32 v37, vcc_lo, s58, v27
	v_add_co_ci_u32_e32 v38, vcc_lo, s59, v28, vcc_lo
	s_delay_alu instid0(VALU_DEP_2) | instskip(NEXT) | instid1(VALU_DEP_2)
	v_add_co_u32 v37, vcc_lo, 0x80, v37
	v_add_co_ci_u32_e32 v38, vcc_lo, 0, v38, vcc_lo
	v_add_co_u32 v39, vcc_lo, s58, v33
	v_add_co_ci_u32_e32 v40, vcc_lo, s59, v34, vcc_lo
	s_delay_alu instid0(VALU_DEP_2) | instskip(NEXT) | instid1(VALU_DEP_2)
	v_cndmask_b32_e64 v37, v39, v37, s1
	v_cndmask_b32_e64 v38, v40, v38, s1
	ds_load_b64 v[39:40], v8 offset:128
	global_load_b64 v[37:38], v[37:38], off
	s_waitcnt vmcnt(0) lgkmcnt(0)
	v_fma_f64 v[37:38], v[3:4], v[37:38], v[39:40]
	ds_store_b64 v8, v[37:38] offset:128
	s_or_b32 exec_lo, exec_lo, s47
	s_and_saveexec_b32 s47, s72
	s_cbranch_execz .LBB124_80
.LBB124_92:                             ;   in Loop: Header=BB124_82 Depth=2
	v_add_co_u32 v37, vcc_lo, s58, v27
	v_add_co_ci_u32_e32 v38, vcc_lo, s59, v28, vcc_lo
	s_delay_alu instid0(VALU_DEP_2) | instskip(NEXT) | instid1(VALU_DEP_2)
	v_add_co_u32 v37, vcc_lo, 0xc0, v37
	v_add_co_ci_u32_e32 v38, vcc_lo, 0, v38, vcc_lo
	v_add_co_u32 v39, vcc_lo, s58, v35
	v_add_co_ci_u32_e32 v40, vcc_lo, s59, v36, vcc_lo
	s_delay_alu instid0(VALU_DEP_2) | instskip(NEXT) | instid1(VALU_DEP_2)
	v_cndmask_b32_e64 v37, v39, v37, s1
	v_cndmask_b32_e64 v38, v40, v38, s1
	ds_load_b64 v[39:40], v8 offset:192
	global_load_b64 v[37:38], v[37:38], off
	s_waitcnt vmcnt(0) lgkmcnt(0)
	v_fma_f64 v[37:38], v[3:4], v[37:38], v[39:40]
	ds_store_b64 v8, v[37:38] offset:192
	s_branch .LBB124_80
.LBB124_93:                             ;   in Loop: Header=BB124_14 Depth=1
	s_waitcnt_vscnt null, 0x0
	s_barrier
	buffer_gl0_inv
	ds_load_u8 v8, v7 offset:16384
	s_add_u32 s14, s14, s22
	s_addc_u32 s15, s15, 0
	s_mov_b32 s36, 0
	s_waitcnt lgkmcnt(0)
	v_cmp_eq_u32_e32 vcc_lo, 0, v8
	s_cbranch_vccnz .LBB124_100
; %bb.94:                               ;   in Loop: Header=BB124_14 Depth=1
	v_mul_lo_u32 v8, v26, s10
	v_mul_lo_u32 v29, v25, s11
	v_mad_u64_u32 v[27:28], null, v25, s10, 0
	v_dual_mov_b32 v32, s15 :: v_dual_mov_b32 v31, s14
	s_delay_alu instid0(VALU_DEP_2) | instskip(SKIP_1) | instid1(VALU_DEP_2)
	v_add3_u32 v28, v28, v29, v8
	v_lshlrev_b64 v[29:30], 3, v[25:26]
	v_lshlrev_b64 v[33:34], 3, v[27:28]
	s_delay_alu instid0(VALU_DEP_2) | instskip(NEXT) | instid1(VALU_DEP_3)
	v_add_co_u32 v35, vcc_lo, s28, v29
	v_add_co_ci_u32_e32 v36, vcc_lo, s29, v30, vcc_lo
	s_delay_alu instid0(VALU_DEP_3) | instskip(NEXT) | instid1(VALU_DEP_4)
	v_add_co_u32 v8, vcc_lo, v54, v33
	v_add_co_ci_u32_e32 v27, vcc_lo, v55, v34, vcc_lo
	v_add_co_u32 v28, vcc_lo, v56, v33
	v_add_co_ci_u32_e32 v29, vcc_lo, v57, v34, vcc_lo
	global_store_b64 v[35:36], v[31:32], off
	s_and_saveexec_b32 s36, s69
	s_cbranch_execnz .LBB124_107
; %bb.95:                               ;   in Loop: Header=BB124_14 Depth=1
	s_or_b32 exec_lo, exec_lo, s36
	s_and_saveexec_b32 s36, s70
	s_cbranch_execnz .LBB124_108
.LBB124_96:                             ;   in Loop: Header=BB124_14 Depth=1
	s_or_b32 exec_lo, exec_lo, s36
	s_and_saveexec_b32 s36, s71
	s_cbranch_execnz .LBB124_109
.LBB124_97:                             ;   in Loop: Header=BB124_14 Depth=1
	s_or_b32 exec_lo, exec_lo, s36
	s_and_saveexec_b32 s36, s72
	s_cbranch_execz .LBB124_99
.LBB124_98:                             ;   in Loop: Header=BB124_14 Depth=1
	v_lshlrev_b32_e32 v34, 3, v5
	v_lshlrev_b64 v[32:33], 3, v[15:16]
	ds_load_b64 v[30:31], v6 offset:192
	v_add_co_u32 v28, vcc_lo, v28, v34
	v_add_co_ci_u32_e32 v29, vcc_lo, 0, v29, vcc_lo
	v_add_co_u32 v8, vcc_lo, v8, v32
	v_add_co_ci_u32_e32 v27, vcc_lo, v27, v33, vcc_lo
	s_delay_alu instid0(VALU_DEP_4) | instskip(NEXT) | instid1(VALU_DEP_4)
	v_add_co_u32 v32, vcc_lo, 0xc0, v28
	v_add_co_ci_u32_e32 v28, vcc_lo, 0, v29, vcc_lo
	s_delay_alu instid0(VALU_DEP_1) | instskip(NEXT) | instid1(VALU_DEP_3)
	v_cndmask_b32_e64 v28, v27, v28, s1
	v_cndmask_b32_e64 v27, v8, v32, s1
	s_waitcnt lgkmcnt(0)
	global_store_b64 v[27:28], v[30:31], off
.LBB124_99:                             ;   in Loop: Header=BB124_14 Depth=1
	s_or_b32 exec_lo, exec_lo, s36
	s_mov_b32 s36, 1
.LBB124_100:                            ;   in Loop: Header=BB124_14 Depth=1
	ds_load_u8 v8, v7 offset:16385
	s_waitcnt lgkmcnt(0)
	v_and_b32_e32 v8, 1, v8
	s_delay_alu instid0(VALU_DEP_1)
	v_cmp_eq_u32_e32 vcc_lo, 1, v8
	s_cbranch_vccnz .LBB124_102
; %bb.101:                              ;   in Loop: Header=BB124_14 Depth=1
	v_add_co_u32 v27, vcc_lo, s36, v25
	v_add_co_ci_u32_e32 v28, vcc_lo, 0, v26, vcc_lo
	s_cbranch_execnz .LBB124_13
	s_branch .LBB124_103
.LBB124_102:                            ;   in Loop: Header=BB124_14 Depth=1
                                        ; implicit-def: $vgpr27_vgpr28
.LBB124_103:                            ;   in Loop: Header=BB124_14 Depth=1
	s_add_i32 s36, s36, 1
	s_add_u32 s14, s14, 1
	v_add_co_u32 v27, vcc_lo, v25, s36
	v_add_co_ci_u32_e32 v28, vcc_lo, 0, v26, vcc_lo
	s_addc_u32 s15, s15, 0
	s_delay_alu instid0(VALU_DEP_2) | instskip(NEXT) | instid1(VALU_DEP_2)
	v_add_co_u32 v8, vcc_lo, v27, -1
	v_add_co_ci_u32_e32 v25, vcc_lo, -1, v28, vcc_lo
	v_dual_mov_b32 v33, s15 :: v_dual_mov_b32 v32, s14
	s_delay_alu instid0(VALU_DEP_3) | instskip(NEXT) | instid1(VALU_DEP_3)
	v_mul_lo_u32 v30, v8, s11
	v_mul_lo_u32 v29, v25, s10
	v_mad_u64_u32 v[25:26], null, v8, s10, 0
	s_delay_alu instid0(VALU_DEP_1) | instskip(SKIP_1) | instid1(VALU_DEP_2)
	v_add3_u32 v26, v26, v30, v29
	v_lshlrev_b64 v[29:30], 3, v[27:28]
	v_lshlrev_b64 v[25:26], 3, v[25:26]
	s_delay_alu instid0(VALU_DEP_2) | instskip(NEXT) | instid1(VALU_DEP_3)
	v_add_co_u32 v34, vcc_lo, s75, v29
	v_add_co_ci_u32_e32 v35, vcc_lo, s76, v30, vcc_lo
	s_delay_alu instid0(VALU_DEP_3) | instskip(NEXT) | instid1(VALU_DEP_4)
	v_add_co_u32 v30, vcc_lo, v54, v25
	v_add_co_ci_u32_e32 v31, vcc_lo, v55, v26, vcc_lo
	v_add_co_u32 v8, vcc_lo, v56, v25
	v_add_co_ci_u32_e32 v29, vcc_lo, v57, v26, vcc_lo
	global_store_b64 v[34:35], v[32:33], off
	s_and_saveexec_b32 s14, s69
	s_cbranch_execnz .LBB124_110
; %bb.104:                              ;   in Loop: Header=BB124_14 Depth=1
	s_or_b32 exec_lo, exec_lo, s14
	s_and_saveexec_b32 s14, s70
	s_cbranch_execnz .LBB124_111
.LBB124_105:                            ;   in Loop: Header=BB124_14 Depth=1
	s_or_b32 exec_lo, exec_lo, s14
	s_and_saveexec_b32 s14, s71
	s_cbranch_execnz .LBB124_112
.LBB124_106:                            ;   in Loop: Header=BB124_14 Depth=1
	s_or_b32 exec_lo, exec_lo, s14
	s_and_saveexec_b32 s14, s72
	s_cbranch_execz .LBB124_12
	s_branch .LBB124_113
.LBB124_107:                            ;   in Loop: Header=BB124_14 Depth=1
	v_lshlrev_b64 v[30:31], 3, v[9:10]
	ds_load_b64 v[32:33], v6
	v_lshlrev_b32_e32 v34, 3, v5
	v_add_co_u32 v30, vcc_lo, v8, v30
	v_add_co_ci_u32_e32 v31, vcc_lo, v27, v31, vcc_lo
	s_delay_alu instid0(VALU_DEP_3) | instskip(SKIP_1) | instid1(VALU_DEP_2)
	v_add_co_u32 v34, vcc_lo, v28, v34
	v_add_co_ci_u32_e32 v35, vcc_lo, 0, v29, vcc_lo
	v_cndmask_b32_e64 v30, v30, v34, s1
	s_delay_alu instid0(VALU_DEP_2)
	v_cndmask_b32_e64 v31, v31, v35, s1
	s_waitcnt lgkmcnt(0)
	global_store_b64 v[30:31], v[32:33], off
	s_or_b32 exec_lo, exec_lo, s36
	s_and_saveexec_b32 s36, s70
	s_cbranch_execz .LBB124_96
.LBB124_108:                            ;   in Loop: Header=BB124_14 Depth=1
	v_lshlrev_b32_e32 v34, 3, v5
	v_lshlrev_b64 v[32:33], 3, v[11:12]
	ds_load_b64 v[30:31], v6 offset:64
	v_add_co_u32 v34, vcc_lo, v28, v34
	v_add_co_ci_u32_e32 v35, vcc_lo, 0, v29, vcc_lo
	v_add_co_u32 v32, vcc_lo, v8, v32
	v_add_co_ci_u32_e32 v33, vcc_lo, v27, v33, vcc_lo
	s_delay_alu instid0(VALU_DEP_4) | instskip(NEXT) | instid1(VALU_DEP_4)
	v_add_co_u32 v34, vcc_lo, v34, 64
	v_add_co_ci_u32_e32 v35, vcc_lo, 0, v35, vcc_lo
	s_delay_alu instid0(VALU_DEP_2) | instskip(NEXT) | instid1(VALU_DEP_2)
	v_cndmask_b32_e64 v32, v32, v34, s1
	v_cndmask_b32_e64 v33, v33, v35, s1
	s_waitcnt lgkmcnt(0)
	global_store_b64 v[32:33], v[30:31], off
	s_or_b32 exec_lo, exec_lo, s36
	s_and_saveexec_b32 s36, s71
	s_cbranch_execz .LBB124_97
.LBB124_109:                            ;   in Loop: Header=BB124_14 Depth=1
	v_lshlrev_b32_e32 v34, 3, v5
	v_lshlrev_b64 v[32:33], 3, v[13:14]
	ds_load_b64 v[30:31], v6 offset:128
	v_add_co_u32 v34, vcc_lo, v28, v34
	v_add_co_ci_u32_e32 v35, vcc_lo, 0, v29, vcc_lo
	v_add_co_u32 v32, vcc_lo, v8, v32
	v_add_co_ci_u32_e32 v33, vcc_lo, v27, v33, vcc_lo
	s_delay_alu instid0(VALU_DEP_4) | instskip(NEXT) | instid1(VALU_DEP_4)
	v_add_co_u32 v34, vcc_lo, 0x80, v34
	v_add_co_ci_u32_e32 v35, vcc_lo, 0, v35, vcc_lo
	s_delay_alu instid0(VALU_DEP_2) | instskip(NEXT) | instid1(VALU_DEP_2)
	v_cndmask_b32_e64 v32, v32, v34, s1
	v_cndmask_b32_e64 v33, v33, v35, s1
	s_waitcnt lgkmcnt(0)
	global_store_b64 v[32:33], v[30:31], off
	s_or_b32 exec_lo, exec_lo, s36
	s_and_saveexec_b32 s36, s72
	s_cbranch_execnz .LBB124_98
	s_branch .LBB124_99
.LBB124_110:                            ;   in Loop: Header=BB124_14 Depth=1
	v_lshlrev_b32_e32 v34, 3, v5
	ds_load_b64 v[25:26], v6 offset:8192
	v_lshlrev_b64 v[32:33], 3, v[9:10]
	v_add_co_u32 v34, vcc_lo, v8, v34
	v_add_co_ci_u32_e32 v35, vcc_lo, 0, v29, vcc_lo
	s_delay_alu instid0(VALU_DEP_3) | instskip(NEXT) | instid1(VALU_DEP_4)
	v_add_co_u32 v32, vcc_lo, v30, v32
	v_add_co_ci_u32_e32 v33, vcc_lo, v31, v33, vcc_lo
	s_delay_alu instid0(VALU_DEP_2) | instskip(NEXT) | instid1(VALU_DEP_2)
	v_cndmask_b32_e64 v32, v32, v34, s1
	v_cndmask_b32_e64 v33, v33, v35, s1
	s_waitcnt lgkmcnt(0)
	global_store_b64 v[32:33], v[25:26], off
	s_or_b32 exec_lo, exec_lo, s14
	s_and_saveexec_b32 s14, s70
	s_cbranch_execz .LBB124_105
.LBB124_111:                            ;   in Loop: Header=BB124_14 Depth=1
	v_lshlrev_b32_e32 v34, 3, v5
	v_lshlrev_b64 v[32:33], 3, v[11:12]
	ds_load_b64 v[25:26], v58 offset:8192
	v_add_co_u32 v34, vcc_lo, v8, v34
	v_add_co_ci_u32_e32 v35, vcc_lo, 0, v29, vcc_lo
	v_add_co_u32 v32, vcc_lo, v30, v32
	v_add_co_ci_u32_e32 v33, vcc_lo, v31, v33, vcc_lo
	s_delay_alu instid0(VALU_DEP_4) | instskip(NEXT) | instid1(VALU_DEP_4)
	v_add_co_u32 v34, vcc_lo, v34, 64
	v_add_co_ci_u32_e32 v35, vcc_lo, 0, v35, vcc_lo
	s_delay_alu instid0(VALU_DEP_2) | instskip(NEXT) | instid1(VALU_DEP_2)
	v_cndmask_b32_e64 v32, v32, v34, s1
	v_cndmask_b32_e64 v33, v33, v35, s1
	s_waitcnt lgkmcnt(0)
	global_store_b64 v[32:33], v[25:26], off
	s_or_b32 exec_lo, exec_lo, s14
	s_and_saveexec_b32 s14, s71
	s_cbranch_execz .LBB124_106
.LBB124_112:                            ;   in Loop: Header=BB124_14 Depth=1
	v_lshlrev_b32_e32 v34, 3, v5
	v_lshlrev_b64 v[32:33], 3, v[13:14]
	ds_load_b64 v[25:26], v59 offset:8192
	v_add_co_u32 v34, vcc_lo, v8, v34
	v_add_co_ci_u32_e32 v35, vcc_lo, 0, v29, vcc_lo
	v_add_co_u32 v32, vcc_lo, v30, v32
	v_add_co_ci_u32_e32 v33, vcc_lo, v31, v33, vcc_lo
	s_delay_alu instid0(VALU_DEP_4) | instskip(NEXT) | instid1(VALU_DEP_4)
	v_add_co_u32 v34, vcc_lo, 0x80, v34
	v_add_co_ci_u32_e32 v35, vcc_lo, 0, v35, vcc_lo
	s_delay_alu instid0(VALU_DEP_2) | instskip(NEXT) | instid1(VALU_DEP_2)
	v_cndmask_b32_e64 v32, v32, v34, s1
	v_cndmask_b32_e64 v33, v33, v35, s1
	s_waitcnt lgkmcnt(0)
	global_store_b64 v[32:33], v[25:26], off
	s_or_b32 exec_lo, exec_lo, s14
	s_and_saveexec_b32 s14, s72
	s_cbranch_execz .LBB124_12
.LBB124_113:                            ;   in Loop: Header=BB124_14 Depth=1
	ds_load_b64 v[25:26], v60 offset:8192
	s_and_not1_b32 vcc_lo, exec_lo, s68
	s_cbranch_vccnz .LBB124_115
; %bb.114:                              ;   in Loop: Header=BB124_14 Depth=1
	v_lshlrev_b64 v[32:33], 3, v[15:16]
	s_delay_alu instid0(VALU_DEP_1) | instskip(NEXT) | instid1(VALU_DEP_2)
	v_add_co_u32 v30, vcc_lo, v30, v32
	v_add_co_ci_u32_e32 v31, vcc_lo, v31, v33, vcc_lo
	s_waitcnt lgkmcnt(0)
	global_store_b64 v[30:31], v[25:26], off
	s_cbranch_execnz .LBB124_12
	s_branch .LBB124_116
.LBB124_115:                            ;   in Loop: Header=BB124_14 Depth=1
.LBB124_116:                            ;   in Loop: Header=BB124_14 Depth=1
	v_lshlrev_b32_e32 v30, 3, v5
	s_delay_alu instid0(VALU_DEP_1)
	v_add_co_u32 v30, vcc_lo, v8, v30
	v_add_co_ci_u32_e32 v31, vcc_lo, 0, v29, vcc_lo
	s_waitcnt lgkmcnt(0)
	global_store_b64 v[30:31], v[25:26], off offset:192
	s_branch .LBB124_12
.LBB124_117:
	s_endpgm
	.section	.rodata,"a",@progbits
	.p2align	6, 0x0
	.amdhsa_kernel _ZN9rocsparseL31bsrgemm_block_per_row_multipassILj256ELj2ELj32ElldEEv20rocsparse_direction_T3_S2_PKS2_S4_NS_24const_host_device_scalarIT4_EEPKT2_S4_PKS6_SA_S4_SC_S7_SA_S4_SC_SA_PS2_PS6_PS8_21rocsparse_index_base_SG_SG_SG_bbb
		.amdhsa_group_segment_fixed_size 16392
		.amdhsa_private_segment_fixed_size 0
		.amdhsa_kernarg_size 180
		.amdhsa_user_sgpr_count 15
		.amdhsa_user_sgpr_dispatch_ptr 0
		.amdhsa_user_sgpr_queue_ptr 0
		.amdhsa_user_sgpr_kernarg_segment_ptr 1
		.amdhsa_user_sgpr_dispatch_id 0
		.amdhsa_user_sgpr_private_segment_size 0
		.amdhsa_wavefront_size32 1
		.amdhsa_uses_dynamic_stack 0
		.amdhsa_enable_private_segment 0
		.amdhsa_system_sgpr_workgroup_id_x 1
		.amdhsa_system_sgpr_workgroup_id_y 0
		.amdhsa_system_sgpr_workgroup_id_z 0
		.amdhsa_system_sgpr_workgroup_info 0
		.amdhsa_system_vgpr_workitem_id 0
		.amdhsa_next_free_vgpr 78
		.amdhsa_next_free_sgpr 83
		.amdhsa_reserve_vcc 1
		.amdhsa_float_round_mode_32 0
		.amdhsa_float_round_mode_16_64 0
		.amdhsa_float_denorm_mode_32 3
		.amdhsa_float_denorm_mode_16_64 3
		.amdhsa_dx10_clamp 1
		.amdhsa_ieee_mode 1
		.amdhsa_fp16_overflow 0
		.amdhsa_workgroup_processor_mode 1
		.amdhsa_memory_ordered 1
		.amdhsa_forward_progress 0
		.amdhsa_shared_vgpr_count 0
		.amdhsa_exception_fp_ieee_invalid_op 0
		.amdhsa_exception_fp_denorm_src 0
		.amdhsa_exception_fp_ieee_div_zero 0
		.amdhsa_exception_fp_ieee_overflow 0
		.amdhsa_exception_fp_ieee_underflow 0
		.amdhsa_exception_fp_ieee_inexact 0
		.amdhsa_exception_int_div_zero 0
	.end_amdhsa_kernel
	.section	.text._ZN9rocsparseL31bsrgemm_block_per_row_multipassILj256ELj2ELj32ElldEEv20rocsparse_direction_T3_S2_PKS2_S4_NS_24const_host_device_scalarIT4_EEPKT2_S4_PKS6_SA_S4_SC_S7_SA_S4_SC_SA_PS2_PS6_PS8_21rocsparse_index_base_SG_SG_SG_bbb,"axG",@progbits,_ZN9rocsparseL31bsrgemm_block_per_row_multipassILj256ELj2ELj32ElldEEv20rocsparse_direction_T3_S2_PKS2_S4_NS_24const_host_device_scalarIT4_EEPKT2_S4_PKS6_SA_S4_SC_S7_SA_S4_SC_SA_PS2_PS6_PS8_21rocsparse_index_base_SG_SG_SG_bbb,comdat
.Lfunc_end124:
	.size	_ZN9rocsparseL31bsrgemm_block_per_row_multipassILj256ELj2ELj32ElldEEv20rocsparse_direction_T3_S2_PKS2_S4_NS_24const_host_device_scalarIT4_EEPKT2_S4_PKS6_SA_S4_SC_S7_SA_S4_SC_SA_PS2_PS6_PS8_21rocsparse_index_base_SG_SG_SG_bbb, .Lfunc_end124-_ZN9rocsparseL31bsrgemm_block_per_row_multipassILj256ELj2ELj32ElldEEv20rocsparse_direction_T3_S2_PKS2_S4_NS_24const_host_device_scalarIT4_EEPKT2_S4_PKS6_SA_S4_SC_S7_SA_S4_SC_SA_PS2_PS6_PS8_21rocsparse_index_base_SG_SG_SG_bbb
                                        ; -- End function
	.section	.AMDGPU.csdata,"",@progbits
; Kernel info:
; codeLenInByte = 5948
; NumSgprs: 85
; NumVgprs: 78
; ScratchSize: 0
; MemoryBound: 1
; FloatMode: 240
; IeeeMode: 1
; LDSByteSize: 16392 bytes/workgroup (compile time only)
; SGPRBlocks: 10
; VGPRBlocks: 9
; NumSGPRsForWavesPerEU: 85
; NumVGPRsForWavesPerEU: 78
; Occupancy: 14
; WaveLimiterHint : 1
; COMPUTE_PGM_RSRC2:SCRATCH_EN: 0
; COMPUTE_PGM_RSRC2:USER_SGPR: 15
; COMPUTE_PGM_RSRC2:TRAP_HANDLER: 0
; COMPUTE_PGM_RSRC2:TGID_X_EN: 1
; COMPUTE_PGM_RSRC2:TGID_Y_EN: 0
; COMPUTE_PGM_RSRC2:TGID_Z_EN: 0
; COMPUTE_PGM_RSRC2:TIDIG_COMP_CNT: 0
	.section	.text._ZN9rocsparseL26bsrgemm_group_reduce_part2ILj256ELj8ELj2E21rocsparse_complex_numIfEllEEvT4_PKT3_PS3_Pi,"axG",@progbits,_ZN9rocsparseL26bsrgemm_group_reduce_part2ILj256ELj8ELj2E21rocsparse_complex_numIfEllEEvT4_PKT3_PS3_Pi,comdat
	.globl	_ZN9rocsparseL26bsrgemm_group_reduce_part2ILj256ELj8ELj2E21rocsparse_complex_numIfEllEEvT4_PKT3_PS3_Pi ; -- Begin function _ZN9rocsparseL26bsrgemm_group_reduce_part2ILj256ELj8ELj2E21rocsparse_complex_numIfEllEEvT4_PKT3_PS3_Pi
	.p2align	8
	.type	_ZN9rocsparseL26bsrgemm_group_reduce_part2ILj256ELj8ELj2E21rocsparse_complex_numIfEllEEvT4_PKT3_PS3_Pi,@function
_ZN9rocsparseL26bsrgemm_group_reduce_part2ILj256ELj8ELj2E21rocsparse_complex_numIfEllEEvT4_PKT3_PS3_Pi: ; @_ZN9rocsparseL26bsrgemm_group_reduce_part2ILj256ELj8ELj2E21rocsparse_complex_numIfEllEEvT4_PKT3_PS3_Pi
; %bb.0:
	s_clause 0x1
	s_load_b64 s[8:9], s[0:1], 0x0
	s_load_b64 s[2:3], s[0:1], 0x10
	s_mov_b32 s5, 0
	v_lshl_or_b32 v1, s15, 8, v0
	s_mov_b32 s4, s5
	s_mov_b32 s6, s5
	;; [unrolled: 1-line block ×3, first 2 shown]
	v_dual_mov_b32 v3, s4 :: v_dual_mov_b32 v4, s5
	v_dual_mov_b32 v2, 0 :: v_dual_lshlrev_b32 v11, 6, v0
	v_dual_mov_b32 v5, s6 :: v_dual_mov_b32 v6, s7
	s_mov_b32 s12, exec_lo
	ds_store_b128 v11, v[3:6]
	ds_store_b128 v11, v[3:6] offset:16
	ds_store_b128 v11, v[3:6] offset:32
	;; [unrolled: 1-line block ×3, first 2 shown]
	s_waitcnt lgkmcnt(0)
	buffer_gl0_inv
	v_cmpx_gt_i64_e64 s[8:9], v[1:2]
	s_cbranch_execz .LBB125_31
; %bb.1:
	s_clause 0x2
	s_load_b32 s4, s[0:1], 0x20
	s_load_b64 s[6:7], s[0:1], 0x18
	s_load_b64 s[0:1], s[0:1], 0x8
	v_lshlrev_b64 v[3:4], 2, v[1:2]
	v_lshlrev_b64 v[5:6], 3, v[1:2]
	v_mov_b32_e32 v8, v2
	v_dual_mov_b32 v12, 7 :: v_dual_mov_b32 v13, 6
	v_dual_mov_b32 v14, 5 :: v_dual_mov_b32 v15, 4
	;; [unrolled: 1-line block ×4, first 2 shown]
	s_waitcnt lgkmcnt(0)
	s_lshl_b32 s4, s4, 8
	v_add_co_u32 v3, vcc_lo, s6, v3
	v_add_co_ci_u32_e32 v4, vcc_lo, s7, v4, vcc_lo
	v_add_co_u32 v5, vcc_lo, s0, v5
	v_add_co_ci_u32_e32 v6, vcc_lo, s1, v6, vcc_lo
	s_lshl_b64 s[6:7], s[4:5], 2
	s_lshl_b64 s[10:11], s[4:5], 3
	s_branch .LBB125_3
.LBB125_2:                              ;   in Loop: Header=BB125_3 Depth=1
	s_or_b32 exec_lo, exec_lo, s0
	v_add_co_u32 v7, vcc_lo, v7, s4
	v_add_co_ci_u32_e32 v8, vcc_lo, 0, v8, vcc_lo
	v_add_co_u32 v3, vcc_lo, v3, s6
	v_add_co_ci_u32_e32 v4, vcc_lo, s7, v4, vcc_lo
	s_delay_alu instid0(VALU_DEP_3) | instskip(SKIP_1) | instid1(VALU_DEP_1)
	v_cmp_le_i64_e32 vcc_lo, s[8:9], v[7:8]
	v_add_co_u32 v5, s0, v5, s10
	v_add_co_ci_u32_e64 v6, s0, s11, v6, s0
	s_or_b32 s5, vcc_lo, s5
	s_delay_alu instid0(SALU_CYCLE_1)
	s_and_not1_b32 exec_lo, exec_lo, s5
	s_cbranch_execz .LBB125_31
.LBB125_3:                              ; =>This Inner Loop Header: Depth=1
	global_load_b128 v[19:22], v[5:6], off
	s_mov_b32 s0, exec_lo
	s_waitcnt vmcnt(0)
	v_sub_co_u32 v9, vcc_lo, v21, v19
	v_sub_co_ci_u32_e32 v10, vcc_lo, v22, v20, vcc_lo
	s_delay_alu instid0(VALU_DEP_1)
	v_cmpx_lt_i64_e32 8, v[9:10]
	s_xor_b32 s0, exec_lo, s0
	s_cbranch_execz .LBB125_29
; %bb.4:                                ;   in Loop: Header=BB125_3 Depth=1
	s_mov_b32 s1, exec_lo
	v_cmpx_lt_u64_e32 16, v[9:10]
	s_xor_b32 s1, exec_lo, s1
	s_cbranch_execz .LBB125_26
; %bb.5:                                ;   in Loop: Header=BB125_3 Depth=1
	s_mov_b32 s13, exec_lo
	v_cmpx_lt_u64_e32 32, v[9:10]
	;; [unrolled: 5-line block ×6, first 2 shown]
	s_xor_b32 s18, exec_lo, s18
	s_cbranch_execz .LBB125_11
; %bb.10:                               ;   in Loop: Header=BB125_3 Depth=1
	ds_load_b64 v[9:10], v11 offset:56
	global_store_b32 v[3:4], v12, off
	s_waitcnt lgkmcnt(0)
	v_add_co_u32 v9, vcc_lo, v9, 1
	v_add_co_ci_u32_e32 v10, vcc_lo, 0, v10, vcc_lo
	ds_store_b64 v11, v[9:10] offset:56
.LBB125_11:                             ;   in Loop: Header=BB125_3 Depth=1
	s_and_not1_saveexec_b32 s18, s18
	s_cbranch_execz .LBB125_13
; %bb.12:                               ;   in Loop: Header=BB125_3 Depth=1
	ds_load_b64 v[9:10], v11 offset:48
	global_store_b32 v[3:4], v13, off
	s_waitcnt lgkmcnt(0)
	v_add_co_u32 v9, vcc_lo, v9, 1
	v_add_co_ci_u32_e32 v10, vcc_lo, 0, v10, vcc_lo
	ds_store_b64 v11, v[9:10] offset:48
.LBB125_13:                             ;   in Loop: Header=BB125_3 Depth=1
	s_or_b32 exec_lo, exec_lo, s18
.LBB125_14:                             ;   in Loop: Header=BB125_3 Depth=1
	s_and_not1_saveexec_b32 s17, s17
	s_cbranch_execz .LBB125_16
; %bb.15:                               ;   in Loop: Header=BB125_3 Depth=1
	ds_load_b64 v[9:10], v11 offset:40
	global_store_b32 v[3:4], v14, off
	s_waitcnt lgkmcnt(0)
	v_add_co_u32 v9, vcc_lo, v9, 1
	v_add_co_ci_u32_e32 v10, vcc_lo, 0, v10, vcc_lo
	ds_store_b64 v11, v[9:10] offset:40
.LBB125_16:                             ;   in Loop: Header=BB125_3 Depth=1
	s_or_b32 exec_lo, exec_lo, s17
.LBB125_17:                             ;   in Loop: Header=BB125_3 Depth=1
	s_and_not1_saveexec_b32 s16, s16
	s_cbranch_execz .LBB125_19
; %bb.18:                               ;   in Loop: Header=BB125_3 Depth=1
	ds_load_b64 v[9:10], v11 offset:32
	global_store_b32 v[3:4], v15, off
	s_waitcnt lgkmcnt(0)
	v_add_co_u32 v9, vcc_lo, v9, 1
	v_add_co_ci_u32_e32 v10, vcc_lo, 0, v10, vcc_lo
	ds_store_b64 v11, v[9:10] offset:32
.LBB125_19:                             ;   in Loop: Header=BB125_3 Depth=1
	s_or_b32 exec_lo, exec_lo, s16
.LBB125_20:                             ;   in Loop: Header=BB125_3 Depth=1
	s_and_not1_saveexec_b32 s14, s14
	s_cbranch_execz .LBB125_22
; %bb.21:                               ;   in Loop: Header=BB125_3 Depth=1
	ds_load_b64 v[9:10], v11 offset:24
	global_store_b32 v[3:4], v16, off
	s_waitcnt lgkmcnt(0)
	v_add_co_u32 v9, vcc_lo, v9, 1
	v_add_co_ci_u32_e32 v10, vcc_lo, 0, v10, vcc_lo
	ds_store_b64 v11, v[9:10] offset:24
.LBB125_22:                             ;   in Loop: Header=BB125_3 Depth=1
	s_or_b32 exec_lo, exec_lo, s14
.LBB125_23:                             ;   in Loop: Header=BB125_3 Depth=1
	s_and_not1_saveexec_b32 s13, s13
	s_cbranch_execz .LBB125_25
; %bb.24:                               ;   in Loop: Header=BB125_3 Depth=1
	ds_load_b64 v[9:10], v11 offset:16
	global_store_b32 v[3:4], v17, off
	s_waitcnt lgkmcnt(0)
	v_add_co_u32 v9, vcc_lo, v9, 1
	v_add_co_ci_u32_e32 v10, vcc_lo, 0, v10, vcc_lo
	ds_store_b64 v11, v[9:10] offset:16
.LBB125_25:                             ;   in Loop: Header=BB125_3 Depth=1
	s_or_b32 exec_lo, exec_lo, s13
.LBB125_26:                             ;   in Loop: Header=BB125_3 Depth=1
	s_and_not1_saveexec_b32 s1, s1
	s_cbranch_execz .LBB125_28
; %bb.27:                               ;   in Loop: Header=BB125_3 Depth=1
	ds_load_b64 v[9:10], v11 offset:8
	global_store_b32 v[3:4], v18, off
	s_waitcnt lgkmcnt(0)
	v_add_co_u32 v9, vcc_lo, v9, 1
	v_add_co_ci_u32_e32 v10, vcc_lo, 0, v10, vcc_lo
	ds_store_b64 v11, v[9:10] offset:8
.LBB125_28:                             ;   in Loop: Header=BB125_3 Depth=1
	s_or_b32 exec_lo, exec_lo, s1
.LBB125_29:                             ;   in Loop: Header=BB125_3 Depth=1
	s_and_not1_saveexec_b32 s0, s0
	s_cbranch_execz .LBB125_2
; %bb.30:                               ;   in Loop: Header=BB125_3 Depth=1
	ds_load_b64 v[9:10], v11
	global_store_b32 v[3:4], v2, off
	s_waitcnt lgkmcnt(0)
	v_add_co_u32 v9, vcc_lo, v9, 1
	v_add_co_ci_u32_e32 v10, vcc_lo, 0, v10, vcc_lo
	ds_store_b64 v11, v[9:10]
	s_branch .LBB125_2
.LBB125_31:
	s_or_b32 exec_lo, exec_lo, s12
	s_delay_alu instid0(SALU_CYCLE_1)
	s_mov_b32 s0, exec_lo
	s_waitcnt lgkmcnt(0)
	s_waitcnt_vscnt null, 0x0
	s_barrier
	buffer_gl0_inv
	s_barrier
	buffer_gl0_inv
	;; [unrolled: 2-line block ×3, first 2 shown]
	v_cmpx_gt_u32_e32 0x80, v0
	s_cbranch_execz .LBB125_33
; %bb.32:
	ds_load_b128 v[1:4], v11 offset:8192
	ds_load_b128 v[5:8], v11
	ds_load_b128 v[12:15], v11 offset:16
	ds_load_b128 v[16:19], v11 offset:8208
	ds_load_b128 v[20:23], v11 offset:8224
	ds_load_b128 v[24:27], v11 offset:32
	ds_load_b128 v[28:31], v11 offset:48
	ds_load_b128 v[32:35], v11 offset:8240
	s_waitcnt lgkmcnt(6)
	v_add_co_u32 v1, vcc_lo, v5, v1
	v_add_co_ci_u32_e32 v2, vcc_lo, v6, v2, vcc_lo
	v_add_co_u32 v3, vcc_lo, v7, v3
	v_add_co_ci_u32_e32 v4, vcc_lo, v8, v4, vcc_lo
	s_waitcnt lgkmcnt(4)
	v_add_co_u32 v5, vcc_lo, v12, v16
	v_add_co_ci_u32_e32 v6, vcc_lo, v13, v17, vcc_lo
	v_add_co_u32 v7, vcc_lo, v14, v18
	v_add_co_ci_u32_e32 v8, vcc_lo, v15, v19, vcc_lo
	s_waitcnt lgkmcnt(2)
	v_add_co_u32 v12, vcc_lo, v24, v20
	v_add_co_ci_u32_e32 v13, vcc_lo, v25, v21, vcc_lo
	v_add_co_u32 v14, vcc_lo, v26, v22
	v_add_co_ci_u32_e32 v15, vcc_lo, v27, v23, vcc_lo
	s_waitcnt lgkmcnt(0)
	v_add_co_u32 v16, vcc_lo, v28, v32
	v_add_co_ci_u32_e32 v17, vcc_lo, v29, v33, vcc_lo
	v_add_co_u32 v18, vcc_lo, v30, v34
	v_add_co_ci_u32_e32 v19, vcc_lo, v31, v35, vcc_lo
	ds_store_b128 v11, v[1:4]
	ds_store_b128 v11, v[5:8] offset:16
	ds_store_b128 v11, v[12:15] offset:32
	ds_store_b128 v11, v[16:19] offset:48
.LBB125_33:
	s_or_b32 exec_lo, exec_lo, s0
	s_delay_alu instid0(SALU_CYCLE_1)
	s_mov_b32 s0, exec_lo
	s_waitcnt lgkmcnt(0)
	s_barrier
	buffer_gl0_inv
	v_cmpx_gt_u32_e32 64, v0
	s_cbranch_execz .LBB125_35
; %bb.34:
	ds_load_b128 v[1:4], v11 offset:4096
	ds_load_b128 v[5:8], v11
	ds_load_b128 v[12:15], v11 offset:16
	ds_load_b128 v[16:19], v11 offset:4112
	ds_load_b128 v[20:23], v11 offset:4128
	ds_load_b128 v[24:27], v11 offset:32
	ds_load_b128 v[28:31], v11 offset:48
	ds_load_b128 v[32:35], v11 offset:4144
	s_waitcnt lgkmcnt(6)
	v_add_co_u32 v1, vcc_lo, v5, v1
	v_add_co_ci_u32_e32 v2, vcc_lo, v6, v2, vcc_lo
	v_add_co_u32 v3, vcc_lo, v7, v3
	v_add_co_ci_u32_e32 v4, vcc_lo, v8, v4, vcc_lo
	s_waitcnt lgkmcnt(4)
	v_add_co_u32 v5, vcc_lo, v12, v16
	v_add_co_ci_u32_e32 v6, vcc_lo, v13, v17, vcc_lo
	v_add_co_u32 v7, vcc_lo, v14, v18
	v_add_co_ci_u32_e32 v8, vcc_lo, v15, v19, vcc_lo
	s_waitcnt lgkmcnt(2)
	v_add_co_u32 v12, vcc_lo, v24, v20
	v_add_co_ci_u32_e32 v13, vcc_lo, v25, v21, vcc_lo
	v_add_co_u32 v14, vcc_lo, v26, v22
	v_add_co_ci_u32_e32 v15, vcc_lo, v27, v23, vcc_lo
	s_waitcnt lgkmcnt(0)
	v_add_co_u32 v16, vcc_lo, v28, v32
	v_add_co_ci_u32_e32 v17, vcc_lo, v29, v33, vcc_lo
	v_add_co_u32 v18, vcc_lo, v30, v34
	v_add_co_ci_u32_e32 v19, vcc_lo, v31, v35, vcc_lo
	ds_store_b128 v11, v[1:4]
	ds_store_b128 v11, v[5:8] offset:16
	ds_store_b128 v11, v[12:15] offset:32
	ds_store_b128 v11, v[16:19] offset:48
.LBB125_35:
	s_or_b32 exec_lo, exec_lo, s0
	s_delay_alu instid0(SALU_CYCLE_1)
	s_mov_b32 s0, exec_lo
	s_waitcnt lgkmcnt(0)
	s_barrier
	buffer_gl0_inv
	;; [unrolled: 42-line block ×3, first 2 shown]
	v_cmpx_gt_u32_e32 16, v0
	s_cbranch_execz .LBB125_39
; %bb.38:
	ds_load_b128 v[1:4], v11 offset:1024
	ds_load_b128 v[5:8], v11
	ds_load_b128 v[12:15], v11 offset:16
	ds_load_b128 v[16:19], v11 offset:1040
	;; [unrolled: 1-line block ×6, first 2 shown]
	s_waitcnt lgkmcnt(6)
	v_add_co_u32 v1, vcc_lo, v5, v1
	v_add_co_ci_u32_e32 v2, vcc_lo, v6, v2, vcc_lo
	v_add_co_u32 v3, vcc_lo, v7, v3
	v_add_co_ci_u32_e32 v4, vcc_lo, v8, v4, vcc_lo
	s_waitcnt lgkmcnt(4)
	v_add_co_u32 v5, vcc_lo, v12, v16
	v_add_co_ci_u32_e32 v6, vcc_lo, v13, v17, vcc_lo
	v_add_co_u32 v7, vcc_lo, v14, v18
	v_add_co_ci_u32_e32 v8, vcc_lo, v15, v19, vcc_lo
	;; [unrolled: 5-line block ×4, first 2 shown]
	ds_store_b128 v11, v[1:4]
	ds_store_b128 v11, v[5:8] offset:16
	ds_store_b128 v11, v[12:15] offset:32
	;; [unrolled: 1-line block ×3, first 2 shown]
.LBB125_39:
	s_or_b32 exec_lo, exec_lo, s0
	v_cmp_gt_u32_e32 vcc_lo, 8, v0
	s_waitcnt lgkmcnt(0)
	s_barrier
	buffer_gl0_inv
	s_and_saveexec_b32 s1, vcc_lo
	s_cbranch_execz .LBB125_41
; %bb.40:
	ds_load_b128 v[1:4], v11 offset:512
	ds_load_b128 v[5:8], v11
	ds_load_b128 v[12:15], v11 offset:16
	ds_load_b128 v[16:19], v11 offset:528
	;; [unrolled: 1-line block ×6, first 2 shown]
	s_waitcnt lgkmcnt(6)
	v_add_co_u32 v1, s0, v5, v1
	s_delay_alu instid0(VALU_DEP_1) | instskip(SKIP_1) | instid1(VALU_DEP_1)
	v_add_co_ci_u32_e64 v2, s0, v6, v2, s0
	v_add_co_u32 v3, s0, v7, v3
	v_add_co_ci_u32_e64 v4, s0, v8, v4, s0
	s_waitcnt lgkmcnt(4)
	v_add_co_u32 v5, s0, v12, v16
	s_delay_alu instid0(VALU_DEP_1) | instskip(SKIP_1) | instid1(VALU_DEP_1)
	v_add_co_ci_u32_e64 v6, s0, v13, v17, s0
	v_add_co_u32 v7, s0, v14, v18
	v_add_co_ci_u32_e64 v8, s0, v15, v19, s0
	s_waitcnt lgkmcnt(2)
	v_add_co_u32 v12, s0, v24, v20
	s_delay_alu instid0(VALU_DEP_1) | instskip(SKIP_1) | instid1(VALU_DEP_1)
	v_add_co_ci_u32_e64 v13, s0, v25, v21, s0
	v_add_co_u32 v14, s0, v26, v22
	v_add_co_ci_u32_e64 v15, s0, v27, v23, s0
	s_waitcnt lgkmcnt(0)
	v_add_co_u32 v16, s0, v28, v32
	s_delay_alu instid0(VALU_DEP_1) | instskip(SKIP_1) | instid1(VALU_DEP_1)
	v_add_co_ci_u32_e64 v17, s0, v29, v33, s0
	v_add_co_u32 v18, s0, v30, v34
	v_add_co_ci_u32_e64 v19, s0, v31, v35, s0
	ds_store_b128 v11, v[1:4]
	ds_store_b128 v11, v[5:8] offset:16
	ds_store_b128 v11, v[12:15] offset:32
	ds_store_b128 v11, v[16:19] offset:48
.LBB125_41:
	s_or_b32 exec_lo, exec_lo, s1
	s_delay_alu instid0(SALU_CYCLE_1)
	s_mov_b32 s1, exec_lo
	s_waitcnt lgkmcnt(0)
	s_barrier
	buffer_gl0_inv
	v_cmpx_gt_u32_e32 4, v0
	s_cbranch_execz .LBB125_43
; %bb.42:
	ds_load_b128 v[1:4], v11 offset:256
	ds_load_b128 v[5:8], v11
	ds_load_b128 v[12:15], v11 offset:16
	ds_load_b128 v[16:19], v11 offset:272
	;; [unrolled: 1-line block ×6, first 2 shown]
	s_waitcnt lgkmcnt(6)
	v_add_co_u32 v1, s0, v5, v1
	s_delay_alu instid0(VALU_DEP_1) | instskip(SKIP_1) | instid1(VALU_DEP_1)
	v_add_co_ci_u32_e64 v2, s0, v6, v2, s0
	v_add_co_u32 v3, s0, v7, v3
	v_add_co_ci_u32_e64 v4, s0, v8, v4, s0
	s_waitcnt lgkmcnt(4)
	v_add_co_u32 v5, s0, v12, v16
	s_delay_alu instid0(VALU_DEP_1) | instskip(SKIP_1) | instid1(VALU_DEP_1)
	v_add_co_ci_u32_e64 v6, s0, v13, v17, s0
	v_add_co_u32 v7, s0, v14, v18
	v_add_co_ci_u32_e64 v8, s0, v15, v19, s0
	;; [unrolled: 6-line block ×4, first 2 shown]
	ds_store_b128 v11, v[1:4]
	ds_store_b128 v11, v[5:8] offset:16
	ds_store_b128 v11, v[12:15] offset:32
	;; [unrolled: 1-line block ×3, first 2 shown]
.LBB125_43:
	s_or_b32 exec_lo, exec_lo, s1
	s_delay_alu instid0(SALU_CYCLE_1)
	s_mov_b32 s1, exec_lo
	s_waitcnt lgkmcnt(0)
	s_barrier
	buffer_gl0_inv
	v_cmpx_gt_u32_e32 2, v0
	s_cbranch_execz .LBB125_45
; %bb.44:
	ds_load_b128 v[1:4], v11 offset:128
	ds_load_b128 v[5:8], v11
	ds_load_b128 v[12:15], v11 offset:16
	ds_load_b128 v[16:19], v11 offset:144
	;; [unrolled: 1-line block ×6, first 2 shown]
	s_waitcnt lgkmcnt(6)
	v_add_co_u32 v1, s0, v5, v1
	s_delay_alu instid0(VALU_DEP_1) | instskip(SKIP_1) | instid1(VALU_DEP_1)
	v_add_co_ci_u32_e64 v2, s0, v6, v2, s0
	v_add_co_u32 v3, s0, v7, v3
	v_add_co_ci_u32_e64 v4, s0, v8, v4, s0
	s_waitcnt lgkmcnt(4)
	v_add_co_u32 v5, s0, v12, v16
	s_delay_alu instid0(VALU_DEP_1) | instskip(SKIP_1) | instid1(VALU_DEP_1)
	v_add_co_ci_u32_e64 v6, s0, v13, v17, s0
	v_add_co_u32 v7, s0, v14, v18
	v_add_co_ci_u32_e64 v8, s0, v15, v19, s0
	;; [unrolled: 6-line block ×4, first 2 shown]
	ds_store_b128 v11, v[1:4]
	ds_store_b128 v11, v[5:8] offset:16
	ds_store_b128 v11, v[12:15] offset:32
	;; [unrolled: 1-line block ×3, first 2 shown]
.LBB125_45:
	s_or_b32 exec_lo, exec_lo, s1
	s_delay_alu instid0(SALU_CYCLE_1)
	s_mov_b32 s1, exec_lo
	s_waitcnt lgkmcnt(0)
	s_barrier
	buffer_gl0_inv
	v_cmpx_eq_u32_e32 0, v0
	s_cbranch_execz .LBB125_47
; %bb.46:
	v_mov_b32_e32 v33, 0
	ds_load_b128 v[1:4], v33 offset:64
	ds_load_b128 v[5:8], v33
	ds_load_b128 v[9:12], v33 offset:16
	ds_load_b128 v[13:16], v33 offset:80
	;; [unrolled: 1-line block ×6, first 2 shown]
	s_waitcnt lgkmcnt(6)
	v_add_co_u32 v1, s0, v5, v1
	s_delay_alu instid0(VALU_DEP_1) | instskip(SKIP_1) | instid1(VALU_DEP_1)
	v_add_co_ci_u32_e64 v2, s0, v6, v2, s0
	v_add_co_u32 v3, s0, v7, v3
	v_add_co_ci_u32_e64 v4, s0, v8, v4, s0
	s_waitcnt lgkmcnt(4)
	v_add_co_u32 v5, s0, v9, v13
	s_delay_alu instid0(VALU_DEP_1) | instskip(SKIP_1) | instid1(VALU_DEP_1)
	v_add_co_ci_u32_e64 v6, s0, v10, v14, s0
	v_add_co_u32 v7, s0, v11, v15
	v_add_co_ci_u32_e64 v8, s0, v12, v16, s0
	;; [unrolled: 6-line block ×4, first 2 shown]
	ds_store_b128 v33, v[1:4]
	ds_store_b128 v33, v[5:8] offset:16
	ds_store_b128 v33, v[9:12] offset:32
	ds_store_b128 v33, v[13:16] offset:48
.LBB125_47:
	s_or_b32 exec_lo, exec_lo, s1
	s_waitcnt lgkmcnt(0)
	s_barrier
	buffer_gl0_inv
	s_and_saveexec_b32 s0, vcc_lo
	s_cbranch_execz .LBB125_49
; %bb.48:
	v_dual_mov_b32 v4, 0 :: v_dual_lshlrev_b32 v1, 3, v0
	v_lshl_or_b32 v3, s15, 3, v0
	ds_load_b64 v[1:2], v1
	v_lshlrev_b64 v[3:4], 3, v[3:4]
	s_delay_alu instid0(VALU_DEP_1) | instskip(NEXT) | instid1(VALU_DEP_2)
	v_add_co_u32 v3, vcc_lo, s2, v3
	v_add_co_ci_u32_e32 v4, vcc_lo, s3, v4, vcc_lo
	s_waitcnt lgkmcnt(0)
	global_store_b64 v[3:4], v[1:2], off
.LBB125_49:
	s_nop 0
	s_sendmsg sendmsg(MSG_DEALLOC_VGPRS)
	s_endpgm
	.section	.rodata,"a",@progbits
	.p2align	6, 0x0
	.amdhsa_kernel _ZN9rocsparseL26bsrgemm_group_reduce_part2ILj256ELj8ELj2E21rocsparse_complex_numIfEllEEvT4_PKT3_PS3_Pi
		.amdhsa_group_segment_fixed_size 16384
		.amdhsa_private_segment_fixed_size 0
		.amdhsa_kernarg_size 288
		.amdhsa_user_sgpr_count 15
		.amdhsa_user_sgpr_dispatch_ptr 0
		.amdhsa_user_sgpr_queue_ptr 0
		.amdhsa_user_sgpr_kernarg_segment_ptr 1
		.amdhsa_user_sgpr_dispatch_id 0
		.amdhsa_user_sgpr_private_segment_size 0
		.amdhsa_wavefront_size32 1
		.amdhsa_uses_dynamic_stack 0
		.amdhsa_enable_private_segment 0
		.amdhsa_system_sgpr_workgroup_id_x 1
		.amdhsa_system_sgpr_workgroup_id_y 0
		.amdhsa_system_sgpr_workgroup_id_z 0
		.amdhsa_system_sgpr_workgroup_info 0
		.amdhsa_system_vgpr_workitem_id 0
		.amdhsa_next_free_vgpr 36
		.amdhsa_next_free_sgpr 19
		.amdhsa_reserve_vcc 1
		.amdhsa_float_round_mode_32 0
		.amdhsa_float_round_mode_16_64 0
		.amdhsa_float_denorm_mode_32 3
		.amdhsa_float_denorm_mode_16_64 3
		.amdhsa_dx10_clamp 1
		.amdhsa_ieee_mode 1
		.amdhsa_fp16_overflow 0
		.amdhsa_workgroup_processor_mode 1
		.amdhsa_memory_ordered 1
		.amdhsa_forward_progress 0
		.amdhsa_shared_vgpr_count 0
		.amdhsa_exception_fp_ieee_invalid_op 0
		.amdhsa_exception_fp_denorm_src 0
		.amdhsa_exception_fp_ieee_div_zero 0
		.amdhsa_exception_fp_ieee_overflow 0
		.amdhsa_exception_fp_ieee_underflow 0
		.amdhsa_exception_fp_ieee_inexact 0
		.amdhsa_exception_int_div_zero 0
	.end_amdhsa_kernel
	.section	.text._ZN9rocsparseL26bsrgemm_group_reduce_part2ILj256ELj8ELj2E21rocsparse_complex_numIfEllEEvT4_PKT3_PS3_Pi,"axG",@progbits,_ZN9rocsparseL26bsrgemm_group_reduce_part2ILj256ELj8ELj2E21rocsparse_complex_numIfEllEEvT4_PKT3_PS3_Pi,comdat
.Lfunc_end125:
	.size	_ZN9rocsparseL26bsrgemm_group_reduce_part2ILj256ELj8ELj2E21rocsparse_complex_numIfEllEEvT4_PKT3_PS3_Pi, .Lfunc_end125-_ZN9rocsparseL26bsrgemm_group_reduce_part2ILj256ELj8ELj2E21rocsparse_complex_numIfEllEEvT4_PKT3_PS3_Pi
                                        ; -- End function
	.section	.AMDGPU.csdata,"",@progbits
; Kernel info:
; codeLenInByte = 3152
; NumSgprs: 21
; NumVgprs: 36
; ScratchSize: 0
; MemoryBound: 0
; FloatMode: 240
; IeeeMode: 1
; LDSByteSize: 16384 bytes/workgroup (compile time only)
; SGPRBlocks: 2
; VGPRBlocks: 4
; NumSGPRsForWavesPerEU: 21
; NumVGPRsForWavesPerEU: 36
; Occupancy: 16
; WaveLimiterHint : 0
; COMPUTE_PGM_RSRC2:SCRATCH_EN: 0
; COMPUTE_PGM_RSRC2:USER_SGPR: 15
; COMPUTE_PGM_RSRC2:TRAP_HANDLER: 0
; COMPUTE_PGM_RSRC2:TGID_X_EN: 1
; COMPUTE_PGM_RSRC2:TGID_Y_EN: 0
; COMPUTE_PGM_RSRC2:TGID_Z_EN: 0
; COMPUTE_PGM_RSRC2:TIDIG_COMP_CNT: 0
	.section	.text._ZN9rocsparseL26bsrgemm_group_reduce_part2ILj256ELj8ELj8E21rocsparse_complex_numIfEllEEvT4_PKT3_PS3_Pi,"axG",@progbits,_ZN9rocsparseL26bsrgemm_group_reduce_part2ILj256ELj8ELj8E21rocsparse_complex_numIfEllEEvT4_PKT3_PS3_Pi,comdat
	.globl	_ZN9rocsparseL26bsrgemm_group_reduce_part2ILj256ELj8ELj8E21rocsparse_complex_numIfEllEEvT4_PKT3_PS3_Pi ; -- Begin function _ZN9rocsparseL26bsrgemm_group_reduce_part2ILj256ELj8ELj8E21rocsparse_complex_numIfEllEEvT4_PKT3_PS3_Pi
	.p2align	8
	.type	_ZN9rocsparseL26bsrgemm_group_reduce_part2ILj256ELj8ELj8E21rocsparse_complex_numIfEllEEvT4_PKT3_PS3_Pi,@function
_ZN9rocsparseL26bsrgemm_group_reduce_part2ILj256ELj8ELj8E21rocsparse_complex_numIfEllEEvT4_PKT3_PS3_Pi: ; @_ZN9rocsparseL26bsrgemm_group_reduce_part2ILj256ELj8ELj8E21rocsparse_complex_numIfEllEEvT4_PKT3_PS3_Pi
; %bb.0:
	s_clause 0x1
	s_load_b64 s[8:9], s[0:1], 0x0
	s_load_b64 s[2:3], s[0:1], 0x10
	s_mov_b32 s5, 0
	v_lshl_or_b32 v1, s15, 8, v0
	s_mov_b32 s4, s5
	s_mov_b32 s6, s5
	;; [unrolled: 1-line block ×3, first 2 shown]
	v_dual_mov_b32 v3, s4 :: v_dual_mov_b32 v4, s5
	v_dual_mov_b32 v2, 0 :: v_dual_lshlrev_b32 v11, 6, v0
	v_dual_mov_b32 v5, s6 :: v_dual_mov_b32 v6, s7
	s_mov_b32 s12, exec_lo
	ds_store_b128 v11, v[3:6]
	ds_store_b128 v11, v[3:6] offset:16
	ds_store_b128 v11, v[3:6] offset:32
	;; [unrolled: 1-line block ×3, first 2 shown]
	s_waitcnt lgkmcnt(0)
	buffer_gl0_inv
	v_cmpx_gt_i64_e64 s[8:9], v[1:2]
	s_cbranch_execz .LBB126_31
; %bb.1:
	s_clause 0x2
	s_load_b32 s4, s[0:1], 0x20
	s_load_b64 s[6:7], s[0:1], 0x18
	s_load_b64 s[0:1], s[0:1], 0x8
	v_lshlrev_b64 v[3:4], 2, v[1:2]
	v_lshlrev_b64 v[5:6], 3, v[1:2]
	v_mov_b32_e32 v8, v2
	v_dual_mov_b32 v12, 7 :: v_dual_mov_b32 v13, 6
	v_dual_mov_b32 v14, 5 :: v_dual_mov_b32 v15, 4
	;; [unrolled: 1-line block ×4, first 2 shown]
	s_waitcnt lgkmcnt(0)
	s_lshl_b32 s4, s4, 8
	v_add_co_u32 v3, vcc_lo, s6, v3
	v_add_co_ci_u32_e32 v4, vcc_lo, s7, v4, vcc_lo
	v_add_co_u32 v5, vcc_lo, s0, v5
	v_add_co_ci_u32_e32 v6, vcc_lo, s1, v6, vcc_lo
	s_lshl_b64 s[6:7], s[4:5], 2
	s_lshl_b64 s[10:11], s[4:5], 3
	s_branch .LBB126_3
.LBB126_2:                              ;   in Loop: Header=BB126_3 Depth=1
	s_or_b32 exec_lo, exec_lo, s0
	v_add_co_u32 v7, vcc_lo, v7, s4
	v_add_co_ci_u32_e32 v8, vcc_lo, 0, v8, vcc_lo
	v_add_co_u32 v3, vcc_lo, v3, s6
	v_add_co_ci_u32_e32 v4, vcc_lo, s7, v4, vcc_lo
	s_delay_alu instid0(VALU_DEP_3) | instskip(SKIP_1) | instid1(VALU_DEP_1)
	v_cmp_le_i64_e32 vcc_lo, s[8:9], v[7:8]
	v_add_co_u32 v5, s0, v5, s10
	v_add_co_ci_u32_e64 v6, s0, s11, v6, s0
	s_or_b32 s5, vcc_lo, s5
	s_delay_alu instid0(SALU_CYCLE_1)
	s_and_not1_b32 exec_lo, exec_lo, s5
	s_cbranch_execz .LBB126_31
.LBB126_3:                              ; =>This Inner Loop Header: Depth=1
	global_load_b128 v[19:22], v[5:6], off
	s_mov_b32 s0, exec_lo
	s_waitcnt vmcnt(0)
	v_sub_co_u32 v9, vcc_lo, v21, v19
	v_sub_co_ci_u32_e32 v10, vcc_lo, v22, v20, vcc_lo
	s_delay_alu instid0(VALU_DEP_1)
	v_cmpx_lt_i64_e32 8, v[9:10]
	s_xor_b32 s0, exec_lo, s0
	s_cbranch_execz .LBB126_29
; %bb.4:                                ;   in Loop: Header=BB126_3 Depth=1
	s_mov_b32 s1, exec_lo
	v_cmpx_lt_u64_e32 16, v[9:10]
	s_xor_b32 s1, exec_lo, s1
	s_cbranch_execz .LBB126_26
; %bb.5:                                ;   in Loop: Header=BB126_3 Depth=1
	s_mov_b32 s13, exec_lo
	v_cmpx_lt_u64_e32 32, v[9:10]
	;; [unrolled: 5-line block ×6, first 2 shown]
	s_xor_b32 s18, exec_lo, s18
	s_cbranch_execz .LBB126_11
; %bb.10:                               ;   in Loop: Header=BB126_3 Depth=1
	ds_load_b64 v[9:10], v11 offset:56
	global_store_b32 v[3:4], v12, off
	s_waitcnt lgkmcnt(0)
	v_add_co_u32 v9, vcc_lo, v9, 1
	v_add_co_ci_u32_e32 v10, vcc_lo, 0, v10, vcc_lo
	ds_store_b64 v11, v[9:10] offset:56
.LBB126_11:                             ;   in Loop: Header=BB126_3 Depth=1
	s_and_not1_saveexec_b32 s18, s18
	s_cbranch_execz .LBB126_13
; %bb.12:                               ;   in Loop: Header=BB126_3 Depth=1
	ds_load_b64 v[9:10], v11 offset:48
	global_store_b32 v[3:4], v13, off
	s_waitcnt lgkmcnt(0)
	v_add_co_u32 v9, vcc_lo, v9, 1
	v_add_co_ci_u32_e32 v10, vcc_lo, 0, v10, vcc_lo
	ds_store_b64 v11, v[9:10] offset:48
.LBB126_13:                             ;   in Loop: Header=BB126_3 Depth=1
	s_or_b32 exec_lo, exec_lo, s18
.LBB126_14:                             ;   in Loop: Header=BB126_3 Depth=1
	s_and_not1_saveexec_b32 s17, s17
	s_cbranch_execz .LBB126_16
; %bb.15:                               ;   in Loop: Header=BB126_3 Depth=1
	ds_load_b64 v[9:10], v11 offset:40
	global_store_b32 v[3:4], v14, off
	s_waitcnt lgkmcnt(0)
	v_add_co_u32 v9, vcc_lo, v9, 1
	v_add_co_ci_u32_e32 v10, vcc_lo, 0, v10, vcc_lo
	ds_store_b64 v11, v[9:10] offset:40
.LBB126_16:                             ;   in Loop: Header=BB126_3 Depth=1
	s_or_b32 exec_lo, exec_lo, s17
.LBB126_17:                             ;   in Loop: Header=BB126_3 Depth=1
	s_and_not1_saveexec_b32 s16, s16
	s_cbranch_execz .LBB126_19
; %bb.18:                               ;   in Loop: Header=BB126_3 Depth=1
	ds_load_b64 v[9:10], v11 offset:32
	global_store_b32 v[3:4], v15, off
	s_waitcnt lgkmcnt(0)
	v_add_co_u32 v9, vcc_lo, v9, 1
	v_add_co_ci_u32_e32 v10, vcc_lo, 0, v10, vcc_lo
	ds_store_b64 v11, v[9:10] offset:32
.LBB126_19:                             ;   in Loop: Header=BB126_3 Depth=1
	s_or_b32 exec_lo, exec_lo, s16
.LBB126_20:                             ;   in Loop: Header=BB126_3 Depth=1
	s_and_not1_saveexec_b32 s14, s14
	s_cbranch_execz .LBB126_22
; %bb.21:                               ;   in Loop: Header=BB126_3 Depth=1
	ds_load_b64 v[9:10], v11 offset:24
	global_store_b32 v[3:4], v16, off
	s_waitcnt lgkmcnt(0)
	v_add_co_u32 v9, vcc_lo, v9, 1
	v_add_co_ci_u32_e32 v10, vcc_lo, 0, v10, vcc_lo
	ds_store_b64 v11, v[9:10] offset:24
.LBB126_22:                             ;   in Loop: Header=BB126_3 Depth=1
	s_or_b32 exec_lo, exec_lo, s14
.LBB126_23:                             ;   in Loop: Header=BB126_3 Depth=1
	s_and_not1_saveexec_b32 s13, s13
	s_cbranch_execz .LBB126_25
; %bb.24:                               ;   in Loop: Header=BB126_3 Depth=1
	ds_load_b64 v[9:10], v11 offset:16
	global_store_b32 v[3:4], v17, off
	s_waitcnt lgkmcnt(0)
	v_add_co_u32 v9, vcc_lo, v9, 1
	v_add_co_ci_u32_e32 v10, vcc_lo, 0, v10, vcc_lo
	ds_store_b64 v11, v[9:10] offset:16
.LBB126_25:                             ;   in Loop: Header=BB126_3 Depth=1
	s_or_b32 exec_lo, exec_lo, s13
.LBB126_26:                             ;   in Loop: Header=BB126_3 Depth=1
	s_and_not1_saveexec_b32 s1, s1
	s_cbranch_execz .LBB126_28
; %bb.27:                               ;   in Loop: Header=BB126_3 Depth=1
	ds_load_b64 v[9:10], v11 offset:8
	global_store_b32 v[3:4], v18, off
	s_waitcnt lgkmcnt(0)
	v_add_co_u32 v9, vcc_lo, v9, 1
	v_add_co_ci_u32_e32 v10, vcc_lo, 0, v10, vcc_lo
	ds_store_b64 v11, v[9:10] offset:8
.LBB126_28:                             ;   in Loop: Header=BB126_3 Depth=1
	s_or_b32 exec_lo, exec_lo, s1
.LBB126_29:                             ;   in Loop: Header=BB126_3 Depth=1
	s_and_not1_saveexec_b32 s0, s0
	s_cbranch_execz .LBB126_2
; %bb.30:                               ;   in Loop: Header=BB126_3 Depth=1
	ds_load_b64 v[9:10], v11
	global_store_b32 v[3:4], v2, off
	s_waitcnt lgkmcnt(0)
	v_add_co_u32 v9, vcc_lo, v9, 1
	v_add_co_ci_u32_e32 v10, vcc_lo, 0, v10, vcc_lo
	ds_store_b64 v11, v[9:10]
	s_branch .LBB126_2
.LBB126_31:
	s_or_b32 exec_lo, exec_lo, s12
	s_delay_alu instid0(SALU_CYCLE_1)
	s_mov_b32 s0, exec_lo
	s_waitcnt lgkmcnt(0)
	s_waitcnt_vscnt null, 0x0
	s_barrier
	buffer_gl0_inv
	s_barrier
	buffer_gl0_inv
	;; [unrolled: 2-line block ×3, first 2 shown]
	v_cmpx_gt_u32_e32 0x80, v0
	s_cbranch_execz .LBB126_33
; %bb.32:
	ds_load_b128 v[1:4], v11 offset:8192
	ds_load_b128 v[5:8], v11
	ds_load_b128 v[12:15], v11 offset:16
	ds_load_b128 v[16:19], v11 offset:8208
	ds_load_b128 v[20:23], v11 offset:8224
	ds_load_b128 v[24:27], v11 offset:32
	ds_load_b128 v[28:31], v11 offset:48
	ds_load_b128 v[32:35], v11 offset:8240
	s_waitcnt lgkmcnt(6)
	v_add_co_u32 v1, vcc_lo, v5, v1
	v_add_co_ci_u32_e32 v2, vcc_lo, v6, v2, vcc_lo
	v_add_co_u32 v3, vcc_lo, v7, v3
	v_add_co_ci_u32_e32 v4, vcc_lo, v8, v4, vcc_lo
	s_waitcnt lgkmcnt(4)
	v_add_co_u32 v5, vcc_lo, v12, v16
	v_add_co_ci_u32_e32 v6, vcc_lo, v13, v17, vcc_lo
	v_add_co_u32 v7, vcc_lo, v14, v18
	v_add_co_ci_u32_e32 v8, vcc_lo, v15, v19, vcc_lo
	s_waitcnt lgkmcnt(2)
	v_add_co_u32 v12, vcc_lo, v24, v20
	v_add_co_ci_u32_e32 v13, vcc_lo, v25, v21, vcc_lo
	v_add_co_u32 v14, vcc_lo, v26, v22
	v_add_co_ci_u32_e32 v15, vcc_lo, v27, v23, vcc_lo
	s_waitcnt lgkmcnt(0)
	v_add_co_u32 v16, vcc_lo, v28, v32
	v_add_co_ci_u32_e32 v17, vcc_lo, v29, v33, vcc_lo
	v_add_co_u32 v18, vcc_lo, v30, v34
	v_add_co_ci_u32_e32 v19, vcc_lo, v31, v35, vcc_lo
	ds_store_b128 v11, v[1:4]
	ds_store_b128 v11, v[5:8] offset:16
	ds_store_b128 v11, v[12:15] offset:32
	ds_store_b128 v11, v[16:19] offset:48
.LBB126_33:
	s_or_b32 exec_lo, exec_lo, s0
	s_delay_alu instid0(SALU_CYCLE_1)
	s_mov_b32 s0, exec_lo
	s_waitcnt lgkmcnt(0)
	s_barrier
	buffer_gl0_inv
	v_cmpx_gt_u32_e32 64, v0
	s_cbranch_execz .LBB126_35
; %bb.34:
	ds_load_b128 v[1:4], v11 offset:4096
	ds_load_b128 v[5:8], v11
	ds_load_b128 v[12:15], v11 offset:16
	ds_load_b128 v[16:19], v11 offset:4112
	ds_load_b128 v[20:23], v11 offset:4128
	ds_load_b128 v[24:27], v11 offset:32
	ds_load_b128 v[28:31], v11 offset:48
	ds_load_b128 v[32:35], v11 offset:4144
	s_waitcnt lgkmcnt(6)
	v_add_co_u32 v1, vcc_lo, v5, v1
	v_add_co_ci_u32_e32 v2, vcc_lo, v6, v2, vcc_lo
	v_add_co_u32 v3, vcc_lo, v7, v3
	v_add_co_ci_u32_e32 v4, vcc_lo, v8, v4, vcc_lo
	s_waitcnt lgkmcnt(4)
	v_add_co_u32 v5, vcc_lo, v12, v16
	v_add_co_ci_u32_e32 v6, vcc_lo, v13, v17, vcc_lo
	v_add_co_u32 v7, vcc_lo, v14, v18
	v_add_co_ci_u32_e32 v8, vcc_lo, v15, v19, vcc_lo
	s_waitcnt lgkmcnt(2)
	v_add_co_u32 v12, vcc_lo, v24, v20
	v_add_co_ci_u32_e32 v13, vcc_lo, v25, v21, vcc_lo
	v_add_co_u32 v14, vcc_lo, v26, v22
	v_add_co_ci_u32_e32 v15, vcc_lo, v27, v23, vcc_lo
	s_waitcnt lgkmcnt(0)
	v_add_co_u32 v16, vcc_lo, v28, v32
	v_add_co_ci_u32_e32 v17, vcc_lo, v29, v33, vcc_lo
	v_add_co_u32 v18, vcc_lo, v30, v34
	v_add_co_ci_u32_e32 v19, vcc_lo, v31, v35, vcc_lo
	ds_store_b128 v11, v[1:4]
	ds_store_b128 v11, v[5:8] offset:16
	ds_store_b128 v11, v[12:15] offset:32
	ds_store_b128 v11, v[16:19] offset:48
.LBB126_35:
	s_or_b32 exec_lo, exec_lo, s0
	s_delay_alu instid0(SALU_CYCLE_1)
	s_mov_b32 s0, exec_lo
	s_waitcnt lgkmcnt(0)
	s_barrier
	buffer_gl0_inv
	;; [unrolled: 42-line block ×3, first 2 shown]
	v_cmpx_gt_u32_e32 16, v0
	s_cbranch_execz .LBB126_39
; %bb.38:
	ds_load_b128 v[1:4], v11 offset:1024
	ds_load_b128 v[5:8], v11
	ds_load_b128 v[12:15], v11 offset:16
	ds_load_b128 v[16:19], v11 offset:1040
	;; [unrolled: 1-line block ×6, first 2 shown]
	s_waitcnt lgkmcnt(6)
	v_add_co_u32 v1, vcc_lo, v5, v1
	v_add_co_ci_u32_e32 v2, vcc_lo, v6, v2, vcc_lo
	v_add_co_u32 v3, vcc_lo, v7, v3
	v_add_co_ci_u32_e32 v4, vcc_lo, v8, v4, vcc_lo
	s_waitcnt lgkmcnt(4)
	v_add_co_u32 v5, vcc_lo, v12, v16
	v_add_co_ci_u32_e32 v6, vcc_lo, v13, v17, vcc_lo
	v_add_co_u32 v7, vcc_lo, v14, v18
	v_add_co_ci_u32_e32 v8, vcc_lo, v15, v19, vcc_lo
	;; [unrolled: 5-line block ×4, first 2 shown]
	ds_store_b128 v11, v[1:4]
	ds_store_b128 v11, v[5:8] offset:16
	ds_store_b128 v11, v[12:15] offset:32
	;; [unrolled: 1-line block ×3, first 2 shown]
.LBB126_39:
	s_or_b32 exec_lo, exec_lo, s0
	v_cmp_gt_u32_e32 vcc_lo, 8, v0
	s_waitcnt lgkmcnt(0)
	s_barrier
	buffer_gl0_inv
	s_and_saveexec_b32 s1, vcc_lo
	s_cbranch_execz .LBB126_41
; %bb.40:
	ds_load_b128 v[1:4], v11 offset:512
	ds_load_b128 v[5:8], v11
	ds_load_b128 v[12:15], v11 offset:16
	ds_load_b128 v[16:19], v11 offset:528
	;; [unrolled: 1-line block ×6, first 2 shown]
	s_waitcnt lgkmcnt(6)
	v_add_co_u32 v1, s0, v5, v1
	s_delay_alu instid0(VALU_DEP_1) | instskip(SKIP_1) | instid1(VALU_DEP_1)
	v_add_co_ci_u32_e64 v2, s0, v6, v2, s0
	v_add_co_u32 v3, s0, v7, v3
	v_add_co_ci_u32_e64 v4, s0, v8, v4, s0
	s_waitcnt lgkmcnt(4)
	v_add_co_u32 v5, s0, v12, v16
	s_delay_alu instid0(VALU_DEP_1) | instskip(SKIP_1) | instid1(VALU_DEP_1)
	v_add_co_ci_u32_e64 v6, s0, v13, v17, s0
	v_add_co_u32 v7, s0, v14, v18
	v_add_co_ci_u32_e64 v8, s0, v15, v19, s0
	;; [unrolled: 6-line block ×4, first 2 shown]
	ds_store_b128 v11, v[1:4]
	ds_store_b128 v11, v[5:8] offset:16
	ds_store_b128 v11, v[12:15] offset:32
	;; [unrolled: 1-line block ×3, first 2 shown]
.LBB126_41:
	s_or_b32 exec_lo, exec_lo, s1
	s_delay_alu instid0(SALU_CYCLE_1)
	s_mov_b32 s1, exec_lo
	s_waitcnt lgkmcnt(0)
	s_barrier
	buffer_gl0_inv
	v_cmpx_gt_u32_e32 4, v0
	s_cbranch_execz .LBB126_43
; %bb.42:
	ds_load_b128 v[1:4], v11 offset:256
	ds_load_b128 v[5:8], v11
	ds_load_b128 v[12:15], v11 offset:16
	ds_load_b128 v[16:19], v11 offset:272
	;; [unrolled: 1-line block ×6, first 2 shown]
	s_waitcnt lgkmcnt(6)
	v_add_co_u32 v1, s0, v5, v1
	s_delay_alu instid0(VALU_DEP_1) | instskip(SKIP_1) | instid1(VALU_DEP_1)
	v_add_co_ci_u32_e64 v2, s0, v6, v2, s0
	v_add_co_u32 v3, s0, v7, v3
	v_add_co_ci_u32_e64 v4, s0, v8, v4, s0
	s_waitcnt lgkmcnt(4)
	v_add_co_u32 v5, s0, v12, v16
	s_delay_alu instid0(VALU_DEP_1) | instskip(SKIP_1) | instid1(VALU_DEP_1)
	v_add_co_ci_u32_e64 v6, s0, v13, v17, s0
	v_add_co_u32 v7, s0, v14, v18
	v_add_co_ci_u32_e64 v8, s0, v15, v19, s0
	;; [unrolled: 6-line block ×4, first 2 shown]
	ds_store_b128 v11, v[1:4]
	ds_store_b128 v11, v[5:8] offset:16
	ds_store_b128 v11, v[12:15] offset:32
	;; [unrolled: 1-line block ×3, first 2 shown]
.LBB126_43:
	s_or_b32 exec_lo, exec_lo, s1
	s_delay_alu instid0(SALU_CYCLE_1)
	s_mov_b32 s1, exec_lo
	s_waitcnt lgkmcnt(0)
	s_barrier
	buffer_gl0_inv
	v_cmpx_gt_u32_e32 2, v0
	s_cbranch_execz .LBB126_45
; %bb.44:
	ds_load_b128 v[1:4], v11 offset:128
	ds_load_b128 v[5:8], v11
	ds_load_b128 v[12:15], v11 offset:16
	ds_load_b128 v[16:19], v11 offset:144
	;; [unrolled: 1-line block ×6, first 2 shown]
	s_waitcnt lgkmcnt(6)
	v_add_co_u32 v1, s0, v5, v1
	s_delay_alu instid0(VALU_DEP_1) | instskip(SKIP_1) | instid1(VALU_DEP_1)
	v_add_co_ci_u32_e64 v2, s0, v6, v2, s0
	v_add_co_u32 v3, s0, v7, v3
	v_add_co_ci_u32_e64 v4, s0, v8, v4, s0
	s_waitcnt lgkmcnt(4)
	v_add_co_u32 v5, s0, v12, v16
	s_delay_alu instid0(VALU_DEP_1) | instskip(SKIP_1) | instid1(VALU_DEP_1)
	v_add_co_ci_u32_e64 v6, s0, v13, v17, s0
	v_add_co_u32 v7, s0, v14, v18
	v_add_co_ci_u32_e64 v8, s0, v15, v19, s0
	;; [unrolled: 6-line block ×4, first 2 shown]
	ds_store_b128 v11, v[1:4]
	ds_store_b128 v11, v[5:8] offset:16
	ds_store_b128 v11, v[12:15] offset:32
	;; [unrolled: 1-line block ×3, first 2 shown]
.LBB126_45:
	s_or_b32 exec_lo, exec_lo, s1
	s_delay_alu instid0(SALU_CYCLE_1)
	s_mov_b32 s1, exec_lo
	s_waitcnt lgkmcnt(0)
	s_barrier
	buffer_gl0_inv
	v_cmpx_eq_u32_e32 0, v0
	s_cbranch_execz .LBB126_47
; %bb.46:
	v_mov_b32_e32 v33, 0
	ds_load_b128 v[1:4], v33 offset:64
	ds_load_b128 v[5:8], v33
	ds_load_b128 v[9:12], v33 offset:16
	ds_load_b128 v[13:16], v33 offset:80
	;; [unrolled: 1-line block ×6, first 2 shown]
	s_waitcnt lgkmcnt(6)
	v_add_co_u32 v1, s0, v5, v1
	s_delay_alu instid0(VALU_DEP_1) | instskip(SKIP_1) | instid1(VALU_DEP_1)
	v_add_co_ci_u32_e64 v2, s0, v6, v2, s0
	v_add_co_u32 v3, s0, v7, v3
	v_add_co_ci_u32_e64 v4, s0, v8, v4, s0
	s_waitcnt lgkmcnt(4)
	v_add_co_u32 v5, s0, v9, v13
	s_delay_alu instid0(VALU_DEP_1) | instskip(SKIP_1) | instid1(VALU_DEP_1)
	v_add_co_ci_u32_e64 v6, s0, v10, v14, s0
	v_add_co_u32 v7, s0, v11, v15
	v_add_co_ci_u32_e64 v8, s0, v12, v16, s0
	;; [unrolled: 6-line block ×4, first 2 shown]
	ds_store_b128 v33, v[1:4]
	ds_store_b128 v33, v[5:8] offset:16
	ds_store_b128 v33, v[9:12] offset:32
	ds_store_b128 v33, v[13:16] offset:48
.LBB126_47:
	s_or_b32 exec_lo, exec_lo, s1
	s_waitcnt lgkmcnt(0)
	s_barrier
	buffer_gl0_inv
	s_and_saveexec_b32 s0, vcc_lo
	s_cbranch_execz .LBB126_49
; %bb.48:
	v_dual_mov_b32 v4, 0 :: v_dual_lshlrev_b32 v1, 3, v0
	v_lshl_or_b32 v3, s15, 3, v0
	ds_load_b64 v[1:2], v1
	v_lshlrev_b64 v[3:4], 3, v[3:4]
	s_delay_alu instid0(VALU_DEP_1) | instskip(NEXT) | instid1(VALU_DEP_2)
	v_add_co_u32 v3, vcc_lo, s2, v3
	v_add_co_ci_u32_e32 v4, vcc_lo, s3, v4, vcc_lo
	s_waitcnt lgkmcnt(0)
	global_store_b64 v[3:4], v[1:2], off
.LBB126_49:
	s_nop 0
	s_sendmsg sendmsg(MSG_DEALLOC_VGPRS)
	s_endpgm
	.section	.rodata,"a",@progbits
	.p2align	6, 0x0
	.amdhsa_kernel _ZN9rocsparseL26bsrgemm_group_reduce_part2ILj256ELj8ELj8E21rocsparse_complex_numIfEllEEvT4_PKT3_PS3_Pi
		.amdhsa_group_segment_fixed_size 16384
		.amdhsa_private_segment_fixed_size 0
		.amdhsa_kernarg_size 288
		.amdhsa_user_sgpr_count 15
		.amdhsa_user_sgpr_dispatch_ptr 0
		.amdhsa_user_sgpr_queue_ptr 0
		.amdhsa_user_sgpr_kernarg_segment_ptr 1
		.amdhsa_user_sgpr_dispatch_id 0
		.amdhsa_user_sgpr_private_segment_size 0
		.amdhsa_wavefront_size32 1
		.amdhsa_uses_dynamic_stack 0
		.amdhsa_enable_private_segment 0
		.amdhsa_system_sgpr_workgroup_id_x 1
		.amdhsa_system_sgpr_workgroup_id_y 0
		.amdhsa_system_sgpr_workgroup_id_z 0
		.amdhsa_system_sgpr_workgroup_info 0
		.amdhsa_system_vgpr_workitem_id 0
		.amdhsa_next_free_vgpr 36
		.amdhsa_next_free_sgpr 19
		.amdhsa_reserve_vcc 1
		.amdhsa_float_round_mode_32 0
		.amdhsa_float_round_mode_16_64 0
		.amdhsa_float_denorm_mode_32 3
		.amdhsa_float_denorm_mode_16_64 3
		.amdhsa_dx10_clamp 1
		.amdhsa_ieee_mode 1
		.amdhsa_fp16_overflow 0
		.amdhsa_workgroup_processor_mode 1
		.amdhsa_memory_ordered 1
		.amdhsa_forward_progress 0
		.amdhsa_shared_vgpr_count 0
		.amdhsa_exception_fp_ieee_invalid_op 0
		.amdhsa_exception_fp_denorm_src 0
		.amdhsa_exception_fp_ieee_div_zero 0
		.amdhsa_exception_fp_ieee_overflow 0
		.amdhsa_exception_fp_ieee_underflow 0
		.amdhsa_exception_fp_ieee_inexact 0
		.amdhsa_exception_int_div_zero 0
	.end_amdhsa_kernel
	.section	.text._ZN9rocsparseL26bsrgemm_group_reduce_part2ILj256ELj8ELj8E21rocsparse_complex_numIfEllEEvT4_PKT3_PS3_Pi,"axG",@progbits,_ZN9rocsparseL26bsrgemm_group_reduce_part2ILj256ELj8ELj8E21rocsparse_complex_numIfEllEEvT4_PKT3_PS3_Pi,comdat
.Lfunc_end126:
	.size	_ZN9rocsparseL26bsrgemm_group_reduce_part2ILj256ELj8ELj8E21rocsparse_complex_numIfEllEEvT4_PKT3_PS3_Pi, .Lfunc_end126-_ZN9rocsparseL26bsrgemm_group_reduce_part2ILj256ELj8ELj8E21rocsparse_complex_numIfEllEEvT4_PKT3_PS3_Pi
                                        ; -- End function
	.section	.AMDGPU.csdata,"",@progbits
; Kernel info:
; codeLenInByte = 3152
; NumSgprs: 21
; NumVgprs: 36
; ScratchSize: 0
; MemoryBound: 0
; FloatMode: 240
; IeeeMode: 1
; LDSByteSize: 16384 bytes/workgroup (compile time only)
; SGPRBlocks: 2
; VGPRBlocks: 4
; NumSGPRsForWavesPerEU: 21
; NumVGPRsForWavesPerEU: 36
; Occupancy: 16
; WaveLimiterHint : 0
; COMPUTE_PGM_RSRC2:SCRATCH_EN: 0
; COMPUTE_PGM_RSRC2:USER_SGPR: 15
; COMPUTE_PGM_RSRC2:TRAP_HANDLER: 0
; COMPUTE_PGM_RSRC2:TGID_X_EN: 1
; COMPUTE_PGM_RSRC2:TGID_Y_EN: 0
; COMPUTE_PGM_RSRC2:TGID_Z_EN: 0
; COMPUTE_PGM_RSRC2:TIDIG_COMP_CNT: 0
	.section	.text._ZN9rocsparseL27bsrgemm_fill_wf_per_row_2x2ILj256ELj16ELj8ELj137Ell21rocsparse_complex_numIfEEEv20rocsparse_direction_T4_S4_PKS4_S6_NS_24const_host_device_scalarIT5_EEPKT3_S6_PKS8_SC_S6_SE_S9_SC_S6_SE_SC_PS4_PS8_21rocsparse_index_base_SH_SH_SH_bbb,"axG",@progbits,_ZN9rocsparseL27bsrgemm_fill_wf_per_row_2x2ILj256ELj16ELj8ELj137Ell21rocsparse_complex_numIfEEEv20rocsparse_direction_T4_S4_PKS4_S6_NS_24const_host_device_scalarIT5_EEPKT3_S6_PKS8_SC_S6_SE_S9_SC_S6_SE_SC_PS4_PS8_21rocsparse_index_base_SH_SH_SH_bbb,comdat
	.globl	_ZN9rocsparseL27bsrgemm_fill_wf_per_row_2x2ILj256ELj16ELj8ELj137Ell21rocsparse_complex_numIfEEEv20rocsparse_direction_T4_S4_PKS4_S6_NS_24const_host_device_scalarIT5_EEPKT3_S6_PKS8_SC_S6_SE_S9_SC_S6_SE_SC_PS4_PS8_21rocsparse_index_base_SH_SH_SH_bbb ; -- Begin function _ZN9rocsparseL27bsrgemm_fill_wf_per_row_2x2ILj256ELj16ELj8ELj137Ell21rocsparse_complex_numIfEEEv20rocsparse_direction_T4_S4_PKS4_S6_NS_24const_host_device_scalarIT5_EEPKT3_S6_PKS8_SC_S6_SE_S9_SC_S6_SE_SC_PS4_PS8_21rocsparse_index_base_SH_SH_SH_bbb
	.p2align	8
	.type	_ZN9rocsparseL27bsrgemm_fill_wf_per_row_2x2ILj256ELj16ELj8ELj137Ell21rocsparse_complex_numIfEEEv20rocsparse_direction_T4_S4_PKS4_S6_NS_24const_host_device_scalarIT5_EEPKT3_S6_PKS8_SC_S6_SE_S9_SC_S6_SE_SC_PS4_PS8_21rocsparse_index_base_SH_SH_SH_bbb,@function
_ZN9rocsparseL27bsrgemm_fill_wf_per_row_2x2ILj256ELj16ELj8ELj137Ell21rocsparse_complex_numIfEEEv20rocsparse_direction_T4_S4_PKS4_S6_NS_24const_host_device_scalarIT5_EEPKT3_S6_PKS8_SC_S6_SE_S9_SC_S6_SE_SC_PS4_PS8_21rocsparse_index_base_SH_SH_SH_bbb: ; @_ZN9rocsparseL27bsrgemm_fill_wf_per_row_2x2ILj256ELj16ELj8ELj137Ell21rocsparse_complex_numIfEEEv20rocsparse_direction_T4_S4_PKS4_S6_NS_24const_host_device_scalarIT5_EEPKT3_S6_PKS8_SC_S6_SE_S9_SC_S6_SE_SC_PS4_PS8_21rocsparse_index_base_SH_SH_SH_bbb
; %bb.0:
	s_clause 0x6
	s_load_b32 s14, s[0:1], 0xa8
	s_load_b256 s[4:11], s[0:1], 0x70
	s_load_b256 s[16:23], s[0:1], 0x50
	s_load_b128 s[44:47], s[0:1], 0x18
	s_load_b256 s[24:31], s[0:1], 0x30
	s_load_b64 s[12:13], s[0:1], 0x90
	s_load_b128 s[36:39], s[0:1], 0x98
	s_mov_b32 s3, 0
	s_mov_b32 s34, 0
	s_waitcnt lgkmcnt(0)
	s_bitcmp1_b32 s14, 0
	s_cselect_b32 s48, -1, 0
	s_bitcmp1_b32 s14, 16
	s_cselect_b32 s2, -1, 0
	s_delay_alu instid0(SALU_CYCLE_1) | instskip(SKIP_2) | instid1(VALU_DEP_1)
	s_xor_b32 s33, s2, -1
	s_bitcmp0_b32 s14, 0
	v_cndmask_b32_e64 v1, 0, 1, s33
	v_cmp_ne_u32_e32 vcc_lo, 1, v1
	s_cbranch_scc1 .LBB127_5
; %bb.1:
	s_load_b64 s[2:3], s[0:1], 0x28
	s_and_b32 vcc_lo, exec_lo, vcc_lo
	s_waitcnt lgkmcnt(0)
	s_mov_b32 s34, s2
	s_cbranch_vccnz .LBB127_3
; %bb.2:
	s_load_b32 s34, s[2:3], 0x0
.LBB127_3:
	s_and_not1_b32 vcc_lo, exec_lo, s33
	s_cbranch_vccnz .LBB127_5
; %bb.4:
	s_load_b32 s3, s[2:3], 0x4
.LBB127_5:
	s_bitcmp1_b32 s14, 8
	s_mov_b32 s33, 0
	s_cselect_b32 s35, -1, 0
	s_bfe_u32 s2, s14, 0x10008
	s_mov_b32 s14, 0
	s_cmp_eq_u32 s2, 0
	s_cbranch_scc1 .LBB127_11
; %bb.6:
	v_cmp_ne_u32_e32 vcc_lo, 1, v1
	s_mov_b32 s14, s20
	s_cbranch_vccnz .LBB127_8
; %bb.7:
	s_load_b32 s14, s[20:21], 0x0
.LBB127_8:
	v_cmp_ne_u32_e32 vcc_lo, 1, v1
	s_cbranch_vccnz .LBB127_10
; %bb.9:
	s_load_b32 s21, s[20:21], 0x4
.LBB127_10:
	s_waitcnt lgkmcnt(0)
	s_mov_b32 s33, s21
.LBB127_11:
	s_load_b128 s[40:43], s[0:1], 0x8
	v_lshrrev_b32_e32 v2, 4, v0
	v_and_b32_e32 v25, 15, v0
	s_delay_alu instid0(VALU_DEP_2) | instskip(NEXT) | instid1(VALU_DEP_2)
	v_lshl_or_b32 v24, v2, 6, 0x1000
	v_cmp_gt_u32_e64 s2, 8, v25
	s_delay_alu instid0(VALU_DEP_1)
	s_and_saveexec_b32 s20, s2
	s_cbranch_execz .LBB127_13
; %bb.12:
	s_delay_alu instid0(VALU_DEP_2)
	v_lshl_add_u32 v3, v25, 3, v24
	s_waitcnt lgkmcnt(0)
	v_dual_mov_b32 v0, s42 :: v_dual_mov_b32 v1, s43
	ds_store_b64 v3, v[0:1]
.LBB127_13:
	s_or_b32 exec_lo, exec_lo, s20
	v_dual_mov_b32 v0, 0 :: v_dual_lshlrev_b32 v1, 3, v25
	v_or_b32_e32 v3, -16, v25
	s_mov_b32 s20, 0
	s_delay_alu instid0(VALU_DEP_2) | instskip(NEXT) | instid1(VALU_DEP_3)
	v_lshl_or_b32 v4, v2, 8, v1
	v_mov_b32_e32 v1, v0
.LBB127_14:                             ; =>This Inner Loop Header: Depth=1
	s_delay_alu instid0(VALU_DEP_3) | instskip(NEXT) | instid1(VALU_DEP_1)
	v_add_co_u32 v3, s21, v3, 16
	s_xor_b32 s21, s21, -1
	ds_store_b64 v4, v[0:1]
	v_add_nc_u32_e32 v4, 0x80, v4
	s_and_b32 s21, exec_lo, s21
	s_delay_alu instid0(SALU_CYCLE_1) | instskip(NEXT) | instid1(SALU_CYCLE_1)
	s_or_b32 s20, s21, s20
	s_and_not1_b32 exec_lo, exec_lo, s20
	s_cbranch_execnz .LBB127_14
; %bb.15:
	s_or_b32 exec_lo, exec_lo, s20
	v_lshl_or_b32 v4, s15, 4, v2
	v_mov_b32_e32 v5, 0
	s_waitcnt lgkmcnt(0)
	s_barrier
	buffer_gl0_inv
	s_mov_b32 s15, exec_lo
	v_cmpx_gt_i64_e64 s[40:41], v[4:5]
	s_cbranch_execz .LBB127_21
; %bb.16:
	s_cmp_eq_u64 s[46:47], 0
	s_cbranch_scc1 .LBB127_18
; %bb.17:
	s_load_b64 s[20:21], s[44:45], 0x0
	v_lshlrev_b64 v[0:1], 3, v[4:5]
	s_waitcnt lgkmcnt(0)
	s_lshl_b64 s[20:21], s[20:21], 3
	s_delay_alu instid0(SALU_CYCLE_1) | instskip(SKIP_1) | instid1(VALU_DEP_1)
	s_add_u32 s15, s46, s20
	s_addc_u32 s20, s47, s21
	v_add_co_u32 v0, vcc_lo, s15, v0
	v_add_co_ci_u32_e32 v1, vcc_lo, s20, v1, vcc_lo
	global_load_b64 v[4:5], v[0:1], off
.LBB127_18:
	s_load_b32 s0, s[0:1], 0x0
	v_lshlrev_b32_e32 v26, 8, v2
	s_and_not1_b32 vcc_lo, exec_lo, s48
	s_cbranch_vccz .LBB127_22
; %bb.19:
	s_and_not1_b32 vcc_lo, exec_lo, s35
	s_waitcnt vmcnt(0) lgkmcnt(0)
	buffer_gl0_inv
	s_cbranch_vccz .LBB127_77
.LBB127_20:
	buffer_gl0_inv
	s_and_b32 exec_lo, exec_lo, s2
	s_cbranch_execnz .LBB127_129
.LBB127_21:
	s_endpgm
.LBB127_22:
	s_waitcnt vmcnt(0)
	v_lshlrev_b64 v[0:1], 3, v[4:5]
	v_sub_co_u32 v8, s1, v25, s36
	s_delay_alu instid0(VALU_DEP_1) | instskip(SKIP_1) | instid1(VALU_DEP_3)
	v_sub_co_ci_u32_e64 v9, null, 0, 0, s1
	s_mov_b32 s15, 0
	v_add_co_u32 v0, vcc_lo, s24, v0
	s_delay_alu instid0(VALU_DEP_4)
	v_add_co_ci_u32_e32 v1, vcc_lo, s25, v1, vcc_lo
	s_mov_b32 s1, exec_lo
	global_load_b128 v[0:3], v[0:1], off
	s_waitcnt vmcnt(0)
	v_sub_co_u32 v6, vcc_lo, v2, s36
	v_subrev_co_ci_u32_e32 v7, vcc_lo, 0, v3, vcc_lo
	v_add_co_u32 v8, vcc_lo, v0, v8
	v_add_co_ci_u32_e32 v9, vcc_lo, v1, v9, vcc_lo
	s_delay_alu instid0(VALU_DEP_1)
	v_cmpx_lt_i64_e64 v[8:9], v[6:7]
	s_cbranch_execz .LBB127_76
; %bb.23:
	s_waitcnt lgkmcnt(0)
	s_cmp_eq_u32 s0, 0
	s_mov_b32 s20, s37
	s_cselect_b32 s21, 2, 1
	s_cselect_b32 s24, 1, 2
	s_branch .LBB127_25
.LBB127_24:                             ;   in Loop: Header=BB127_25 Depth=1
	s_or_b32 exec_lo, exec_lo, s25
	v_add_co_u32 v8, vcc_lo, v8, 16
	v_add_co_ci_u32_e32 v9, vcc_lo, 0, v9, vcc_lo
	s_delay_alu instid0(VALU_DEP_1) | instskip(SKIP_1) | instid1(SALU_CYCLE_1)
	v_cmp_ge_i64_e32 vcc_lo, v[8:9], v[6:7]
	s_or_b32 s15, vcc_lo, s15
	s_and_not1_b32 exec_lo, exec_lo, s15
	s_cbranch_execz .LBB127_76
.LBB127_25:                             ; =>This Loop Header: Depth=1
                                        ;     Child Loop BB127_28 Depth 2
                                        ;       Child Loop BB127_30 Depth 3
                                        ;       Child Loop BB127_42 Depth 3
                                        ;       Child Loop BB127_54 Depth 3
                                        ;       Child Loop BB127_66 Depth 3
	v_lshlrev_b64 v[0:1], 3, v[8:9]
	s_mov_b32 s25, exec_lo
	s_delay_alu instid0(VALU_DEP_1) | instskip(NEXT) | instid1(VALU_DEP_2)
	v_add_co_u32 v0, vcc_lo, s26, v0
	v_add_co_ci_u32_e32 v1, vcc_lo, s27, v1, vcc_lo
	global_load_b64 v[0:1], v[0:1], off
	s_waitcnt vmcnt(0)
	v_sub_co_u32 v0, vcc_lo, v0, s36
	v_subrev_co_ci_u32_e32 v1, vcc_lo, 0, v1, vcc_lo
	s_delay_alu instid0(VALU_DEP_1) | instskip(NEXT) | instid1(VALU_DEP_1)
	v_lshlrev_b64 v[0:1], 3, v[0:1]
	v_add_co_u32 v0, vcc_lo, s30, v0
	s_delay_alu instid0(VALU_DEP_2)
	v_add_co_ci_u32_e32 v1, vcc_lo, s31, v1, vcc_lo
	global_load_b128 v[0:3], v[0:1], off
	s_waitcnt vmcnt(0)
	v_cmpx_lt_i64_e64 v[0:1], v[2:3]
	s_cbranch_execz .LBB127_24
; %bb.26:                               ;   in Loop: Header=BB127_25 Depth=1
	v_lshlrev_b64 v[10:11], 2, v[8:9]
	v_lshlrev_b64 v[12:13], 5, v[8:9]
	s_mov_b32 s37, 0
	s_delay_alu instid0(VALU_DEP_2) | instskip(NEXT) | instid1(VALU_DEP_3)
	v_or_b32_e32 v15, 0, v11
	v_or_b32_e32 v14, s21, v10
	;; [unrolled: 1-line block ×4, first 2 shown]
	v_add_co_u32 v12, vcc_lo, s28, v12
	s_delay_alu instid0(VALU_DEP_4) | instskip(SKIP_1) | instid1(VALU_DEP_4)
	v_lshlrev_b64 v[14:15], 3, v[14:15]
	v_add_co_ci_u32_e32 v13, vcc_lo, s29, v13, vcc_lo
	v_lshlrev_b64 v[10:11], 3, v[10:11]
	global_load_b64 v[16:17], v[12:13], off
	v_add_co_u32 v14, vcc_lo, s28, v14
	v_add_co_ci_u32_e32 v15, vcc_lo, s29, v15, vcc_lo
	v_add_co_u32 v10, vcc_lo, s28, v10
	v_add_co_ci_u32_e32 v11, vcc_lo, s29, v11, vcc_lo
	s_clause 0x2
	global_load_b64 v[14:15], v[14:15], off
	global_load_b64 v[10:11], v[10:11], off
	global_load_b64 v[12:13], v[12:13], off offset:24
	v_sub_co_u32 v2, vcc_lo, v2, s20
	v_subrev_co_ci_u32_e32 v3, vcc_lo, 0, v3, vcc_lo
	v_sub_co_u32 v0, vcc_lo, v0, s20
	v_subrev_co_ci_u32_e32 v1, vcc_lo, 0, v1, vcc_lo
	s_waitcnt vmcnt(3)
	v_mul_f32_e64 v27, v17, -s3
	s_delay_alu instid0(VALU_DEP_1) | instskip(NEXT) | instid1(VALU_DEP_1)
	v_dual_mul_f32 v28, s34, v17 :: v_dual_fmac_f32 v27, s34, v16
	v_fmac_f32_e32 v28, s3, v16
	s_waitcnt vmcnt(2)
	v_mul_f32_e64 v29, v15, -s3
	s_waitcnt vmcnt(0)
	v_dual_mul_f32 v30, s34, v15 :: v_dual_mul_f32 v31, s34, v13
	v_mul_f32_e64 v32, v13, -s3
	v_mul_f32_e64 v34, v11, -s3
	v_fmac_f32_e32 v29, s34, v14
	s_delay_alu instid0(VALU_DEP_4) | instskip(NEXT) | instid1(VALU_DEP_3)
	v_dual_mul_f32 v33, s34, v11 :: v_dual_fmac_f32 v30, s3, v14
	v_dual_fmac_f32 v31, s3, v12 :: v_dual_fmac_f32 v34, s34, v10
	s_delay_alu instid0(VALU_DEP_2)
	v_dual_fmac_f32 v32, s34, v12 :: v_dual_fmac_f32 v33, s3, v10
	s_branch .LBB127_28
.LBB127_27:                             ;   in Loop: Header=BB127_28 Depth=2
	s_or_b32 exec_lo, exec_lo, s40
	v_add_co_u32 v0, vcc_lo, v0, 1
	v_add_co_ci_u32_e32 v1, vcc_lo, 0, v1, vcc_lo
	s_delay_alu instid0(VALU_DEP_1) | instskip(SKIP_1) | instid1(SALU_CYCLE_1)
	v_cmp_ge_i64_e32 vcc_lo, v[0:1], v[2:3]
	s_or_b32 s37, vcc_lo, s37
	s_and_not1_b32 exec_lo, exec_lo, s37
	s_cbranch_execz .LBB127_24
.LBB127_28:                             ;   Parent Loop BB127_25 Depth=1
                                        ; =>  This Loop Header: Depth=2
                                        ;       Child Loop BB127_30 Depth 3
                                        ;       Child Loop BB127_42 Depth 3
	;; [unrolled: 1-line block ×4, first 2 shown]
	v_lshlrev_b64 v[10:11], 2, v[0:1]
	v_lshlrev_b64 v[14:15], 3, v[0:1]
	;; [unrolled: 1-line block ×3, first 2 shown]
	s_mov_b32 s40, 0
	s_delay_alu instid0(VALU_DEP_3) | instskip(NEXT) | instid1(VALU_DEP_4)
	v_or_b32_e32 v13, 0, v11
	v_or_b32_e32 v12, s21, v10
	;; [unrolled: 1-line block ×4, first 2 shown]
	s_delay_alu instid0(VALU_DEP_3) | instskip(NEXT) | instid1(VALU_DEP_2)
	v_lshlrev_b64 v[12:13], 3, v[12:13]
	v_lshlrev_b64 v[10:11], 3, v[10:11]
	s_delay_alu instid0(VALU_DEP_2) | instskip(NEXT) | instid1(VALU_DEP_3)
	v_add_co_u32 v12, vcc_lo, s18, v12
	v_add_co_ci_u32_e32 v13, vcc_lo, s19, v13, vcc_lo
	global_load_b64 v[19:20], v[12:13], off
	v_add_co_u32 v12, vcc_lo, s16, v14
	v_add_co_ci_u32_e32 v13, vcc_lo, s17, v15, vcc_lo
	v_add_co_u32 v15, vcc_lo, s18, v16
	v_add_co_ci_u32_e32 v16, vcc_lo, s19, v17, vcc_lo
	global_load_b64 v[21:22], v[12:13], off
	v_add_co_u32 v10, vcc_lo, s18, v10
	v_add_co_ci_u32_e32 v11, vcc_lo, s19, v11, vcc_lo
	s_clause 0x2
	global_load_b64 v[17:18], v[15:16], off
	global_load_b64 v[13:14], v[10:11], off
	global_load_b64 v[15:16], v[15:16], off offset:24
	s_waitcnt vmcnt(4)
	v_mul_f32_e64 v23, v20, -v33
	s_waitcnt vmcnt(3)
	v_sub_co_u32 v10, vcc_lo, v21, s20
	v_mul_f32_e32 v35, v34, v20
	v_subrev_co_ci_u32_e32 v11, vcc_lo, 0, v22, vcc_lo
	s_delay_alu instid0(VALU_DEP_3) | instskip(SKIP_3) | instid1(VALU_DEP_3)
	v_dual_fmac_f32 v23, v34, v19 :: v_dual_and_b32 v12, 7, v10
	s_waitcnt vmcnt(1)
	v_mov_b32_e32 v22, v13
	v_fmac_f32_e32 v35, v33, v19
	v_mov_b32_e32 v21, v12
	v_fmac_f32_e32 v23, v27, v17
	s_delay_alu instid0(VALU_DEP_3) | instskip(NEXT) | instid1(VALU_DEP_2)
	v_fmac_f32_e32 v35, v28, v17
	v_fma_f32 v36, -v28, v18, v23
	s_delay_alu instid0(VALU_DEP_2)
	v_fmac_f32_e32 v35, v27, v18
	s_branch .LBB127_30
.LBB127_29:                             ;   in Loop: Header=BB127_30 Depth=3
	s_or_b32 exec_lo, exec_lo, s41
	s_xor_b32 s41, s44, -1
	s_delay_alu instid0(SALU_CYCLE_1) | instskip(NEXT) | instid1(SALU_CYCLE_1)
	s_and_b32 s41, exec_lo, s41
	s_or_b32 s40, s41, s40
	s_delay_alu instid0(SALU_CYCLE_1)
	s_and_not1_b32 exec_lo, exec_lo, s40
	s_cbranch_execz .LBB127_40
.LBB127_30:                             ;   Parent Loop BB127_25 Depth=1
                                        ;     Parent Loop BB127_28 Depth=2
                                        ; =>    This Inner Loop Header: Depth=3
	v_lshl_add_u32 v37, v21, 3, v24
	s_mov_b32 s41, exec_lo
                                        ; implicit-def: $sgpr44
	ds_load_b64 v[22:23], v37
	s_waitcnt lgkmcnt(0)
	v_cmpx_ne_u64_e64 v[22:23], v[10:11]
	s_xor_b32 s41, exec_lo, s41
	s_cbranch_execz .LBB127_38
; %bb.31:                               ;   in Loop: Header=BB127_30 Depth=3
	s_mov_b32 s45, exec_lo
                                        ; implicit-def: $sgpr44
	v_cmpx_ne_u64_e64 s[42:43], v[22:23]
	s_xor_b32 s45, exec_lo, s45
; %bb.32:                               ;   in Loop: Header=BB127_30 Depth=3
	v_add_nc_u32_e32 v21, 1, v21
	s_mov_b32 s44, -1
                                        ; implicit-def: $vgpr37
	s_delay_alu instid0(VALU_DEP_1)
	v_and_b32_e32 v21, 7, v21
; %bb.33:                               ;   in Loop: Header=BB127_30 Depth=3
	s_and_not1_saveexec_b32 s45, s45
	s_cbranch_execz .LBB127_37
; %bb.34:                               ;   in Loop: Header=BB127_30 Depth=3
	v_dual_mov_b32 v22, s42 :: v_dual_mov_b32 v23, s43
	s_mov_b32 s46, -1
	s_mov_b32 s47, exec_lo
	ds_cmpstore_rtn_b64 v[22:23], v37, v[10:11], v[22:23]
	s_waitcnt lgkmcnt(0)
	v_cmpx_eq_u64_e64 s[42:43], v[22:23]
	s_cbranch_execz .LBB127_36
; %bb.35:                               ;   in Loop: Header=BB127_30 Depth=3
	v_lshl_add_u32 v22, v21, 5, v26
	s_xor_b32 s46, exec_lo, -1
	ds_add_f32 v22, v36
	ds_add_f32 v22, v35 offset:4
.LBB127_36:                             ;   in Loop: Header=BB127_30 Depth=3
	s_or_b32 exec_lo, exec_lo, s47
	s_delay_alu instid0(SALU_CYCLE_1) | instskip(SKIP_1) | instid1(SALU_CYCLE_1)
	s_and_not1_b32 s44, s44, exec_lo
	s_and_b32 s46, s46, exec_lo
	s_or_b32 s44, s44, s46
.LBB127_37:                             ;   in Loop: Header=BB127_30 Depth=3
	s_or_b32 exec_lo, exec_lo, s45
	s_delay_alu instid0(SALU_CYCLE_1)
	s_and_b32 s44, s44, exec_lo
.LBB127_38:                             ;   in Loop: Header=BB127_30 Depth=3
	s_and_not1_saveexec_b32 s41, s41
	s_cbranch_execz .LBB127_29
; %bb.39:                               ;   in Loop: Header=BB127_30 Depth=3
	v_lshl_add_u32 v22, v21, 5, v26
	s_and_not1_b32 s44, s44, exec_lo
	ds_add_f32 v22, v36
	ds_add_f32 v22, v35 offset:4
	s_branch .LBB127_29
.LBB127_40:                             ;   in Loop: Header=BB127_28 Depth=2
	s_or_b32 exec_lo, exec_lo, s40
	s_waitcnt vmcnt(0)
	v_mul_f32_e64 v21, v16, -v33
	v_mul_f32_e32 v35, v34, v16
	s_mov_b32 s40, 0
	s_delay_alu instid0(VALU_DEP_2) | instskip(NEXT) | instid1(VALU_DEP_1)
	v_fmac_f32_e32 v21, v34, v15
	v_fmac_f32_e32 v21, v27, v13
	s_delay_alu instid0(VALU_DEP_1) | instskip(SKIP_3) | instid1(VALU_DEP_2)
	v_fma_f32 v36, -v28, v14, v21
	v_mov_b32_e32 v22, v13
	v_fmac_f32_e32 v35, v33, v15
	v_mov_b32_e32 v21, v12
	v_fmac_f32_e32 v35, v28, v13
	s_delay_alu instid0(VALU_DEP_1)
	v_fmac_f32_e32 v35, v27, v14
	s_branch .LBB127_42
.LBB127_41:                             ;   in Loop: Header=BB127_42 Depth=3
	s_or_b32 exec_lo, exec_lo, s41
	s_xor_b32 s41, s44, -1
	s_delay_alu instid0(SALU_CYCLE_1) | instskip(NEXT) | instid1(SALU_CYCLE_1)
	s_and_b32 s41, exec_lo, s41
	s_or_b32 s40, s41, s40
	s_delay_alu instid0(SALU_CYCLE_1)
	s_and_not1_b32 exec_lo, exec_lo, s40
	s_cbranch_execz .LBB127_52
.LBB127_42:                             ;   Parent Loop BB127_25 Depth=1
                                        ;     Parent Loop BB127_28 Depth=2
                                        ; =>    This Inner Loop Header: Depth=3
	s_delay_alu instid0(VALU_DEP_3)
	v_lshl_add_u32 v37, v21, 3, v24
	s_mov_b32 s41, exec_lo
                                        ; implicit-def: $sgpr44
	ds_load_b64 v[22:23], v37
	s_waitcnt lgkmcnt(0)
	v_cmpx_ne_u64_e64 v[22:23], v[10:11]
	s_xor_b32 s41, exec_lo, s41
	s_cbranch_execz .LBB127_50
; %bb.43:                               ;   in Loop: Header=BB127_42 Depth=3
	s_mov_b32 s45, exec_lo
                                        ; implicit-def: $sgpr44
	v_cmpx_ne_u64_e64 s[42:43], v[22:23]
	s_xor_b32 s45, exec_lo, s45
; %bb.44:                               ;   in Loop: Header=BB127_42 Depth=3
	v_add_nc_u32_e32 v21, 1, v21
	s_mov_b32 s44, -1
                                        ; implicit-def: $vgpr37
	s_delay_alu instid0(VALU_DEP_1)
	v_and_b32_e32 v21, 7, v21
; %bb.45:                               ;   in Loop: Header=BB127_42 Depth=3
	s_and_not1_saveexec_b32 s45, s45
	s_cbranch_execz .LBB127_49
; %bb.46:                               ;   in Loop: Header=BB127_42 Depth=3
	v_dual_mov_b32 v22, s42 :: v_dual_mov_b32 v23, s43
	s_mov_b32 s46, -1
	s_mov_b32 s47, exec_lo
	ds_cmpstore_rtn_b64 v[22:23], v37, v[10:11], v[22:23]
	s_waitcnt lgkmcnt(0)
	v_cmpx_eq_u64_e64 s[42:43], v[22:23]
	s_cbranch_execz .LBB127_48
; %bb.47:                               ;   in Loop: Header=BB127_42 Depth=3
	v_lshl_add_u32 v22, v21, 5, v26
	s_xor_b32 s46, exec_lo, -1
	ds_add_f32 v22, v36 offset:8
	ds_add_f32 v22, v35 offset:12
.LBB127_48:                             ;   in Loop: Header=BB127_42 Depth=3
	s_or_b32 exec_lo, exec_lo, s47
	s_delay_alu instid0(SALU_CYCLE_1) | instskip(SKIP_1) | instid1(SALU_CYCLE_1)
	s_and_not1_b32 s44, s44, exec_lo
	s_and_b32 s46, s46, exec_lo
	s_or_b32 s44, s44, s46
.LBB127_49:                             ;   in Loop: Header=BB127_42 Depth=3
	s_or_b32 exec_lo, exec_lo, s45
	s_delay_alu instid0(SALU_CYCLE_1)
	s_and_b32 s44, s44, exec_lo
.LBB127_50:                             ;   in Loop: Header=BB127_42 Depth=3
	s_and_not1_saveexec_b32 s41, s41
	s_cbranch_execz .LBB127_41
; %bb.51:                               ;   in Loop: Header=BB127_42 Depth=3
	v_lshl_add_u32 v22, v21, 5, v26
	s_and_not1_b32 s44, s44, exec_lo
	ds_add_f32 v22, v36 offset:8
	ds_add_f32 v22, v35 offset:12
	s_branch .LBB127_41
.LBB127_52:                             ;   in Loop: Header=BB127_28 Depth=2
	s_or_b32 exec_lo, exec_lo, s40
	v_mul_f32_e64 v21, v20, -v31
	s_mov_b32 s40, 0
	s_delay_alu instid0(VALU_DEP_1) | instskip(NEXT) | instid1(VALU_DEP_1)
	v_fmac_f32_e32 v21, v32, v19
	v_dual_mul_f32 v20, v32, v20 :: v_dual_fmac_f32 v21, v29, v17
	s_delay_alu instid0(VALU_DEP_1) | instskip(NEXT) | instid1(VALU_DEP_2)
	v_fmac_f32_e32 v20, v31, v19
	v_fma_f32 v21, -v30, v18, v21
	s_delay_alu instid0(VALU_DEP_2) | instskip(NEXT) | instid1(VALU_DEP_1)
	v_fmac_f32_e32 v20, v30, v17
	v_fmac_f32_e32 v20, v29, v18
	v_dual_mov_b32 v18, v13 :: v_dual_mov_b32 v17, v12
	s_branch .LBB127_54
.LBB127_53:                             ;   in Loop: Header=BB127_54 Depth=3
	s_or_b32 exec_lo, exec_lo, s41
	s_xor_b32 s41, s44, -1
	s_delay_alu instid0(SALU_CYCLE_1) | instskip(NEXT) | instid1(SALU_CYCLE_1)
	s_and_b32 s41, exec_lo, s41
	s_or_b32 s40, s41, s40
	s_delay_alu instid0(SALU_CYCLE_1)
	s_and_not1_b32 exec_lo, exec_lo, s40
	s_cbranch_execz .LBB127_64
.LBB127_54:                             ;   Parent Loop BB127_25 Depth=1
                                        ;     Parent Loop BB127_28 Depth=2
                                        ; =>    This Inner Loop Header: Depth=3
	s_delay_alu instid0(VALU_DEP_1)
	v_lshl_add_u32 v22, v17, 3, v24
	s_mov_b32 s41, exec_lo
                                        ; implicit-def: $sgpr44
	ds_load_b64 v[18:19], v22
	s_waitcnt lgkmcnt(0)
	v_cmpx_ne_u64_e64 v[18:19], v[10:11]
	s_xor_b32 s41, exec_lo, s41
	s_cbranch_execz .LBB127_62
; %bb.55:                               ;   in Loop: Header=BB127_54 Depth=3
	s_mov_b32 s45, exec_lo
                                        ; implicit-def: $sgpr44
	v_cmpx_ne_u64_e64 s[42:43], v[18:19]
	s_xor_b32 s45, exec_lo, s45
; %bb.56:                               ;   in Loop: Header=BB127_54 Depth=3
	v_add_nc_u32_e32 v17, 1, v17
	s_mov_b32 s44, -1
                                        ; implicit-def: $vgpr22
	s_delay_alu instid0(VALU_DEP_1)
	v_and_b32_e32 v17, 7, v17
; %bb.57:                               ;   in Loop: Header=BB127_54 Depth=3
	s_and_not1_saveexec_b32 s45, s45
	s_cbranch_execz .LBB127_61
; %bb.58:                               ;   in Loop: Header=BB127_54 Depth=3
	v_dual_mov_b32 v18, s42 :: v_dual_mov_b32 v19, s43
	s_mov_b32 s46, -1
	s_mov_b32 s47, exec_lo
	ds_cmpstore_rtn_b64 v[18:19], v22, v[10:11], v[18:19]
	s_waitcnt lgkmcnt(0)
	v_cmpx_eq_u64_e64 s[42:43], v[18:19]
	s_cbranch_execz .LBB127_60
; %bb.59:                               ;   in Loop: Header=BB127_54 Depth=3
	v_lshl_add_u32 v18, v17, 5, v26
	s_xor_b32 s46, exec_lo, -1
	ds_add_f32 v18, v21 offset:16
	ds_add_f32 v18, v20 offset:20
.LBB127_60:                             ;   in Loop: Header=BB127_54 Depth=3
	s_or_b32 exec_lo, exec_lo, s47
	s_delay_alu instid0(SALU_CYCLE_1) | instskip(SKIP_1) | instid1(SALU_CYCLE_1)
	s_and_not1_b32 s44, s44, exec_lo
	s_and_b32 s46, s46, exec_lo
	s_or_b32 s44, s44, s46
.LBB127_61:                             ;   in Loop: Header=BB127_54 Depth=3
	s_or_b32 exec_lo, exec_lo, s45
	s_delay_alu instid0(SALU_CYCLE_1)
	s_and_b32 s44, s44, exec_lo
.LBB127_62:                             ;   in Loop: Header=BB127_54 Depth=3
	s_and_not1_saveexec_b32 s41, s41
	s_cbranch_execz .LBB127_53
; %bb.63:                               ;   in Loop: Header=BB127_54 Depth=3
	v_lshl_add_u32 v18, v17, 5, v26
	s_and_not1_b32 s44, s44, exec_lo
	ds_add_f32 v18, v21 offset:16
	ds_add_f32 v18, v20 offset:20
	s_branch .LBB127_53
.LBB127_64:                             ;   in Loop: Header=BB127_28 Depth=2
	s_or_b32 exec_lo, exec_lo, s40
	v_mul_f32_e64 v17, v16, -v31
	s_mov_b32 s40, 0
	s_delay_alu instid0(VALU_DEP_1) | instskip(NEXT) | instid1(VALU_DEP_1)
	v_fmac_f32_e32 v17, v32, v15
	v_dual_mul_f32 v16, v32, v16 :: v_dual_fmac_f32 v17, v29, v13
	s_delay_alu instid0(VALU_DEP_1) | instskip(NEXT) | instid1(VALU_DEP_2)
	v_fmac_f32_e32 v16, v31, v15
	v_fma_f32 v15, -v30, v14, v17
	s_delay_alu instid0(VALU_DEP_2) | instskip(NEXT) | instid1(VALU_DEP_1)
	v_fmac_f32_e32 v16, v30, v13
	v_fmac_f32_e32 v16, v29, v14
	s_branch .LBB127_66
.LBB127_65:                             ;   in Loop: Header=BB127_66 Depth=3
	s_or_b32 exec_lo, exec_lo, s41
	s_xor_b32 s41, s44, -1
	s_delay_alu instid0(SALU_CYCLE_1) | instskip(NEXT) | instid1(SALU_CYCLE_1)
	s_and_b32 s41, exec_lo, s41
	s_or_b32 s40, s41, s40
	s_delay_alu instid0(SALU_CYCLE_1)
	s_and_not1_b32 exec_lo, exec_lo, s40
	s_cbranch_execz .LBB127_27
.LBB127_66:                             ;   Parent Loop BB127_25 Depth=1
                                        ;     Parent Loop BB127_28 Depth=2
                                        ; =>    This Inner Loop Header: Depth=3
	v_lshl_add_u32 v17, v12, 3, v24
	s_mov_b32 s41, exec_lo
                                        ; implicit-def: $sgpr44
	ds_load_b64 v[13:14], v17
	s_waitcnt lgkmcnt(0)
	v_cmpx_ne_u64_e64 v[13:14], v[10:11]
	s_xor_b32 s41, exec_lo, s41
	s_cbranch_execz .LBB127_74
; %bb.67:                               ;   in Loop: Header=BB127_66 Depth=3
	s_mov_b32 s45, exec_lo
                                        ; implicit-def: $sgpr44
	v_cmpx_ne_u64_e64 s[42:43], v[13:14]
	s_xor_b32 s45, exec_lo, s45
; %bb.68:                               ;   in Loop: Header=BB127_66 Depth=3
	v_add_nc_u32_e32 v12, 1, v12
	s_mov_b32 s44, -1
                                        ; implicit-def: $vgpr17
	s_delay_alu instid0(VALU_DEP_1)
	v_and_b32_e32 v12, 7, v12
; %bb.69:                               ;   in Loop: Header=BB127_66 Depth=3
	s_and_not1_saveexec_b32 s45, s45
	s_cbranch_execz .LBB127_73
; %bb.70:                               ;   in Loop: Header=BB127_66 Depth=3
	v_dual_mov_b32 v13, s42 :: v_dual_mov_b32 v14, s43
	s_mov_b32 s46, -1
	s_mov_b32 s47, exec_lo
	ds_cmpstore_rtn_b64 v[13:14], v17, v[10:11], v[13:14]
	s_waitcnt lgkmcnt(0)
	v_cmpx_eq_u64_e64 s[42:43], v[13:14]
	s_cbranch_execz .LBB127_72
; %bb.71:                               ;   in Loop: Header=BB127_66 Depth=3
	v_lshl_add_u32 v13, v12, 5, v26
	s_xor_b32 s46, exec_lo, -1
	ds_add_f32 v13, v15 offset:24
	ds_add_f32 v13, v16 offset:28
.LBB127_72:                             ;   in Loop: Header=BB127_66 Depth=3
	s_or_b32 exec_lo, exec_lo, s47
	s_delay_alu instid0(SALU_CYCLE_1) | instskip(SKIP_1) | instid1(SALU_CYCLE_1)
	s_and_not1_b32 s44, s44, exec_lo
	s_and_b32 s46, s46, exec_lo
	s_or_b32 s44, s44, s46
.LBB127_73:                             ;   in Loop: Header=BB127_66 Depth=3
	s_or_b32 exec_lo, exec_lo, s45
	s_delay_alu instid0(SALU_CYCLE_1)
	s_and_b32 s44, s44, exec_lo
.LBB127_74:                             ;   in Loop: Header=BB127_66 Depth=3
	s_and_not1_saveexec_b32 s41, s41
	s_cbranch_execz .LBB127_65
; %bb.75:                               ;   in Loop: Header=BB127_66 Depth=3
	v_lshl_add_u32 v13, v12, 5, v26
	s_and_not1_b32 s44, s44, exec_lo
	ds_add_f32 v13, v15 offset:24
	ds_add_f32 v13, v16 offset:28
	s_branch .LBB127_65
.LBB127_76:
	s_or_b32 exec_lo, exec_lo, s1
	s_delay_alu instid0(SALU_CYCLE_1)
	s_and_not1_b32 vcc_lo, exec_lo, s35
	s_waitcnt lgkmcnt(0)
	buffer_gl0_inv
	s_cbranch_vccnz .LBB127_20
.LBB127_77:
	v_lshlrev_b64 v[0:1], 3, v[4:5]
	v_sub_co_u32 v2, s1, v25, s39
	s_delay_alu instid0(VALU_DEP_1) | instskip(SKIP_1) | instid1(VALU_DEP_3)
	v_sub_co_ci_u32_e64 v3, null, 0, 0, s1
	s_mov_b32 s1, 0
	v_add_co_u32 v0, vcc_lo, s22, v0
	s_delay_alu instid0(VALU_DEP_4)
	v_add_co_ci_u32_e32 v1, vcc_lo, s23, v1, vcc_lo
	s_mov_b32 s3, exec_lo
	global_load_b128 v[6:9], v[0:1], off
	s_waitcnt vmcnt(0)
	v_sub_co_u32 v0, vcc_lo, v8, s39
	v_subrev_co_ci_u32_e32 v1, vcc_lo, 0, v9, vcc_lo
	v_add_co_u32 v2, vcc_lo, v6, v2
	v_add_co_ci_u32_e32 v3, vcc_lo, v7, v3, vcc_lo
	s_delay_alu instid0(VALU_DEP_1)
	v_cmpx_lt_i64_e64 v[2:3], v[0:1]
	s_cbranch_execz .LBB127_128
; %bb.78:
	s_cmp_eq_u32 s0, 0
	s_mov_b32 s15, s39
	s_cselect_b32 s16, 1, 2
	s_cselect_b32 s17, 2, 1
	s_branch .LBB127_80
.LBB127_79:                             ;   in Loop: Header=BB127_80 Depth=1
	s_or_b32 exec_lo, exec_lo, s18
	v_add_co_u32 v2, vcc_lo, v2, 16
	v_add_co_ci_u32_e32 v3, vcc_lo, 0, v3, vcc_lo
	s_delay_alu instid0(VALU_DEP_1) | instskip(SKIP_1) | instid1(SALU_CYCLE_1)
	v_cmp_ge_i64_e32 vcc_lo, v[2:3], v[0:1]
	s_or_b32 s1, vcc_lo, s1
	s_and_not1_b32 exec_lo, exec_lo, s1
	s_cbranch_execz .LBB127_128
.LBB127_80:                             ; =>This Loop Header: Depth=1
                                        ;     Child Loop BB127_82 Depth 2
                                        ;     Child Loop BB127_94 Depth 2
	;; [unrolled: 1-line block ×4, first 2 shown]
	v_lshlrev_b64 v[6:7], 5, v[2:3]
	v_lshlrev_b64 v[8:9], 2, v[2:3]
	;; [unrolled: 1-line block ×3, first 2 shown]
	s_mov_b32 s18, 0
	s_delay_alu instid0(VALU_DEP_3) | instskip(NEXT) | instid1(VALU_DEP_3)
	v_add_co_u32 v6, vcc_lo, s6, v6
	v_or_b32_e32 v13, 0, v9
	s_delay_alu instid0(VALU_DEP_4)
	v_or_b32_e32 v12, s16, v8
	v_add_co_ci_u32_e32 v7, vcc_lo, s7, v7, vcc_lo
	v_add_co_u32 v10, vcc_lo, s4, v10
	v_or_b32_e32 v9, 0, v9
	v_or_b32_e32 v8, s17, v8
	v_add_co_ci_u32_e32 v11, vcc_lo, s5, v11, vcc_lo
	v_lshlrev_b64 v[12:13], 3, v[12:13]
	global_load_b64 v[15:16], v[10:11], off
	global_load_b64 v[20:21], v[6:7], off
	v_lshlrev_b64 v[8:9], 3, v[8:9]
	v_add_co_u32 v11, vcc_lo, s6, v12
	v_add_co_ci_u32_e32 v12, vcc_lo, s7, v13, vcc_lo
	s_delay_alu instid0(VALU_DEP_3) | instskip(NEXT) | instid1(VALU_DEP_4)
	v_add_co_u32 v17, vcc_lo, s6, v8
	v_add_co_ci_u32_e32 v18, vcc_lo, s7, v9, vcc_lo
	s_clause 0x2
	global_load_b64 v[9:10], v[6:7], off offset:24
	global_load_b64 v[13:14], v[11:12], off
	global_load_b64 v[11:12], v[17:18], off
	s_waitcnt vmcnt(4)
	v_sub_co_u32 v6, vcc_lo, v15, s15
	s_waitcnt vmcnt(3)
	v_mul_f32_e32 v19, s14, v21
	v_mul_f32_e64 v18, v21, -s33
	v_subrev_co_ci_u32_e32 v7, vcc_lo, 0, v16, vcc_lo
	s_delay_alu instid0(VALU_DEP_3) | instskip(NEXT) | instid1(VALU_DEP_3)
	v_dual_fmac_f32 v19, s33, v20 :: v_dual_and_b32 v8, 7, v6
	v_fmac_f32_e32 v18, s14, v20
	s_waitcnt vmcnt(2)
	s_delay_alu instid0(VALU_DEP_2)
	v_dual_mov_b32 v16, v9 :: v_dual_mov_b32 v15, v8
	s_branch .LBB127_82
.LBB127_81:                             ;   in Loop: Header=BB127_82 Depth=2
	s_or_b32 exec_lo, exec_lo, s19
	s_xor_b32 s19, s20, -1
	s_delay_alu instid0(SALU_CYCLE_1) | instskip(NEXT) | instid1(SALU_CYCLE_1)
	s_and_b32 s19, exec_lo, s19
	s_or_b32 s18, s19, s18
	s_delay_alu instid0(SALU_CYCLE_1)
	s_and_not1_b32 exec_lo, exec_lo, s18
	s_cbranch_execz .LBB127_92
.LBB127_82:                             ;   Parent Loop BB127_80 Depth=1
                                        ; =>  This Inner Loop Header: Depth=2
	s_delay_alu instid0(VALU_DEP_1)
	v_lshl_add_u32 v20, v15, 3, v24
	s_mov_b32 s19, exec_lo
                                        ; implicit-def: $sgpr20
	ds_load_b64 v[16:17], v20
	s_waitcnt lgkmcnt(0)
	v_cmpx_ne_u64_e64 v[16:17], v[6:7]
	s_xor_b32 s19, exec_lo, s19
	s_cbranch_execz .LBB127_90
; %bb.83:                               ;   in Loop: Header=BB127_82 Depth=2
	s_mov_b32 s21, exec_lo
                                        ; implicit-def: $sgpr20
	v_cmpx_ne_u64_e64 s[42:43], v[16:17]
	s_xor_b32 s21, exec_lo, s21
; %bb.84:                               ;   in Loop: Header=BB127_82 Depth=2
	v_add_nc_u32_e32 v15, 1, v15
	s_mov_b32 s20, -1
                                        ; implicit-def: $vgpr20
	s_delay_alu instid0(VALU_DEP_1)
	v_and_b32_e32 v15, 7, v15
; %bb.85:                               ;   in Loop: Header=BB127_82 Depth=2
	s_and_not1_saveexec_b32 s21, s21
	s_cbranch_execz .LBB127_89
; %bb.86:                               ;   in Loop: Header=BB127_82 Depth=2
	v_dual_mov_b32 v16, s42 :: v_dual_mov_b32 v17, s43
	s_mov_b32 s22, -1
	s_mov_b32 s23, exec_lo
	ds_cmpstore_rtn_b64 v[16:17], v20, v[6:7], v[16:17]
	s_waitcnt lgkmcnt(0)
	v_cmpx_eq_u64_e64 s[42:43], v[16:17]
	s_cbranch_execz .LBB127_88
; %bb.87:                               ;   in Loop: Header=BB127_82 Depth=2
	v_lshl_add_u32 v16, v15, 5, v26
	s_xor_b32 s22, exec_lo, -1
	ds_add_f32 v16, v18
	ds_add_f32 v16, v19 offset:4
.LBB127_88:                             ;   in Loop: Header=BB127_82 Depth=2
	s_or_b32 exec_lo, exec_lo, s23
	s_delay_alu instid0(SALU_CYCLE_1) | instskip(SKIP_1) | instid1(SALU_CYCLE_1)
	s_and_not1_b32 s20, s20, exec_lo
	s_and_b32 s22, s22, exec_lo
	s_or_b32 s20, s20, s22
.LBB127_89:                             ;   in Loop: Header=BB127_82 Depth=2
	s_or_b32 exec_lo, exec_lo, s21
	s_delay_alu instid0(SALU_CYCLE_1)
	s_and_b32 s20, s20, exec_lo
.LBB127_90:                             ;   in Loop: Header=BB127_82 Depth=2
	s_and_not1_saveexec_b32 s19, s19
	s_cbranch_execz .LBB127_81
; %bb.91:                               ;   in Loop: Header=BB127_82 Depth=2
	v_lshl_add_u32 v16, v15, 5, v26
	s_and_not1_b32 s20, s20, exec_lo
	ds_add_f32 v16, v18
	ds_add_f32 v16, v19 offset:4
	s_branch .LBB127_81
.LBB127_92:                             ;   in Loop: Header=BB127_80 Depth=1
	s_or_b32 exec_lo, exec_lo, s18
	s_waitcnt vmcnt(1)
	v_mul_f32_e64 v16, v14, -s33
	v_mul_f32_e32 v17, s14, v14
	s_mov_b32 s18, 0
	s_delay_alu instid0(VALU_DEP_2) | instskip(NEXT) | instid1(VALU_DEP_2)
	v_fmac_f32_e32 v16, s14, v13
	v_dual_fmac_f32 v17, s33, v13 :: v_dual_mov_b32 v14, v9
	v_mov_b32_e32 v13, v8
	s_branch .LBB127_94
.LBB127_93:                             ;   in Loop: Header=BB127_94 Depth=2
	s_or_b32 exec_lo, exec_lo, s19
	s_xor_b32 s19, s20, -1
	s_delay_alu instid0(SALU_CYCLE_1) | instskip(NEXT) | instid1(SALU_CYCLE_1)
	s_and_b32 s19, exec_lo, s19
	s_or_b32 s18, s19, s18
	s_delay_alu instid0(SALU_CYCLE_1)
	s_and_not1_b32 exec_lo, exec_lo, s18
	s_cbranch_execz .LBB127_104
.LBB127_94:                             ;   Parent Loop BB127_80 Depth=1
                                        ; =>  This Inner Loop Header: Depth=2
	s_delay_alu instid0(VALU_DEP_1)
	v_lshl_add_u32 v18, v13, 3, v24
	s_mov_b32 s19, exec_lo
                                        ; implicit-def: $sgpr20
	ds_load_b64 v[14:15], v18
	s_waitcnt lgkmcnt(0)
	v_cmpx_ne_u64_e64 v[14:15], v[6:7]
	s_xor_b32 s19, exec_lo, s19
	s_cbranch_execz .LBB127_102
; %bb.95:                               ;   in Loop: Header=BB127_94 Depth=2
	s_mov_b32 s21, exec_lo
                                        ; implicit-def: $sgpr20
	v_cmpx_ne_u64_e64 s[42:43], v[14:15]
	s_xor_b32 s21, exec_lo, s21
; %bb.96:                               ;   in Loop: Header=BB127_94 Depth=2
	v_add_nc_u32_e32 v13, 1, v13
	s_mov_b32 s20, -1
                                        ; implicit-def: $vgpr18
	s_delay_alu instid0(VALU_DEP_1)
	v_and_b32_e32 v13, 7, v13
; %bb.97:                               ;   in Loop: Header=BB127_94 Depth=2
	s_and_not1_saveexec_b32 s21, s21
	s_cbranch_execz .LBB127_101
; %bb.98:                               ;   in Loop: Header=BB127_94 Depth=2
	v_dual_mov_b32 v14, s42 :: v_dual_mov_b32 v15, s43
	s_mov_b32 s22, -1
	s_mov_b32 s23, exec_lo
	ds_cmpstore_rtn_b64 v[14:15], v18, v[6:7], v[14:15]
	s_waitcnt lgkmcnt(0)
	v_cmpx_eq_u64_e64 s[42:43], v[14:15]
	s_cbranch_execz .LBB127_100
; %bb.99:                               ;   in Loop: Header=BB127_94 Depth=2
	v_lshl_add_u32 v14, v13, 5, v26
	s_xor_b32 s22, exec_lo, -1
	ds_add_f32 v14, v16 offset:8
	ds_add_f32 v14, v17 offset:12
.LBB127_100:                            ;   in Loop: Header=BB127_94 Depth=2
	s_or_b32 exec_lo, exec_lo, s23
	s_delay_alu instid0(SALU_CYCLE_1) | instskip(SKIP_1) | instid1(SALU_CYCLE_1)
	s_and_not1_b32 s20, s20, exec_lo
	s_and_b32 s22, s22, exec_lo
	s_or_b32 s20, s20, s22
.LBB127_101:                            ;   in Loop: Header=BB127_94 Depth=2
	s_or_b32 exec_lo, exec_lo, s21
	s_delay_alu instid0(SALU_CYCLE_1)
	s_and_b32 s20, s20, exec_lo
.LBB127_102:                            ;   in Loop: Header=BB127_94 Depth=2
	s_and_not1_saveexec_b32 s19, s19
	s_cbranch_execz .LBB127_93
; %bb.103:                              ;   in Loop: Header=BB127_94 Depth=2
	v_lshl_add_u32 v14, v13, 5, v26
	s_and_not1_b32 s20, s20, exec_lo
	ds_add_f32 v14, v16 offset:8
	ds_add_f32 v14, v17 offset:12
	s_branch .LBB127_93
.LBB127_104:                            ;   in Loop: Header=BB127_80 Depth=1
	s_or_b32 exec_lo, exec_lo, s18
	s_waitcnt vmcnt(0)
	v_mul_f32_e64 v14, v12, -s33
	v_mul_f32_e32 v15, s14, v12
	s_mov_b32 s18, 0
	s_delay_alu instid0(VALU_DEP_2) | instskip(NEXT) | instid1(VALU_DEP_2)
	v_fmac_f32_e32 v14, s14, v11
	v_dual_fmac_f32 v15, s33, v11 :: v_dual_mov_b32 v12, v9
	v_mov_b32_e32 v11, v8
	s_branch .LBB127_106
.LBB127_105:                            ;   in Loop: Header=BB127_106 Depth=2
	s_or_b32 exec_lo, exec_lo, s19
	s_xor_b32 s19, s20, -1
	s_delay_alu instid0(SALU_CYCLE_1) | instskip(NEXT) | instid1(SALU_CYCLE_1)
	s_and_b32 s19, exec_lo, s19
	s_or_b32 s18, s19, s18
	s_delay_alu instid0(SALU_CYCLE_1)
	s_and_not1_b32 exec_lo, exec_lo, s18
	s_cbranch_execz .LBB127_116
.LBB127_106:                            ;   Parent Loop BB127_80 Depth=1
                                        ; =>  This Inner Loop Header: Depth=2
	s_delay_alu instid0(VALU_DEP_1)
	v_lshl_add_u32 v16, v11, 3, v24
	s_mov_b32 s19, exec_lo
                                        ; implicit-def: $sgpr20
	ds_load_b64 v[12:13], v16
	s_waitcnt lgkmcnt(0)
	v_cmpx_ne_u64_e64 v[12:13], v[6:7]
	s_xor_b32 s19, exec_lo, s19
	s_cbranch_execz .LBB127_114
; %bb.107:                              ;   in Loop: Header=BB127_106 Depth=2
	s_mov_b32 s21, exec_lo
                                        ; implicit-def: $sgpr20
	v_cmpx_ne_u64_e64 s[42:43], v[12:13]
	s_xor_b32 s21, exec_lo, s21
; %bb.108:                              ;   in Loop: Header=BB127_106 Depth=2
	v_add_nc_u32_e32 v11, 1, v11
	s_mov_b32 s20, -1
                                        ; implicit-def: $vgpr16
	s_delay_alu instid0(VALU_DEP_1)
	v_and_b32_e32 v11, 7, v11
; %bb.109:                              ;   in Loop: Header=BB127_106 Depth=2
	s_and_not1_saveexec_b32 s21, s21
	s_cbranch_execz .LBB127_113
; %bb.110:                              ;   in Loop: Header=BB127_106 Depth=2
	v_dual_mov_b32 v12, s42 :: v_dual_mov_b32 v13, s43
	s_mov_b32 s22, -1
	s_mov_b32 s23, exec_lo
	ds_cmpstore_rtn_b64 v[12:13], v16, v[6:7], v[12:13]
	s_waitcnt lgkmcnt(0)
	v_cmpx_eq_u64_e64 s[42:43], v[12:13]
	s_cbranch_execz .LBB127_112
; %bb.111:                              ;   in Loop: Header=BB127_106 Depth=2
	v_lshl_add_u32 v12, v11, 5, v26
	s_xor_b32 s22, exec_lo, -1
	ds_add_f32 v12, v14 offset:16
	ds_add_f32 v12, v15 offset:20
.LBB127_112:                            ;   in Loop: Header=BB127_106 Depth=2
	s_or_b32 exec_lo, exec_lo, s23
	s_delay_alu instid0(SALU_CYCLE_1) | instskip(SKIP_1) | instid1(SALU_CYCLE_1)
	s_and_not1_b32 s20, s20, exec_lo
	s_and_b32 s22, s22, exec_lo
	s_or_b32 s20, s20, s22
.LBB127_113:                            ;   in Loop: Header=BB127_106 Depth=2
	s_or_b32 exec_lo, exec_lo, s21
	s_delay_alu instid0(SALU_CYCLE_1)
	s_and_b32 s20, s20, exec_lo
.LBB127_114:                            ;   in Loop: Header=BB127_106 Depth=2
	s_and_not1_saveexec_b32 s19, s19
	s_cbranch_execz .LBB127_105
; %bb.115:                              ;   in Loop: Header=BB127_106 Depth=2
	v_lshl_add_u32 v12, v11, 5, v26
	s_and_not1_b32 s20, s20, exec_lo
	ds_add_f32 v12, v14 offset:16
	ds_add_f32 v12, v15 offset:20
	s_branch .LBB127_105
.LBB127_116:                            ;   in Loop: Header=BB127_80 Depth=1
	s_or_b32 exec_lo, exec_lo, s18
	v_mul_f32_e64 v11, v10, -s33
	v_mul_f32_e32 v12, s14, v10
	s_mov_b32 s18, 0
	s_delay_alu instid0(VALU_DEP_2) | instskip(NEXT) | instid1(VALU_DEP_2)
	v_fmac_f32_e32 v11, s14, v9
	v_fmac_f32_e32 v12, s33, v9
	s_branch .LBB127_118
.LBB127_117:                            ;   in Loop: Header=BB127_118 Depth=2
	s_or_b32 exec_lo, exec_lo, s19
	s_xor_b32 s19, s20, -1
	s_delay_alu instid0(SALU_CYCLE_1) | instskip(NEXT) | instid1(SALU_CYCLE_1)
	s_and_b32 s19, exec_lo, s19
	s_or_b32 s18, s19, s18
	s_delay_alu instid0(SALU_CYCLE_1)
	s_and_not1_b32 exec_lo, exec_lo, s18
	s_cbranch_execz .LBB127_79
.LBB127_118:                            ;   Parent Loop BB127_80 Depth=1
                                        ; =>  This Inner Loop Header: Depth=2
	v_lshl_add_u32 v13, v8, 3, v24
	s_mov_b32 s19, exec_lo
                                        ; implicit-def: $sgpr20
	ds_load_b64 v[9:10], v13
	s_waitcnt lgkmcnt(0)
	v_cmpx_ne_u64_e64 v[9:10], v[6:7]
	s_xor_b32 s19, exec_lo, s19
	s_cbranch_execz .LBB127_126
; %bb.119:                              ;   in Loop: Header=BB127_118 Depth=2
	s_mov_b32 s21, exec_lo
                                        ; implicit-def: $sgpr20
	v_cmpx_ne_u64_e64 s[42:43], v[9:10]
	s_xor_b32 s21, exec_lo, s21
; %bb.120:                              ;   in Loop: Header=BB127_118 Depth=2
	v_add_nc_u32_e32 v8, 1, v8
	s_mov_b32 s20, -1
                                        ; implicit-def: $vgpr13
	s_delay_alu instid0(VALU_DEP_1)
	v_and_b32_e32 v8, 7, v8
; %bb.121:                              ;   in Loop: Header=BB127_118 Depth=2
	s_and_not1_saveexec_b32 s21, s21
	s_cbranch_execz .LBB127_125
; %bb.122:                              ;   in Loop: Header=BB127_118 Depth=2
	v_dual_mov_b32 v9, s42 :: v_dual_mov_b32 v10, s43
	s_mov_b32 s22, -1
	s_mov_b32 s23, exec_lo
	ds_cmpstore_rtn_b64 v[9:10], v13, v[6:7], v[9:10]
	s_waitcnt lgkmcnt(0)
	v_cmpx_eq_u64_e64 s[42:43], v[9:10]
	s_cbranch_execz .LBB127_124
; %bb.123:                              ;   in Loop: Header=BB127_118 Depth=2
	v_lshl_add_u32 v9, v8, 5, v26
	s_xor_b32 s22, exec_lo, -1
	ds_add_f32 v9, v11 offset:24
	ds_add_f32 v9, v12 offset:28
.LBB127_124:                            ;   in Loop: Header=BB127_118 Depth=2
	s_or_b32 exec_lo, exec_lo, s23
	s_delay_alu instid0(SALU_CYCLE_1) | instskip(SKIP_1) | instid1(SALU_CYCLE_1)
	s_and_not1_b32 s20, s20, exec_lo
	s_and_b32 s22, s22, exec_lo
	s_or_b32 s20, s20, s22
.LBB127_125:                            ;   in Loop: Header=BB127_118 Depth=2
	s_or_b32 exec_lo, exec_lo, s21
	s_delay_alu instid0(SALU_CYCLE_1)
	s_and_b32 s20, s20, exec_lo
.LBB127_126:                            ;   in Loop: Header=BB127_118 Depth=2
	s_and_not1_saveexec_b32 s19, s19
	s_cbranch_execz .LBB127_117
; %bb.127:                              ;   in Loop: Header=BB127_118 Depth=2
	v_lshl_add_u32 v9, v8, 5, v26
	s_and_not1_b32 s20, s20, exec_lo
	ds_add_f32 v9, v11 offset:24
	ds_add_f32 v9, v12 offset:28
	s_branch .LBB127_117
.LBB127_128:
	s_or_b32 exec_lo, exec_lo, s3
	s_waitcnt lgkmcnt(0)
	buffer_gl0_inv
	s_and_b32 exec_lo, exec_lo, s2
	s_cbranch_execz .LBB127_21
.LBB127_129:
	v_lshl_add_u32 v0, v25, 3, v24
	ds_load_b64 v[0:1], v0
	s_waitcnt lgkmcnt(0)
	v_cmp_gt_i64_e32 vcc_lo, s[42:43], v[0:1]
	s_and_b32 exec_lo, exec_lo, vcc_lo
	s_cbranch_execz .LBB127_21
; %bb.130:
	v_lshlrev_b64 v[2:3], 3, v[4:5]
	v_lshl_add_u32 v18, v25, 5, v26
	s_cmp_eq_u32 s0, 0
	ds_load_b128 v[6:9], v24 offset:16
	s_cselect_b32 s0, 1, 2
	v_add_co_u32 v2, vcc_lo, s8, v2
	v_add_co_ci_u32_e32 v3, vcc_lo, s9, v3, vcc_lo
	global_load_b64 v[22:23], v[2:3], off
	ds_load_b128 v[2:5], v24
	ds_load_b128 v[10:13], v24 offset:32
	ds_load_b128 v[14:17], v24 offset:48
	ds_load_2addr_b64 v[18:21], v18 offset1:3
	v_lshlrev_b32_e32 v27, 2, v25
	s_waitcnt lgkmcnt(3)
	v_cmp_gt_i64_e32 vcc_lo, v[0:1], v[2:3]
	v_cndmask_b32_e64 v2, 0, 1, vcc_lo
	s_waitcnt vmcnt(0)
	v_sub_co_u32 v3, vcc_lo, v22, s38
	v_subrev_co_ci_u32_e32 v22, vcc_lo, 0, v23, vcc_lo
	v_cmp_gt_i64_e32 vcc_lo, v[0:1], v[4:5]
	v_cndmask_b32_e64 v4, 0, 1, vcc_lo
	s_delay_alu instid0(VALU_DEP_4) | instskip(NEXT) | instid1(VALU_DEP_4)
	v_add_co_u32 v2, vcc_lo, v3, v2
	v_add_co_ci_u32_e32 v3, vcc_lo, 0, v22, vcc_lo
	v_cmp_gt_i64_e32 vcc_lo, v[0:1], v[6:7]
	v_cndmask_b32_e64 v5, 0, 1, vcc_lo
	s_delay_alu instid0(VALU_DEP_4) | instskip(NEXT) | instid1(VALU_DEP_4)
	v_add_co_u32 v2, vcc_lo, v2, v4
	v_add_co_ci_u32_e32 v3, vcc_lo, 0, v3, vcc_lo
	v_cmp_gt_i64_e32 vcc_lo, v[0:1], v[8:9]
	v_cndmask_b32_e64 v4, 0, 1, vcc_lo
	s_delay_alu instid0(VALU_DEP_4) | instskip(NEXT) | instid1(VALU_DEP_4)
	v_add_co_u32 v2, vcc_lo, v2, v5
	v_add_co_ci_u32_e32 v3, vcc_lo, 0, v3, vcc_lo
	s_waitcnt lgkmcnt(2)
	v_cmp_gt_i64_e32 vcc_lo, v[0:1], v[10:11]
	v_cndmask_b32_e64 v5, 0, 1, vcc_lo
	v_add_co_u32 v2, vcc_lo, v2, v4
	v_add_co_ci_u32_e32 v3, vcc_lo, 0, v3, vcc_lo
	v_cmp_gt_i64_e32 vcc_lo, v[0:1], v[12:13]
	v_cndmask_b32_e64 v4, 0, 1, vcc_lo
	s_delay_alu instid0(VALU_DEP_4) | instskip(NEXT) | instid1(VALU_DEP_4)
	v_add_co_u32 v2, vcc_lo, v2, v5
	v_add_co_ci_u32_e32 v3, vcc_lo, 0, v3, vcc_lo
	s_waitcnt lgkmcnt(1)
	v_cmp_gt_i64_e32 vcc_lo, v[0:1], v[14:15]
	v_cndmask_b32_e64 v5, 0, 1, vcc_lo
	v_add_co_u32 v2, vcc_lo, v2, v4
	v_add_co_ci_u32_e32 v3, vcc_lo, 0, v3, vcc_lo
	v_cmp_gt_i64_e32 vcc_lo, v[0:1], v[16:17]
	v_cndmask_b32_e64 v4, 0, 1, vcc_lo
	s_delay_alu instid0(VALU_DEP_4) | instskip(NEXT) | instid1(VALU_DEP_4)
	v_add_co_u32 v2, vcc_lo, v2, v5
	v_add_co_ci_u32_e32 v3, vcc_lo, 0, v3, vcc_lo
	s_delay_alu instid0(VALU_DEP_2)
	v_add_co_u32 v6, vcc_lo, v2, v4
	s_waitcnt lgkmcnt(0)
	v_mov_b32_e32 v2, v18
	v_or_b32_e32 v25, s0, v27
	s_cselect_b32 s0, 2, 1
	v_add_co_ci_u32_e32 v7, vcc_lo, 0, v3, vcc_lo
	v_or_b32_e32 v24, s0, v27
	s_delay_alu instid0(VALU_DEP_3) | instskip(SKIP_2) | instid1(VALU_DEP_4)
	v_lshl_add_u32 v25, v25, 3, v26
	v_mov_b32_e32 v3, v19
	v_add_co_u32 v0, vcc_lo, v0, s38
	v_lshl_add_u32 v8, v24, 3, v26
	ds_load_b64 v[4:5], v25
	ds_load_b64 v[18:19], v8
	v_lshlrev_b64 v[8:9], 3, v[6:7]
	v_lshlrev_b64 v[6:7], 5, v[6:7]
	v_add_co_ci_u32_e32 v1, vcc_lo, 0, v1, vcc_lo
	s_delay_alu instid0(VALU_DEP_3) | instskip(NEXT) | instid1(VALU_DEP_4)
	v_add_co_u32 v8, vcc_lo, s10, v8
	v_add_co_ci_u32_e32 v9, vcc_lo, s11, v9, vcc_lo
	s_delay_alu instid0(VALU_DEP_4)
	v_add_co_u32 v6, vcc_lo, s12, v6
	v_add_co_ci_u32_e32 v7, vcc_lo, s13, v7, vcc_lo
	global_store_b64 v[8:9], v[0:1], off
	s_waitcnt lgkmcnt(1)
	global_store_b128 v[6:7], v[2:5], off
	s_waitcnt lgkmcnt(0)
	global_store_b128 v[6:7], v[18:21], off offset:16
	s_nop 0
	s_sendmsg sendmsg(MSG_DEALLOC_VGPRS)
	s_endpgm
	.section	.rodata,"a",@progbits
	.p2align	6, 0x0
	.amdhsa_kernel _ZN9rocsparseL27bsrgemm_fill_wf_per_row_2x2ILj256ELj16ELj8ELj137Ell21rocsparse_complex_numIfEEEv20rocsparse_direction_T4_S4_PKS4_S6_NS_24const_host_device_scalarIT5_EEPKT3_S6_PKS8_SC_S6_SE_S9_SC_S6_SE_SC_PS4_PS8_21rocsparse_index_base_SH_SH_SH_bbb
		.amdhsa_group_segment_fixed_size 5120
		.amdhsa_private_segment_fixed_size 0
		.amdhsa_kernarg_size 172
		.amdhsa_user_sgpr_count 15
		.amdhsa_user_sgpr_dispatch_ptr 0
		.amdhsa_user_sgpr_queue_ptr 0
		.amdhsa_user_sgpr_kernarg_segment_ptr 1
		.amdhsa_user_sgpr_dispatch_id 0
		.amdhsa_user_sgpr_private_segment_size 0
		.amdhsa_wavefront_size32 1
		.amdhsa_uses_dynamic_stack 0
		.amdhsa_enable_private_segment 0
		.amdhsa_system_sgpr_workgroup_id_x 1
		.amdhsa_system_sgpr_workgroup_id_y 0
		.amdhsa_system_sgpr_workgroup_id_z 0
		.amdhsa_system_sgpr_workgroup_info 0
		.amdhsa_system_vgpr_workitem_id 0
		.amdhsa_next_free_vgpr 38
		.amdhsa_next_free_sgpr 49
		.amdhsa_reserve_vcc 1
		.amdhsa_float_round_mode_32 0
		.amdhsa_float_round_mode_16_64 0
		.amdhsa_float_denorm_mode_32 3
		.amdhsa_float_denorm_mode_16_64 3
		.amdhsa_dx10_clamp 1
		.amdhsa_ieee_mode 1
		.amdhsa_fp16_overflow 0
		.amdhsa_workgroup_processor_mode 1
		.amdhsa_memory_ordered 1
		.amdhsa_forward_progress 0
		.amdhsa_shared_vgpr_count 0
		.amdhsa_exception_fp_ieee_invalid_op 0
		.amdhsa_exception_fp_denorm_src 0
		.amdhsa_exception_fp_ieee_div_zero 0
		.amdhsa_exception_fp_ieee_overflow 0
		.amdhsa_exception_fp_ieee_underflow 0
		.amdhsa_exception_fp_ieee_inexact 0
		.amdhsa_exception_int_div_zero 0
	.end_amdhsa_kernel
	.section	.text._ZN9rocsparseL27bsrgemm_fill_wf_per_row_2x2ILj256ELj16ELj8ELj137Ell21rocsparse_complex_numIfEEEv20rocsparse_direction_T4_S4_PKS4_S6_NS_24const_host_device_scalarIT5_EEPKT3_S6_PKS8_SC_S6_SE_S9_SC_S6_SE_SC_PS4_PS8_21rocsparse_index_base_SH_SH_SH_bbb,"axG",@progbits,_ZN9rocsparseL27bsrgemm_fill_wf_per_row_2x2ILj256ELj16ELj8ELj137Ell21rocsparse_complex_numIfEEEv20rocsparse_direction_T4_S4_PKS4_S6_NS_24const_host_device_scalarIT5_EEPKT3_S6_PKS8_SC_S6_SE_S9_SC_S6_SE_SC_PS4_PS8_21rocsparse_index_base_SH_SH_SH_bbb,comdat
.Lfunc_end127:
	.size	_ZN9rocsparseL27bsrgemm_fill_wf_per_row_2x2ILj256ELj16ELj8ELj137Ell21rocsparse_complex_numIfEEEv20rocsparse_direction_T4_S4_PKS4_S6_NS_24const_host_device_scalarIT5_EEPKT3_S6_PKS8_SC_S6_SE_S9_SC_S6_SE_SC_PS4_PS8_21rocsparse_index_base_SH_SH_SH_bbb, .Lfunc_end127-_ZN9rocsparseL27bsrgemm_fill_wf_per_row_2x2ILj256ELj16ELj8ELj137Ell21rocsparse_complex_numIfEEEv20rocsparse_direction_T4_S4_PKS4_S6_NS_24const_host_device_scalarIT5_EEPKT3_S6_PKS8_SC_S6_SE_S9_SC_S6_SE_SC_PS4_PS8_21rocsparse_index_base_SH_SH_SH_bbb
                                        ; -- End function
	.section	.AMDGPU.csdata,"",@progbits
; Kernel info:
; codeLenInByte = 4764
; NumSgprs: 51
; NumVgprs: 38
; ScratchSize: 0
; MemoryBound: 0
; FloatMode: 240
; IeeeMode: 1
; LDSByteSize: 5120 bytes/workgroup (compile time only)
; SGPRBlocks: 6
; VGPRBlocks: 4
; NumSGPRsForWavesPerEU: 51
; NumVGPRsForWavesPerEU: 38
; Occupancy: 16
; WaveLimiterHint : 1
; COMPUTE_PGM_RSRC2:SCRATCH_EN: 0
; COMPUTE_PGM_RSRC2:USER_SGPR: 15
; COMPUTE_PGM_RSRC2:TRAP_HANDLER: 0
; COMPUTE_PGM_RSRC2:TGID_X_EN: 1
; COMPUTE_PGM_RSRC2:TGID_Y_EN: 0
; COMPUTE_PGM_RSRC2:TGID_Z_EN: 0
; COMPUTE_PGM_RSRC2:TIDIG_COMP_CNT: 0
	.section	.text._ZN9rocsparseL27bsrgemm_fill_wf_per_row_2x2ILj256ELj16ELj16ELj137Ell21rocsparse_complex_numIfEEEv20rocsparse_direction_T4_S4_PKS4_S6_NS_24const_host_device_scalarIT5_EEPKT3_S6_PKS8_SC_S6_SE_S9_SC_S6_SE_SC_PS4_PS8_21rocsparse_index_base_SH_SH_SH_bbb,"axG",@progbits,_ZN9rocsparseL27bsrgemm_fill_wf_per_row_2x2ILj256ELj16ELj16ELj137Ell21rocsparse_complex_numIfEEEv20rocsparse_direction_T4_S4_PKS4_S6_NS_24const_host_device_scalarIT5_EEPKT3_S6_PKS8_SC_S6_SE_S9_SC_S6_SE_SC_PS4_PS8_21rocsparse_index_base_SH_SH_SH_bbb,comdat
	.globl	_ZN9rocsparseL27bsrgemm_fill_wf_per_row_2x2ILj256ELj16ELj16ELj137Ell21rocsparse_complex_numIfEEEv20rocsparse_direction_T4_S4_PKS4_S6_NS_24const_host_device_scalarIT5_EEPKT3_S6_PKS8_SC_S6_SE_S9_SC_S6_SE_SC_PS4_PS8_21rocsparse_index_base_SH_SH_SH_bbb ; -- Begin function _ZN9rocsparseL27bsrgemm_fill_wf_per_row_2x2ILj256ELj16ELj16ELj137Ell21rocsparse_complex_numIfEEEv20rocsparse_direction_T4_S4_PKS4_S6_NS_24const_host_device_scalarIT5_EEPKT3_S6_PKS8_SC_S6_SE_S9_SC_S6_SE_SC_PS4_PS8_21rocsparse_index_base_SH_SH_SH_bbb
	.p2align	8
	.type	_ZN9rocsparseL27bsrgemm_fill_wf_per_row_2x2ILj256ELj16ELj16ELj137Ell21rocsparse_complex_numIfEEEv20rocsparse_direction_T4_S4_PKS4_S6_NS_24const_host_device_scalarIT5_EEPKT3_S6_PKS8_SC_S6_SE_S9_SC_S6_SE_SC_PS4_PS8_21rocsparse_index_base_SH_SH_SH_bbb,@function
_ZN9rocsparseL27bsrgemm_fill_wf_per_row_2x2ILj256ELj16ELj16ELj137Ell21rocsparse_complex_numIfEEEv20rocsparse_direction_T4_S4_PKS4_S6_NS_24const_host_device_scalarIT5_EEPKT3_S6_PKS8_SC_S6_SE_S9_SC_S6_SE_SC_PS4_PS8_21rocsparse_index_base_SH_SH_SH_bbb: ; @_ZN9rocsparseL27bsrgemm_fill_wf_per_row_2x2ILj256ELj16ELj16ELj137Ell21rocsparse_complex_numIfEEEv20rocsparse_direction_T4_S4_PKS4_S6_NS_24const_host_device_scalarIT5_EEPKT3_S6_PKS8_SC_S6_SE_S9_SC_S6_SE_SC_PS4_PS8_21rocsparse_index_base_SH_SH_SH_bbb
; %bb.0:
	s_clause 0x6
	s_load_b32 s14, s[0:1], 0xa8
	s_load_b256 s[4:11], s[0:1], 0x70
	s_load_b256 s[16:23], s[0:1], 0x50
	s_load_b128 s[44:47], s[0:1], 0x18
	s_load_b256 s[24:31], s[0:1], 0x30
	s_load_b64 s[2:3], s[0:1], 0x90
	s_load_b128 s[36:39], s[0:1], 0x98
	s_mov_b32 s13, 0
	s_mov_b32 s33, 0
	s_waitcnt lgkmcnt(0)
	s_bitcmp1_b32 s14, 0
	s_cselect_b32 s35, -1, 0
	s_bitcmp1_b32 s14, 16
	s_cselect_b32 s12, -1, 0
	s_delay_alu instid0(SALU_CYCLE_1) | instskip(SKIP_2) | instid1(VALU_DEP_1)
	s_xor_b32 s34, s12, -1
	s_bitcmp0_b32 s14, 0
	v_cndmask_b32_e64 v1, 0, 1, s34
	v_cmp_ne_u32_e32 vcc_lo, 1, v1
	s_cbranch_scc1 .LBB128_5
; %bb.1:
	s_load_b64 s[12:13], s[0:1], 0x28
	s_and_b32 vcc_lo, exec_lo, vcc_lo
	s_waitcnt lgkmcnt(0)
	s_mov_b32 s33, s12
	s_cbranch_vccnz .LBB128_3
; %bb.2:
	s_load_b32 s33, s[12:13], 0x0
.LBB128_3:
	s_and_not1_b32 vcc_lo, exec_lo, s34
	s_cbranch_vccnz .LBB128_5
; %bb.4:
	s_load_b32 s13, s[12:13], 0x4
.LBB128_5:
	s_bitcmp1_b32 s14, 8
	s_cselect_b32 s34, -1, 0
	s_bfe_u32 s12, s14, 0x10008
	s_mov_b32 s14, 0
	s_cmp_eq_u32 s12, 0
	s_mov_b32 s12, 0
	s_cbranch_scc1 .LBB128_11
; %bb.6:
	v_cmp_ne_u32_e32 vcc_lo, 1, v1
	s_mov_b32 s12, s20
	s_cbranch_vccnz .LBB128_8
; %bb.7:
	s_load_b32 s12, s[20:21], 0x0
.LBB128_8:
	v_cmp_ne_u32_e32 vcc_lo, 1, v1
	s_cbranch_vccnz .LBB128_10
; %bb.9:
	s_load_b32 s21, s[20:21], 0x4
.LBB128_10:
	s_waitcnt lgkmcnt(0)
	s_mov_b32 s14, s21
.LBB128_11:
	s_load_b128 s[40:43], s[0:1], 0x8
	v_and_b32_e32 v1, 0xf0, v0
	v_and_b32_e32 v25, 15, v0
	v_lshrrev_b32_e32 v2, 4, v0
	v_mov_b32_e32 v0, 0
	s_mov_b32 s20, 0
	v_lshl_or_b32 v24, v1, 3, 0x2000
	s_waitcnt lgkmcnt(0)
	v_dual_mov_b32 v5, s42 :: v_dual_mov_b32 v6, s43
	v_lshlrev_b32_e32 v1, 3, v25
	v_or_b32_e32 v3, -16, v25
	s_delay_alu instid0(VALU_DEP_2)
	v_or_b32_e32 v27, v24, v1
	v_lshl_or_b32 v4, v2, 9, v1
	v_mov_b32_e32 v1, v0
	ds_store_b64 v27, v[5:6]
.LBB128_12:                             ; =>This Inner Loop Header: Depth=1
	v_add_nc_u32_e32 v3, 16, v3
	ds_store_b64 v4, v[0:1]
	v_add_nc_u32_e32 v4, 0x80, v4
	v_cmp_lt_u32_e32 vcc_lo, 47, v3
	s_or_b32 s20, vcc_lo, s20
	s_delay_alu instid0(SALU_CYCLE_1)
	s_and_not1_b32 exec_lo, exec_lo, s20
	s_cbranch_execnz .LBB128_12
; %bb.13:
	s_or_b32 exec_lo, exec_lo, s20
	v_lshl_or_b32 v0, s15, 4, v2
	v_mov_b32_e32 v1, 0
	s_waitcnt lgkmcnt(0)
	s_barrier
	buffer_gl0_inv
	s_mov_b32 s15, exec_lo
	v_cmpx_gt_i64_e64 s[40:41], v[0:1]
	s_cbranch_execz .LBB128_127
; %bb.14:
	s_cmp_eq_u64 s[46:47], 0
	s_cbranch_scc1 .LBB128_16
; %bb.15:
	s_load_b64 s[20:21], s[44:45], 0x0
	v_lshlrev_b64 v[0:1], 3, v[0:1]
	s_waitcnt lgkmcnt(0)
	s_lshl_b64 s[20:21], s[20:21], 3
	s_delay_alu instid0(SALU_CYCLE_1) | instskip(SKIP_1) | instid1(VALU_DEP_1)
	s_add_u32 s15, s46, s20
	s_addc_u32 s20, s47, s21
	v_add_co_u32 v0, vcc_lo, s15, v0
	v_add_co_ci_u32_e32 v1, vcc_lo, s20, v1, vcc_lo
	global_load_b64 v[0:1], v[0:1], off
.LBB128_16:
	s_load_b32 s0, s[0:1], 0x0
	s_waitcnt vmcnt(0)
	v_lshlrev_b64 v[4:5], 3, v[0:1]
	v_lshlrev_b32_e32 v26, 9, v2
	s_and_not1_b32 vcc_lo, exec_lo, s35
	s_cbranch_vccnz .LBB128_72
; %bb.17:
	s_delay_alu instid0(VALU_DEP_2) | instskip(NEXT) | instid1(VALU_DEP_3)
	v_add_co_u32 v0, vcc_lo, s24, v4
	v_add_co_ci_u32_e32 v1, vcc_lo, s25, v5, vcc_lo
	v_sub_co_u32 v8, s1, v25, s36
	s_delay_alu instid0(VALU_DEP_1)
	v_sub_co_ci_u32_e64 v9, null, 0, 0, s1
	global_load_b128 v[0:3], v[0:1], off
	s_mov_b32 s15, 0
	s_mov_b32 s1, exec_lo
	s_waitcnt vmcnt(0)
	v_sub_co_u32 v6, vcc_lo, v2, s36
	v_subrev_co_ci_u32_e32 v7, vcc_lo, 0, v3, vcc_lo
	v_add_co_u32 v8, vcc_lo, v0, v8
	v_add_co_ci_u32_e32 v9, vcc_lo, v1, v9, vcc_lo
	s_delay_alu instid0(VALU_DEP_1)
	v_cmpx_lt_i64_e64 v[8:9], v[6:7]
	s_cbranch_execz .LBB128_71
; %bb.18:
	s_waitcnt lgkmcnt(0)
	s_cmp_eq_u32 s0, 0
	s_mov_b32 s20, s37
	s_cselect_b32 s21, 2, 1
	s_cselect_b32 s24, 1, 2
	s_branch .LBB128_20
.LBB128_19:                             ;   in Loop: Header=BB128_20 Depth=1
	s_or_b32 exec_lo, exec_lo, s25
	v_add_co_u32 v8, vcc_lo, v8, 16
	v_add_co_ci_u32_e32 v9, vcc_lo, 0, v9, vcc_lo
	s_delay_alu instid0(VALU_DEP_1) | instskip(SKIP_1) | instid1(SALU_CYCLE_1)
	v_cmp_ge_i64_e32 vcc_lo, v[8:9], v[6:7]
	s_or_b32 s15, vcc_lo, s15
	s_and_not1_b32 exec_lo, exec_lo, s15
	s_cbranch_execz .LBB128_71
.LBB128_20:                             ; =>This Loop Header: Depth=1
                                        ;     Child Loop BB128_23 Depth 2
                                        ;       Child Loop BB128_25 Depth 3
                                        ;       Child Loop BB128_37 Depth 3
	;; [unrolled: 1-line block ×4, first 2 shown]
	v_lshlrev_b64 v[0:1], 3, v[8:9]
	s_mov_b32 s25, exec_lo
	s_delay_alu instid0(VALU_DEP_1) | instskip(NEXT) | instid1(VALU_DEP_2)
	v_add_co_u32 v0, vcc_lo, s26, v0
	v_add_co_ci_u32_e32 v1, vcc_lo, s27, v1, vcc_lo
	global_load_b64 v[0:1], v[0:1], off
	s_waitcnt vmcnt(0)
	v_sub_co_u32 v0, vcc_lo, v0, s36
	v_subrev_co_ci_u32_e32 v1, vcc_lo, 0, v1, vcc_lo
	s_delay_alu instid0(VALU_DEP_1) | instskip(NEXT) | instid1(VALU_DEP_1)
	v_lshlrev_b64 v[0:1], 3, v[0:1]
	v_add_co_u32 v0, vcc_lo, s30, v0
	s_delay_alu instid0(VALU_DEP_2)
	v_add_co_ci_u32_e32 v1, vcc_lo, s31, v1, vcc_lo
	global_load_b128 v[0:3], v[0:1], off
	s_waitcnt vmcnt(0)
	v_cmpx_lt_i64_e64 v[0:1], v[2:3]
	s_cbranch_execz .LBB128_19
; %bb.21:                               ;   in Loop: Header=BB128_20 Depth=1
	v_lshlrev_b64 v[10:11], 2, v[8:9]
	v_lshlrev_b64 v[12:13], 5, v[8:9]
	s_mov_b32 s35, 0
	s_delay_alu instid0(VALU_DEP_2) | instskip(NEXT) | instid1(VALU_DEP_3)
	v_or_b32_e32 v15, 0, v11
	v_or_b32_e32 v14, s21, v10
	;; [unrolled: 1-line block ×4, first 2 shown]
	v_add_co_u32 v12, vcc_lo, s28, v12
	s_delay_alu instid0(VALU_DEP_4) | instskip(SKIP_1) | instid1(VALU_DEP_4)
	v_lshlrev_b64 v[14:15], 3, v[14:15]
	v_add_co_ci_u32_e32 v13, vcc_lo, s29, v13, vcc_lo
	v_lshlrev_b64 v[10:11], 3, v[10:11]
	global_load_b64 v[16:17], v[12:13], off
	v_add_co_u32 v14, vcc_lo, s28, v14
	v_add_co_ci_u32_e32 v15, vcc_lo, s29, v15, vcc_lo
	v_add_co_u32 v10, vcc_lo, s28, v10
	v_add_co_ci_u32_e32 v11, vcc_lo, s29, v11, vcc_lo
	s_clause 0x2
	global_load_b64 v[14:15], v[14:15], off
	global_load_b64 v[10:11], v[10:11], off
	global_load_b64 v[12:13], v[12:13], off offset:24
	v_sub_co_u32 v2, vcc_lo, v2, s20
	v_subrev_co_ci_u32_e32 v3, vcc_lo, 0, v3, vcc_lo
	v_sub_co_u32 v0, vcc_lo, v0, s20
	v_subrev_co_ci_u32_e32 v1, vcc_lo, 0, v1, vcc_lo
	s_waitcnt vmcnt(3)
	v_mul_f32_e64 v28, v17, -s13
	s_delay_alu instid0(VALU_DEP_1) | instskip(NEXT) | instid1(VALU_DEP_1)
	v_dual_mul_f32 v29, s33, v17 :: v_dual_fmac_f32 v28, s33, v16
	v_fmac_f32_e32 v29, s13, v16
	s_waitcnt vmcnt(2)
	v_mul_f32_e64 v30, v15, -s13
	s_waitcnt vmcnt(0)
	v_dual_mul_f32 v31, s33, v15 :: v_dual_mul_f32 v32, s33, v13
	v_mul_f32_e64 v33, v13, -s13
	v_mul_f32_e64 v35, v11, -s13
	v_fmac_f32_e32 v30, s33, v14
	s_delay_alu instid0(VALU_DEP_4) | instskip(NEXT) | instid1(VALU_DEP_3)
	v_dual_mul_f32 v34, s33, v11 :: v_dual_fmac_f32 v31, s13, v14
	v_dual_fmac_f32 v32, s13, v12 :: v_dual_fmac_f32 v35, s33, v10
	s_delay_alu instid0(VALU_DEP_2)
	v_dual_fmac_f32 v33, s33, v12 :: v_dual_fmac_f32 v34, s13, v10
	s_branch .LBB128_23
.LBB128_22:                             ;   in Loop: Header=BB128_23 Depth=2
	s_or_b32 exec_lo, exec_lo, s37
	v_add_co_u32 v0, vcc_lo, v0, 1
	v_add_co_ci_u32_e32 v1, vcc_lo, 0, v1, vcc_lo
	s_delay_alu instid0(VALU_DEP_1) | instskip(SKIP_1) | instid1(SALU_CYCLE_1)
	v_cmp_ge_i64_e32 vcc_lo, v[0:1], v[2:3]
	s_or_b32 s35, vcc_lo, s35
	s_and_not1_b32 exec_lo, exec_lo, s35
	s_cbranch_execz .LBB128_19
.LBB128_23:                             ;   Parent Loop BB128_20 Depth=1
                                        ; =>  This Loop Header: Depth=2
                                        ;       Child Loop BB128_25 Depth 3
                                        ;       Child Loop BB128_37 Depth 3
	;; [unrolled: 1-line block ×4, first 2 shown]
	v_lshlrev_b64 v[10:11], 2, v[0:1]
	v_lshlrev_b64 v[14:15], 3, v[0:1]
	;; [unrolled: 1-line block ×3, first 2 shown]
	s_mov_b32 s37, 0
	s_delay_alu instid0(VALU_DEP_3) | instskip(NEXT) | instid1(VALU_DEP_4)
	v_or_b32_e32 v13, 0, v11
	v_or_b32_e32 v12, s21, v10
	v_or_b32_e32 v11, 0, v11
	v_or_b32_e32 v10, s24, v10
	s_delay_alu instid0(VALU_DEP_3) | instskip(NEXT) | instid1(VALU_DEP_2)
	v_lshlrev_b64 v[12:13], 3, v[12:13]
	v_lshlrev_b64 v[10:11], 3, v[10:11]
	s_delay_alu instid0(VALU_DEP_2) | instskip(NEXT) | instid1(VALU_DEP_3)
	v_add_co_u32 v12, vcc_lo, s18, v12
	v_add_co_ci_u32_e32 v13, vcc_lo, s19, v13, vcc_lo
	v_add_co_u32 v14, vcc_lo, s16, v14
	v_add_co_ci_u32_e32 v15, vcc_lo, s17, v15, vcc_lo
	global_load_b64 v[19:20], v[12:13], off
	global_load_b64 v[21:22], v[14:15], off
	v_add_co_u32 v15, vcc_lo, s18, v16
	v_add_co_ci_u32_e32 v16, vcc_lo, s19, v17, vcc_lo
	v_add_co_u32 v10, vcc_lo, s18, v10
	v_add_co_ci_u32_e32 v11, vcc_lo, s19, v11, vcc_lo
	s_clause 0x2
	global_load_b64 v[17:18], v[15:16], off
	global_load_b64 v[13:14], v[10:11], off
	global_load_b64 v[15:16], v[15:16], off offset:24
	s_waitcnt vmcnt(4)
	v_mul_f32_e64 v23, v20, -v34
	s_waitcnt vmcnt(3)
	v_sub_co_u32 v10, vcc_lo, v21, s20
	s_delay_alu instid0(VALU_DEP_2) | instskip(SKIP_2) | instid1(VALU_DEP_4)
	v_fmac_f32_e32 v23, v35, v19
	v_mul_f32_e32 v36, v35, v20
	v_subrev_co_ci_u32_e32 v11, vcc_lo, 0, v22, vcc_lo
	v_lshl_add_u32 v12, v10, 3, v10
	s_waitcnt vmcnt(2)
	s_delay_alu instid0(VALU_DEP_1) | instskip(SKIP_3) | instid1(VALU_DEP_3)
	v_dual_fmac_f32 v23, v28, v17 :: v_dual_and_b32 v12, 15, v12
	v_fmac_f32_e32 v36, v34, v19
	s_waitcnt vmcnt(1)
	v_mov_b32_e32 v22, v13
	v_fma_f32 v37, -v29, v18, v23
	s_delay_alu instid0(VALU_DEP_3) | instskip(NEXT) | instid1(VALU_DEP_1)
	v_dual_mov_b32 v21, v12 :: v_dual_fmac_f32 v36, v29, v17
	v_fmac_f32_e32 v36, v28, v18
	s_branch .LBB128_25
.LBB128_24:                             ;   in Loop: Header=BB128_25 Depth=3
	s_or_b32 exec_lo, exec_lo, s40
	s_xor_b32 s40, s41, -1
	s_delay_alu instid0(SALU_CYCLE_1) | instskip(NEXT) | instid1(SALU_CYCLE_1)
	s_and_b32 s40, exec_lo, s40
	s_or_b32 s37, s40, s37
	s_delay_alu instid0(SALU_CYCLE_1)
	s_and_not1_b32 exec_lo, exec_lo, s37
	s_cbranch_execz .LBB128_35
.LBB128_25:                             ;   Parent Loop BB128_20 Depth=1
                                        ;     Parent Loop BB128_23 Depth=2
                                        ; =>    This Inner Loop Header: Depth=3
	s_delay_alu instid0(VALU_DEP_2)
	v_lshl_add_u32 v38, v21, 3, v24
	s_mov_b32 s40, exec_lo
                                        ; implicit-def: $sgpr41
	ds_load_b64 v[22:23], v38
	s_waitcnt lgkmcnt(0)
	v_cmpx_ne_u64_e64 v[22:23], v[10:11]
	s_xor_b32 s40, exec_lo, s40
	s_cbranch_execz .LBB128_33
; %bb.26:                               ;   in Loop: Header=BB128_25 Depth=3
	s_mov_b32 s44, exec_lo
                                        ; implicit-def: $sgpr41
	v_cmpx_ne_u64_e64 s[42:43], v[22:23]
	s_xor_b32 s44, exec_lo, s44
; %bb.27:                               ;   in Loop: Header=BB128_25 Depth=3
	v_add_nc_u32_e32 v21, 1, v21
	s_mov_b32 s41, -1
                                        ; implicit-def: $vgpr38
	s_delay_alu instid0(VALU_DEP_1)
	v_and_b32_e32 v21, 15, v21
; %bb.28:                               ;   in Loop: Header=BB128_25 Depth=3
	s_and_not1_saveexec_b32 s44, s44
	s_cbranch_execz .LBB128_32
; %bb.29:                               ;   in Loop: Header=BB128_25 Depth=3
	v_dual_mov_b32 v22, s42 :: v_dual_mov_b32 v23, s43
	s_mov_b32 s45, -1
	s_mov_b32 s46, exec_lo
	ds_cmpstore_rtn_b64 v[22:23], v38, v[10:11], v[22:23]
	s_waitcnt lgkmcnt(0)
	v_cmpx_eq_u64_e64 s[42:43], v[22:23]
	s_cbranch_execz .LBB128_31
; %bb.30:                               ;   in Loop: Header=BB128_25 Depth=3
	v_lshl_add_u32 v22, v21, 5, v26
	s_xor_b32 s45, exec_lo, -1
	ds_add_f32 v22, v37
	ds_add_f32 v22, v36 offset:4
.LBB128_31:                             ;   in Loop: Header=BB128_25 Depth=3
	s_or_b32 exec_lo, exec_lo, s46
	s_delay_alu instid0(SALU_CYCLE_1) | instskip(SKIP_1) | instid1(SALU_CYCLE_1)
	s_and_not1_b32 s41, s41, exec_lo
	s_and_b32 s45, s45, exec_lo
	s_or_b32 s41, s41, s45
.LBB128_32:                             ;   in Loop: Header=BB128_25 Depth=3
	s_or_b32 exec_lo, exec_lo, s44
	s_delay_alu instid0(SALU_CYCLE_1)
	s_and_b32 s41, s41, exec_lo
.LBB128_33:                             ;   in Loop: Header=BB128_25 Depth=3
	s_and_not1_saveexec_b32 s40, s40
	s_cbranch_execz .LBB128_24
; %bb.34:                               ;   in Loop: Header=BB128_25 Depth=3
	v_lshl_add_u32 v22, v21, 5, v26
	s_and_not1_b32 s41, s41, exec_lo
	ds_add_f32 v22, v37
	ds_add_f32 v22, v36 offset:4
	s_branch .LBB128_24
.LBB128_35:                             ;   in Loop: Header=BB128_23 Depth=2
	s_or_b32 exec_lo, exec_lo, s37
	s_waitcnt vmcnt(0)
	v_mul_f32_e64 v21, v16, -v34
	s_mov_b32 s37, 0
	s_delay_alu instid0(VALU_DEP_1) | instskip(NEXT) | instid1(VALU_DEP_1)
	v_fmac_f32_e32 v21, v35, v15
	v_dual_mul_f32 v36, v35, v16 :: v_dual_fmac_f32 v21, v28, v13
	s_delay_alu instid0(VALU_DEP_1) | instskip(NEXT) | instid1(VALU_DEP_2)
	v_fmac_f32_e32 v36, v34, v15
	v_fma_f32 v37, -v29, v14, v21
	v_dual_mov_b32 v22, v13 :: v_dual_mov_b32 v21, v12
	s_delay_alu instid0(VALU_DEP_3) | instskip(NEXT) | instid1(VALU_DEP_1)
	v_fmac_f32_e32 v36, v29, v13
	v_fmac_f32_e32 v36, v28, v14
	s_branch .LBB128_37
.LBB128_36:                             ;   in Loop: Header=BB128_37 Depth=3
	s_or_b32 exec_lo, exec_lo, s40
	s_xor_b32 s40, s41, -1
	s_delay_alu instid0(SALU_CYCLE_1) | instskip(NEXT) | instid1(SALU_CYCLE_1)
	s_and_b32 s40, exec_lo, s40
	s_or_b32 s37, s40, s37
	s_delay_alu instid0(SALU_CYCLE_1)
	s_and_not1_b32 exec_lo, exec_lo, s37
	s_cbranch_execz .LBB128_47
.LBB128_37:                             ;   Parent Loop BB128_20 Depth=1
                                        ;     Parent Loop BB128_23 Depth=2
                                        ; =>    This Inner Loop Header: Depth=3
	s_delay_alu instid0(VALU_DEP_3)
	v_lshl_add_u32 v38, v21, 3, v24
	s_mov_b32 s40, exec_lo
                                        ; implicit-def: $sgpr41
	ds_load_b64 v[22:23], v38
	s_waitcnt lgkmcnt(0)
	v_cmpx_ne_u64_e64 v[22:23], v[10:11]
	s_xor_b32 s40, exec_lo, s40
	s_cbranch_execz .LBB128_45
; %bb.38:                               ;   in Loop: Header=BB128_37 Depth=3
	s_mov_b32 s44, exec_lo
                                        ; implicit-def: $sgpr41
	v_cmpx_ne_u64_e64 s[42:43], v[22:23]
	s_xor_b32 s44, exec_lo, s44
; %bb.39:                               ;   in Loop: Header=BB128_37 Depth=3
	v_add_nc_u32_e32 v21, 1, v21
	s_mov_b32 s41, -1
                                        ; implicit-def: $vgpr38
	s_delay_alu instid0(VALU_DEP_1)
	v_and_b32_e32 v21, 15, v21
; %bb.40:                               ;   in Loop: Header=BB128_37 Depth=3
	s_and_not1_saveexec_b32 s44, s44
	s_cbranch_execz .LBB128_44
; %bb.41:                               ;   in Loop: Header=BB128_37 Depth=3
	v_dual_mov_b32 v22, s42 :: v_dual_mov_b32 v23, s43
	s_mov_b32 s45, -1
	s_mov_b32 s46, exec_lo
	ds_cmpstore_rtn_b64 v[22:23], v38, v[10:11], v[22:23]
	s_waitcnt lgkmcnt(0)
	v_cmpx_eq_u64_e64 s[42:43], v[22:23]
	s_cbranch_execz .LBB128_43
; %bb.42:                               ;   in Loop: Header=BB128_37 Depth=3
	v_lshl_add_u32 v22, v21, 5, v26
	s_xor_b32 s45, exec_lo, -1
	ds_add_f32 v22, v37 offset:8
	ds_add_f32 v22, v36 offset:12
.LBB128_43:                             ;   in Loop: Header=BB128_37 Depth=3
	s_or_b32 exec_lo, exec_lo, s46
	s_delay_alu instid0(SALU_CYCLE_1) | instskip(SKIP_1) | instid1(SALU_CYCLE_1)
	s_and_not1_b32 s41, s41, exec_lo
	s_and_b32 s45, s45, exec_lo
	s_or_b32 s41, s41, s45
.LBB128_44:                             ;   in Loop: Header=BB128_37 Depth=3
	s_or_b32 exec_lo, exec_lo, s44
	s_delay_alu instid0(SALU_CYCLE_1)
	s_and_b32 s41, s41, exec_lo
.LBB128_45:                             ;   in Loop: Header=BB128_37 Depth=3
	s_and_not1_saveexec_b32 s40, s40
	s_cbranch_execz .LBB128_36
; %bb.46:                               ;   in Loop: Header=BB128_37 Depth=3
	v_lshl_add_u32 v22, v21, 5, v26
	s_and_not1_b32 s41, s41, exec_lo
	ds_add_f32 v22, v37 offset:8
	ds_add_f32 v22, v36 offset:12
	s_branch .LBB128_36
.LBB128_47:                             ;   in Loop: Header=BB128_23 Depth=2
	s_or_b32 exec_lo, exec_lo, s37
	v_mul_f32_e64 v21, v20, -v32
	s_mov_b32 s37, 0
	s_delay_alu instid0(VALU_DEP_1) | instskip(NEXT) | instid1(VALU_DEP_1)
	v_fmac_f32_e32 v21, v33, v19
	v_dual_mul_f32 v20, v33, v20 :: v_dual_fmac_f32 v21, v30, v17
	s_delay_alu instid0(VALU_DEP_1) | instskip(NEXT) | instid1(VALU_DEP_2)
	v_fmac_f32_e32 v20, v32, v19
	v_fma_f32 v21, -v31, v18, v21
	s_delay_alu instid0(VALU_DEP_2) | instskip(NEXT) | instid1(VALU_DEP_1)
	v_fmac_f32_e32 v20, v31, v17
	v_fmac_f32_e32 v20, v30, v18
	v_dual_mov_b32 v18, v13 :: v_dual_mov_b32 v17, v12
	s_branch .LBB128_49
.LBB128_48:                             ;   in Loop: Header=BB128_49 Depth=3
	s_or_b32 exec_lo, exec_lo, s40
	s_xor_b32 s40, s41, -1
	s_delay_alu instid0(SALU_CYCLE_1) | instskip(NEXT) | instid1(SALU_CYCLE_1)
	s_and_b32 s40, exec_lo, s40
	s_or_b32 s37, s40, s37
	s_delay_alu instid0(SALU_CYCLE_1)
	s_and_not1_b32 exec_lo, exec_lo, s37
	s_cbranch_execz .LBB128_59
.LBB128_49:                             ;   Parent Loop BB128_20 Depth=1
                                        ;     Parent Loop BB128_23 Depth=2
                                        ; =>    This Inner Loop Header: Depth=3
	s_delay_alu instid0(VALU_DEP_1)
	v_lshl_add_u32 v22, v17, 3, v24
	s_mov_b32 s40, exec_lo
                                        ; implicit-def: $sgpr41
	ds_load_b64 v[18:19], v22
	s_waitcnt lgkmcnt(0)
	v_cmpx_ne_u64_e64 v[18:19], v[10:11]
	s_xor_b32 s40, exec_lo, s40
	s_cbranch_execz .LBB128_57
; %bb.50:                               ;   in Loop: Header=BB128_49 Depth=3
	s_mov_b32 s44, exec_lo
                                        ; implicit-def: $sgpr41
	v_cmpx_ne_u64_e64 s[42:43], v[18:19]
	s_xor_b32 s44, exec_lo, s44
; %bb.51:                               ;   in Loop: Header=BB128_49 Depth=3
	v_add_nc_u32_e32 v17, 1, v17
	s_mov_b32 s41, -1
                                        ; implicit-def: $vgpr22
	s_delay_alu instid0(VALU_DEP_1)
	v_and_b32_e32 v17, 15, v17
; %bb.52:                               ;   in Loop: Header=BB128_49 Depth=3
	s_and_not1_saveexec_b32 s44, s44
	s_cbranch_execz .LBB128_56
; %bb.53:                               ;   in Loop: Header=BB128_49 Depth=3
	v_dual_mov_b32 v18, s42 :: v_dual_mov_b32 v19, s43
	s_mov_b32 s45, -1
	s_mov_b32 s46, exec_lo
	ds_cmpstore_rtn_b64 v[18:19], v22, v[10:11], v[18:19]
	s_waitcnt lgkmcnt(0)
	v_cmpx_eq_u64_e64 s[42:43], v[18:19]
	s_cbranch_execz .LBB128_55
; %bb.54:                               ;   in Loop: Header=BB128_49 Depth=3
	v_lshl_add_u32 v18, v17, 5, v26
	s_xor_b32 s45, exec_lo, -1
	ds_add_f32 v18, v21 offset:16
	ds_add_f32 v18, v20 offset:20
.LBB128_55:                             ;   in Loop: Header=BB128_49 Depth=3
	s_or_b32 exec_lo, exec_lo, s46
	s_delay_alu instid0(SALU_CYCLE_1) | instskip(SKIP_1) | instid1(SALU_CYCLE_1)
	s_and_not1_b32 s41, s41, exec_lo
	s_and_b32 s45, s45, exec_lo
	s_or_b32 s41, s41, s45
.LBB128_56:                             ;   in Loop: Header=BB128_49 Depth=3
	s_or_b32 exec_lo, exec_lo, s44
	s_delay_alu instid0(SALU_CYCLE_1)
	s_and_b32 s41, s41, exec_lo
.LBB128_57:                             ;   in Loop: Header=BB128_49 Depth=3
	s_and_not1_saveexec_b32 s40, s40
	s_cbranch_execz .LBB128_48
; %bb.58:                               ;   in Loop: Header=BB128_49 Depth=3
	v_lshl_add_u32 v18, v17, 5, v26
	s_and_not1_b32 s41, s41, exec_lo
	ds_add_f32 v18, v21 offset:16
	ds_add_f32 v18, v20 offset:20
	s_branch .LBB128_48
.LBB128_59:                             ;   in Loop: Header=BB128_23 Depth=2
	s_or_b32 exec_lo, exec_lo, s37
	v_mul_f32_e64 v17, v16, -v32
	s_mov_b32 s37, 0
	s_delay_alu instid0(VALU_DEP_1) | instskip(NEXT) | instid1(VALU_DEP_1)
	v_fmac_f32_e32 v17, v33, v15
	v_dual_mul_f32 v16, v33, v16 :: v_dual_fmac_f32 v17, v30, v13
	s_delay_alu instid0(VALU_DEP_1) | instskip(NEXT) | instid1(VALU_DEP_2)
	v_fmac_f32_e32 v16, v32, v15
	v_fma_f32 v15, -v31, v14, v17
	s_delay_alu instid0(VALU_DEP_2) | instskip(NEXT) | instid1(VALU_DEP_1)
	v_fmac_f32_e32 v16, v31, v13
	v_fmac_f32_e32 v16, v30, v14
	s_branch .LBB128_61
.LBB128_60:                             ;   in Loop: Header=BB128_61 Depth=3
	s_or_b32 exec_lo, exec_lo, s40
	s_xor_b32 s40, s41, -1
	s_delay_alu instid0(SALU_CYCLE_1) | instskip(NEXT) | instid1(SALU_CYCLE_1)
	s_and_b32 s40, exec_lo, s40
	s_or_b32 s37, s40, s37
	s_delay_alu instid0(SALU_CYCLE_1)
	s_and_not1_b32 exec_lo, exec_lo, s37
	s_cbranch_execz .LBB128_22
.LBB128_61:                             ;   Parent Loop BB128_20 Depth=1
                                        ;     Parent Loop BB128_23 Depth=2
                                        ; =>    This Inner Loop Header: Depth=3
	v_lshl_add_u32 v17, v12, 3, v24
	s_mov_b32 s40, exec_lo
                                        ; implicit-def: $sgpr41
	ds_load_b64 v[13:14], v17
	s_waitcnt lgkmcnt(0)
	v_cmpx_ne_u64_e64 v[13:14], v[10:11]
	s_xor_b32 s40, exec_lo, s40
	s_cbranch_execz .LBB128_69
; %bb.62:                               ;   in Loop: Header=BB128_61 Depth=3
	s_mov_b32 s44, exec_lo
                                        ; implicit-def: $sgpr41
	v_cmpx_ne_u64_e64 s[42:43], v[13:14]
	s_xor_b32 s44, exec_lo, s44
; %bb.63:                               ;   in Loop: Header=BB128_61 Depth=3
	v_add_nc_u32_e32 v12, 1, v12
	s_mov_b32 s41, -1
                                        ; implicit-def: $vgpr17
	s_delay_alu instid0(VALU_DEP_1)
	v_and_b32_e32 v12, 15, v12
; %bb.64:                               ;   in Loop: Header=BB128_61 Depth=3
	s_and_not1_saveexec_b32 s44, s44
	s_cbranch_execz .LBB128_68
; %bb.65:                               ;   in Loop: Header=BB128_61 Depth=3
	v_dual_mov_b32 v13, s42 :: v_dual_mov_b32 v14, s43
	s_mov_b32 s45, -1
	s_mov_b32 s46, exec_lo
	ds_cmpstore_rtn_b64 v[13:14], v17, v[10:11], v[13:14]
	s_waitcnt lgkmcnt(0)
	v_cmpx_eq_u64_e64 s[42:43], v[13:14]
	s_cbranch_execz .LBB128_67
; %bb.66:                               ;   in Loop: Header=BB128_61 Depth=3
	v_lshl_add_u32 v13, v12, 5, v26
	s_xor_b32 s45, exec_lo, -1
	ds_add_f32 v13, v15 offset:24
	ds_add_f32 v13, v16 offset:28
.LBB128_67:                             ;   in Loop: Header=BB128_61 Depth=3
	s_or_b32 exec_lo, exec_lo, s46
	s_delay_alu instid0(SALU_CYCLE_1) | instskip(SKIP_1) | instid1(SALU_CYCLE_1)
	s_and_not1_b32 s41, s41, exec_lo
	s_and_b32 s45, s45, exec_lo
	s_or_b32 s41, s41, s45
.LBB128_68:                             ;   in Loop: Header=BB128_61 Depth=3
	s_or_b32 exec_lo, exec_lo, s44
	s_delay_alu instid0(SALU_CYCLE_1)
	s_and_b32 s41, s41, exec_lo
.LBB128_69:                             ;   in Loop: Header=BB128_61 Depth=3
	s_and_not1_saveexec_b32 s40, s40
	s_cbranch_execz .LBB128_60
; %bb.70:                               ;   in Loop: Header=BB128_61 Depth=3
	v_lshl_add_u32 v13, v12, 5, v26
	s_and_not1_b32 s41, s41, exec_lo
	ds_add_f32 v13, v15 offset:24
	ds_add_f32 v13, v16 offset:28
	s_branch .LBB128_60
.LBB128_71:
	s_or_b32 exec_lo, exec_lo, s1
.LBB128_72:
	s_delay_alu instid0(SALU_CYCLE_1)
	s_and_not1_b32 vcc_lo, exec_lo, s34
	s_waitcnt lgkmcnt(0)
	buffer_gl0_inv
	s_cbranch_vccnz .LBB128_125
; %bb.73:
	v_add_co_u32 v0, vcc_lo, s22, v4
	v_add_co_ci_u32_e32 v1, vcc_lo, s23, v5, vcc_lo
	v_sub_co_u32 v2, s1, v25, s39
	s_delay_alu instid0(VALU_DEP_1)
	v_sub_co_ci_u32_e64 v3, null, 0, 0, s1
	global_load_b128 v[6:9], v[0:1], off
	s_mov_b32 s1, 0
	s_mov_b32 s13, exec_lo
	s_waitcnt vmcnt(0)
	v_sub_co_u32 v0, vcc_lo, v8, s39
	v_subrev_co_ci_u32_e32 v1, vcc_lo, 0, v9, vcc_lo
	v_add_co_u32 v2, vcc_lo, v6, v2
	v_add_co_ci_u32_e32 v3, vcc_lo, v7, v3, vcc_lo
	s_delay_alu instid0(VALU_DEP_1)
	v_cmpx_lt_i64_e64 v[2:3], v[0:1]
	s_cbranch_execz .LBB128_124
; %bb.74:
	s_cmp_eq_u32 s0, 0
	s_mov_b32 s15, s39
	s_cselect_b32 s16, 1, 2
	s_cselect_b32 s17, 2, 1
	s_branch .LBB128_76
.LBB128_75:                             ;   in Loop: Header=BB128_76 Depth=1
	s_or_b32 exec_lo, exec_lo, s18
	v_add_co_u32 v2, vcc_lo, v2, 16
	v_add_co_ci_u32_e32 v3, vcc_lo, 0, v3, vcc_lo
	s_delay_alu instid0(VALU_DEP_1) | instskip(SKIP_1) | instid1(SALU_CYCLE_1)
	v_cmp_ge_i64_e32 vcc_lo, v[2:3], v[0:1]
	s_or_b32 s1, vcc_lo, s1
	s_and_not1_b32 exec_lo, exec_lo, s1
	s_cbranch_execz .LBB128_124
.LBB128_76:                             ; =>This Loop Header: Depth=1
                                        ;     Child Loop BB128_78 Depth 2
                                        ;     Child Loop BB128_90 Depth 2
	;; [unrolled: 1-line block ×4, first 2 shown]
	v_lshlrev_b64 v[8:9], 3, v[2:3]
	v_lshlrev_b64 v[6:7], 2, v[2:3]
	;; [unrolled: 1-line block ×3, first 2 shown]
	s_mov_b32 s18, 0
	s_delay_alu instid0(VALU_DEP_3) | instskip(NEXT) | instid1(VALU_DEP_4)
	v_add_co_u32 v8, vcc_lo, s4, v8
	v_add_co_ci_u32_e32 v9, vcc_lo, s5, v9, vcc_lo
	s_delay_alu instid0(VALU_DEP_4)
	v_or_b32_e32 v13, 0, v7
	v_or_b32_e32 v12, s16, v6
	;; [unrolled: 1-line block ×3, first 2 shown]
	global_load_b64 v[15:16], v[8:9], off
	v_or_b32_e32 v6, s17, v6
	v_add_co_u32 v10, vcc_lo, s6, v10
	v_lshlrev_b64 v[8:9], 3, v[12:13]
	v_add_co_ci_u32_e32 v11, vcc_lo, s7, v11, vcc_lo
	s_delay_alu instid0(VALU_DEP_4) | instskip(NEXT) | instid1(VALU_DEP_3)
	v_lshlrev_b64 v[6:7], 3, v[6:7]
	v_add_co_u32 v12, vcc_lo, s6, v8
	global_load_b64 v[20:21], v[10:11], off
	v_add_co_ci_u32_e32 v13, vcc_lo, s7, v9, vcc_lo
	v_add_co_u32 v6, vcc_lo, s6, v6
	v_add_co_ci_u32_e32 v7, vcc_lo, s7, v7, vcc_lo
	s_clause 0x2
	global_load_b64 v[9:10], v[10:11], off offset:24
	global_load_b64 v[13:14], v[12:13], off
	global_load_b64 v[11:12], v[6:7], off
	s_waitcnt vmcnt(4)
	v_sub_co_u32 v6, vcc_lo, v15, s15
	v_subrev_co_ci_u32_e32 v7, vcc_lo, 0, v16, vcc_lo
	s_delay_alu instid0(VALU_DEP_2) | instskip(SKIP_1) | instid1(VALU_DEP_1)
	v_lshl_add_u32 v8, v6, 3, v6
	s_waitcnt vmcnt(3)
	v_dual_mul_f32 v19, s12, v21 :: v_dual_and_b32 v8, 15, v8
	v_mul_f32_e64 v18, v21, -s14
	s_waitcnt vmcnt(2)
	s_delay_alu instid0(VALU_DEP_2) | instskip(NEXT) | instid1(VALU_DEP_2)
	v_dual_fmac_f32 v19, s14, v20 :: v_dual_mov_b32 v16, v9
	v_dual_fmac_f32 v18, s12, v20 :: v_dual_mov_b32 v15, v8
	s_branch .LBB128_78
.LBB128_77:                             ;   in Loop: Header=BB128_78 Depth=2
	s_or_b32 exec_lo, exec_lo, s19
	s_xor_b32 s19, s20, -1
	s_delay_alu instid0(SALU_CYCLE_1) | instskip(NEXT) | instid1(SALU_CYCLE_1)
	s_and_b32 s19, exec_lo, s19
	s_or_b32 s18, s19, s18
	s_delay_alu instid0(SALU_CYCLE_1)
	s_and_not1_b32 exec_lo, exec_lo, s18
	s_cbranch_execz .LBB128_88
.LBB128_78:                             ;   Parent Loop BB128_76 Depth=1
                                        ; =>  This Inner Loop Header: Depth=2
	s_delay_alu instid0(VALU_DEP_1)
	v_lshl_add_u32 v20, v15, 3, v24
	s_mov_b32 s19, exec_lo
                                        ; implicit-def: $sgpr20
	ds_load_b64 v[16:17], v20
	s_waitcnt lgkmcnt(0)
	v_cmpx_ne_u64_e64 v[16:17], v[6:7]
	s_xor_b32 s19, exec_lo, s19
	s_cbranch_execz .LBB128_86
; %bb.79:                               ;   in Loop: Header=BB128_78 Depth=2
	s_mov_b32 s21, exec_lo
                                        ; implicit-def: $sgpr20
	v_cmpx_ne_u64_e64 s[42:43], v[16:17]
	s_xor_b32 s21, exec_lo, s21
; %bb.80:                               ;   in Loop: Header=BB128_78 Depth=2
	v_add_nc_u32_e32 v15, 1, v15
	s_mov_b32 s20, -1
                                        ; implicit-def: $vgpr20
	s_delay_alu instid0(VALU_DEP_1)
	v_and_b32_e32 v15, 15, v15
; %bb.81:                               ;   in Loop: Header=BB128_78 Depth=2
	s_and_not1_saveexec_b32 s21, s21
	s_cbranch_execz .LBB128_85
; %bb.82:                               ;   in Loop: Header=BB128_78 Depth=2
	v_dual_mov_b32 v16, s42 :: v_dual_mov_b32 v17, s43
	s_mov_b32 s22, -1
	s_mov_b32 s23, exec_lo
	ds_cmpstore_rtn_b64 v[16:17], v20, v[6:7], v[16:17]
	s_waitcnt lgkmcnt(0)
	v_cmpx_eq_u64_e64 s[42:43], v[16:17]
	s_cbranch_execz .LBB128_84
; %bb.83:                               ;   in Loop: Header=BB128_78 Depth=2
	v_lshl_add_u32 v16, v15, 5, v26
	s_xor_b32 s22, exec_lo, -1
	ds_add_f32 v16, v18
	ds_add_f32 v16, v19 offset:4
.LBB128_84:                             ;   in Loop: Header=BB128_78 Depth=2
	s_or_b32 exec_lo, exec_lo, s23
	s_delay_alu instid0(SALU_CYCLE_1) | instskip(SKIP_1) | instid1(SALU_CYCLE_1)
	s_and_not1_b32 s20, s20, exec_lo
	s_and_b32 s22, s22, exec_lo
	s_or_b32 s20, s20, s22
.LBB128_85:                             ;   in Loop: Header=BB128_78 Depth=2
	s_or_b32 exec_lo, exec_lo, s21
	s_delay_alu instid0(SALU_CYCLE_1)
	s_and_b32 s20, s20, exec_lo
.LBB128_86:                             ;   in Loop: Header=BB128_78 Depth=2
	s_and_not1_saveexec_b32 s19, s19
	s_cbranch_execz .LBB128_77
; %bb.87:                               ;   in Loop: Header=BB128_78 Depth=2
	v_lshl_add_u32 v16, v15, 5, v26
	s_and_not1_b32 s20, s20, exec_lo
	ds_add_f32 v16, v18
	ds_add_f32 v16, v19 offset:4
	s_branch .LBB128_77
.LBB128_88:                             ;   in Loop: Header=BB128_76 Depth=1
	s_or_b32 exec_lo, exec_lo, s18
	s_waitcnt vmcnt(1)
	v_mul_f32_e64 v16, v14, -s14
	v_mul_f32_e32 v17, s12, v14
	s_mov_b32 s18, 0
	s_delay_alu instid0(VALU_DEP_2) | instskip(NEXT) | instid1(VALU_DEP_2)
	v_fmac_f32_e32 v16, s12, v13
	v_dual_fmac_f32 v17, s14, v13 :: v_dual_mov_b32 v14, v9
	v_mov_b32_e32 v13, v8
	s_branch .LBB128_90
.LBB128_89:                             ;   in Loop: Header=BB128_90 Depth=2
	s_or_b32 exec_lo, exec_lo, s19
	s_xor_b32 s19, s20, -1
	s_delay_alu instid0(SALU_CYCLE_1) | instskip(NEXT) | instid1(SALU_CYCLE_1)
	s_and_b32 s19, exec_lo, s19
	s_or_b32 s18, s19, s18
	s_delay_alu instid0(SALU_CYCLE_1)
	s_and_not1_b32 exec_lo, exec_lo, s18
	s_cbranch_execz .LBB128_100
.LBB128_90:                             ;   Parent Loop BB128_76 Depth=1
                                        ; =>  This Inner Loop Header: Depth=2
	s_delay_alu instid0(VALU_DEP_1)
	v_lshl_add_u32 v18, v13, 3, v24
	s_mov_b32 s19, exec_lo
                                        ; implicit-def: $sgpr20
	ds_load_b64 v[14:15], v18
	s_waitcnt lgkmcnt(0)
	v_cmpx_ne_u64_e64 v[14:15], v[6:7]
	s_xor_b32 s19, exec_lo, s19
	s_cbranch_execz .LBB128_98
; %bb.91:                               ;   in Loop: Header=BB128_90 Depth=2
	s_mov_b32 s21, exec_lo
                                        ; implicit-def: $sgpr20
	v_cmpx_ne_u64_e64 s[42:43], v[14:15]
	s_xor_b32 s21, exec_lo, s21
; %bb.92:                               ;   in Loop: Header=BB128_90 Depth=2
	v_add_nc_u32_e32 v13, 1, v13
	s_mov_b32 s20, -1
                                        ; implicit-def: $vgpr18
	s_delay_alu instid0(VALU_DEP_1)
	v_and_b32_e32 v13, 15, v13
; %bb.93:                               ;   in Loop: Header=BB128_90 Depth=2
	s_and_not1_saveexec_b32 s21, s21
	s_cbranch_execz .LBB128_97
; %bb.94:                               ;   in Loop: Header=BB128_90 Depth=2
	v_dual_mov_b32 v14, s42 :: v_dual_mov_b32 v15, s43
	s_mov_b32 s22, -1
	s_mov_b32 s23, exec_lo
	ds_cmpstore_rtn_b64 v[14:15], v18, v[6:7], v[14:15]
	s_waitcnt lgkmcnt(0)
	v_cmpx_eq_u64_e64 s[42:43], v[14:15]
	s_cbranch_execz .LBB128_96
; %bb.95:                               ;   in Loop: Header=BB128_90 Depth=2
	v_lshl_add_u32 v14, v13, 5, v26
	s_xor_b32 s22, exec_lo, -1
	ds_add_f32 v14, v16 offset:8
	ds_add_f32 v14, v17 offset:12
.LBB128_96:                             ;   in Loop: Header=BB128_90 Depth=2
	s_or_b32 exec_lo, exec_lo, s23
	s_delay_alu instid0(SALU_CYCLE_1) | instskip(SKIP_1) | instid1(SALU_CYCLE_1)
	s_and_not1_b32 s20, s20, exec_lo
	s_and_b32 s22, s22, exec_lo
	s_or_b32 s20, s20, s22
.LBB128_97:                             ;   in Loop: Header=BB128_90 Depth=2
	s_or_b32 exec_lo, exec_lo, s21
	s_delay_alu instid0(SALU_CYCLE_1)
	s_and_b32 s20, s20, exec_lo
.LBB128_98:                             ;   in Loop: Header=BB128_90 Depth=2
	s_and_not1_saveexec_b32 s19, s19
	s_cbranch_execz .LBB128_89
; %bb.99:                               ;   in Loop: Header=BB128_90 Depth=2
	v_lshl_add_u32 v14, v13, 5, v26
	s_and_not1_b32 s20, s20, exec_lo
	ds_add_f32 v14, v16 offset:8
	ds_add_f32 v14, v17 offset:12
	s_branch .LBB128_89
.LBB128_100:                            ;   in Loop: Header=BB128_76 Depth=1
	s_or_b32 exec_lo, exec_lo, s18
	s_waitcnt vmcnt(0)
	v_mul_f32_e64 v14, v12, -s14
	v_mul_f32_e32 v15, s12, v12
	s_mov_b32 s18, 0
	s_delay_alu instid0(VALU_DEP_2) | instskip(NEXT) | instid1(VALU_DEP_2)
	v_fmac_f32_e32 v14, s12, v11
	v_dual_fmac_f32 v15, s14, v11 :: v_dual_mov_b32 v12, v9
	v_mov_b32_e32 v11, v8
	s_branch .LBB128_102
.LBB128_101:                            ;   in Loop: Header=BB128_102 Depth=2
	s_or_b32 exec_lo, exec_lo, s19
	s_xor_b32 s19, s20, -1
	s_delay_alu instid0(SALU_CYCLE_1) | instskip(NEXT) | instid1(SALU_CYCLE_1)
	s_and_b32 s19, exec_lo, s19
	s_or_b32 s18, s19, s18
	s_delay_alu instid0(SALU_CYCLE_1)
	s_and_not1_b32 exec_lo, exec_lo, s18
	s_cbranch_execz .LBB128_112
.LBB128_102:                            ;   Parent Loop BB128_76 Depth=1
                                        ; =>  This Inner Loop Header: Depth=2
	s_delay_alu instid0(VALU_DEP_1)
	v_lshl_add_u32 v16, v11, 3, v24
	s_mov_b32 s19, exec_lo
                                        ; implicit-def: $sgpr20
	ds_load_b64 v[12:13], v16
	s_waitcnt lgkmcnt(0)
	v_cmpx_ne_u64_e64 v[12:13], v[6:7]
	s_xor_b32 s19, exec_lo, s19
	s_cbranch_execz .LBB128_110
; %bb.103:                              ;   in Loop: Header=BB128_102 Depth=2
	s_mov_b32 s21, exec_lo
                                        ; implicit-def: $sgpr20
	v_cmpx_ne_u64_e64 s[42:43], v[12:13]
	s_xor_b32 s21, exec_lo, s21
; %bb.104:                              ;   in Loop: Header=BB128_102 Depth=2
	v_add_nc_u32_e32 v11, 1, v11
	s_mov_b32 s20, -1
                                        ; implicit-def: $vgpr16
	s_delay_alu instid0(VALU_DEP_1)
	v_and_b32_e32 v11, 15, v11
; %bb.105:                              ;   in Loop: Header=BB128_102 Depth=2
	s_and_not1_saveexec_b32 s21, s21
	s_cbranch_execz .LBB128_109
; %bb.106:                              ;   in Loop: Header=BB128_102 Depth=2
	v_dual_mov_b32 v12, s42 :: v_dual_mov_b32 v13, s43
	s_mov_b32 s22, -1
	s_mov_b32 s23, exec_lo
	ds_cmpstore_rtn_b64 v[12:13], v16, v[6:7], v[12:13]
	s_waitcnt lgkmcnt(0)
	v_cmpx_eq_u64_e64 s[42:43], v[12:13]
	s_cbranch_execz .LBB128_108
; %bb.107:                              ;   in Loop: Header=BB128_102 Depth=2
	v_lshl_add_u32 v12, v11, 5, v26
	s_xor_b32 s22, exec_lo, -1
	ds_add_f32 v12, v14 offset:16
	ds_add_f32 v12, v15 offset:20
.LBB128_108:                            ;   in Loop: Header=BB128_102 Depth=2
	s_or_b32 exec_lo, exec_lo, s23
	s_delay_alu instid0(SALU_CYCLE_1) | instskip(SKIP_1) | instid1(SALU_CYCLE_1)
	s_and_not1_b32 s20, s20, exec_lo
	s_and_b32 s22, s22, exec_lo
	s_or_b32 s20, s20, s22
.LBB128_109:                            ;   in Loop: Header=BB128_102 Depth=2
	s_or_b32 exec_lo, exec_lo, s21
	s_delay_alu instid0(SALU_CYCLE_1)
	s_and_b32 s20, s20, exec_lo
.LBB128_110:                            ;   in Loop: Header=BB128_102 Depth=2
	s_and_not1_saveexec_b32 s19, s19
	s_cbranch_execz .LBB128_101
; %bb.111:                              ;   in Loop: Header=BB128_102 Depth=2
	v_lshl_add_u32 v12, v11, 5, v26
	s_and_not1_b32 s20, s20, exec_lo
	ds_add_f32 v12, v14 offset:16
	ds_add_f32 v12, v15 offset:20
	s_branch .LBB128_101
.LBB128_112:                            ;   in Loop: Header=BB128_76 Depth=1
	s_or_b32 exec_lo, exec_lo, s18
	v_mul_f32_e64 v11, v10, -s14
	v_mul_f32_e32 v12, s12, v10
	s_mov_b32 s18, 0
	s_delay_alu instid0(VALU_DEP_2) | instskip(NEXT) | instid1(VALU_DEP_2)
	v_fmac_f32_e32 v11, s12, v9
	v_fmac_f32_e32 v12, s14, v9
	s_branch .LBB128_114
.LBB128_113:                            ;   in Loop: Header=BB128_114 Depth=2
	s_or_b32 exec_lo, exec_lo, s19
	s_xor_b32 s19, s20, -1
	s_delay_alu instid0(SALU_CYCLE_1) | instskip(NEXT) | instid1(SALU_CYCLE_1)
	s_and_b32 s19, exec_lo, s19
	s_or_b32 s18, s19, s18
	s_delay_alu instid0(SALU_CYCLE_1)
	s_and_not1_b32 exec_lo, exec_lo, s18
	s_cbranch_execz .LBB128_75
.LBB128_114:                            ;   Parent Loop BB128_76 Depth=1
                                        ; =>  This Inner Loop Header: Depth=2
	v_lshl_add_u32 v13, v8, 3, v24
	s_mov_b32 s19, exec_lo
                                        ; implicit-def: $sgpr20
	ds_load_b64 v[9:10], v13
	s_waitcnt lgkmcnt(0)
	v_cmpx_ne_u64_e64 v[9:10], v[6:7]
	s_xor_b32 s19, exec_lo, s19
	s_cbranch_execz .LBB128_122
; %bb.115:                              ;   in Loop: Header=BB128_114 Depth=2
	s_mov_b32 s21, exec_lo
                                        ; implicit-def: $sgpr20
	v_cmpx_ne_u64_e64 s[42:43], v[9:10]
	s_xor_b32 s21, exec_lo, s21
; %bb.116:                              ;   in Loop: Header=BB128_114 Depth=2
	v_add_nc_u32_e32 v8, 1, v8
	s_mov_b32 s20, -1
                                        ; implicit-def: $vgpr13
	s_delay_alu instid0(VALU_DEP_1)
	v_and_b32_e32 v8, 15, v8
; %bb.117:                              ;   in Loop: Header=BB128_114 Depth=2
	s_and_not1_saveexec_b32 s21, s21
	s_cbranch_execz .LBB128_121
; %bb.118:                              ;   in Loop: Header=BB128_114 Depth=2
	v_dual_mov_b32 v9, s42 :: v_dual_mov_b32 v10, s43
	s_mov_b32 s22, -1
	s_mov_b32 s23, exec_lo
	ds_cmpstore_rtn_b64 v[9:10], v13, v[6:7], v[9:10]
	s_waitcnt lgkmcnt(0)
	v_cmpx_eq_u64_e64 s[42:43], v[9:10]
	s_cbranch_execz .LBB128_120
; %bb.119:                              ;   in Loop: Header=BB128_114 Depth=2
	v_lshl_add_u32 v9, v8, 5, v26
	s_xor_b32 s22, exec_lo, -1
	ds_add_f32 v9, v11 offset:24
	ds_add_f32 v9, v12 offset:28
.LBB128_120:                            ;   in Loop: Header=BB128_114 Depth=2
	s_or_b32 exec_lo, exec_lo, s23
	s_delay_alu instid0(SALU_CYCLE_1) | instskip(SKIP_1) | instid1(SALU_CYCLE_1)
	s_and_not1_b32 s20, s20, exec_lo
	s_and_b32 s22, s22, exec_lo
	s_or_b32 s20, s20, s22
.LBB128_121:                            ;   in Loop: Header=BB128_114 Depth=2
	s_or_b32 exec_lo, exec_lo, s21
	s_delay_alu instid0(SALU_CYCLE_1)
	s_and_b32 s20, s20, exec_lo
.LBB128_122:                            ;   in Loop: Header=BB128_114 Depth=2
	s_and_not1_saveexec_b32 s19, s19
	s_cbranch_execz .LBB128_113
; %bb.123:                              ;   in Loop: Header=BB128_114 Depth=2
	v_lshl_add_u32 v9, v8, 5, v26
	s_and_not1_b32 s20, s20, exec_lo
	ds_add_f32 v9, v11 offset:24
	ds_add_f32 v9, v12 offset:28
	s_branch .LBB128_113
.LBB128_124:
	s_or_b32 exec_lo, exec_lo, s13
.LBB128_125:
	s_waitcnt lgkmcnt(0)
	buffer_gl0_inv
	ds_load_b64 v[0:1], v27
	s_waitcnt lgkmcnt(0)
	v_cmp_gt_i64_e32 vcc_lo, s[42:43], v[0:1]
	s_and_b32 exec_lo, exec_lo, vcc_lo
	s_cbranch_execz .LBB128_127
; %bb.126:
	v_add_co_u32 v2, vcc_lo, s8, v4
	v_add_co_ci_u32_e32 v3, vcc_lo, s9, v5, vcc_lo
	v_lshlrev_b32_e32 v41, 2, v25
	v_lshl_add_u32 v35, v25, 5, v26
	s_cmp_eq_u32 s0, 0
	global_load_b64 v[39:40], v[2:3], off
	ds_load_b128 v[2:5], v24
	ds_load_b128 v[6:9], v24 offset:16
	ds_load_b128 v[10:13], v24 offset:32
	;; [unrolled: 1-line block ×7, first 2 shown]
	ds_load_2addr_b64 v[35:38], v35 offset1:3
	s_cselect_b32 s0, 1, 2
	s_waitcnt lgkmcnt(8)
	v_cmp_gt_i64_e32 vcc_lo, v[0:1], v[2:3]
	v_cndmask_b32_e64 v2, 0, 1, vcc_lo
	s_waitcnt vmcnt(0)
	v_sub_co_u32 v3, vcc_lo, v39, s38
	v_subrev_co_ci_u32_e32 v39, vcc_lo, 0, v40, vcc_lo
	v_cmp_gt_i64_e32 vcc_lo, v[0:1], v[4:5]
	v_cndmask_b32_e64 v4, 0, 1, vcc_lo
	s_delay_alu instid0(VALU_DEP_4) | instskip(NEXT) | instid1(VALU_DEP_4)
	v_add_co_u32 v2, vcc_lo, v3, v2
	v_add_co_ci_u32_e32 v3, vcc_lo, 0, v39, vcc_lo
	s_waitcnt lgkmcnt(7)
	v_cmp_gt_i64_e32 vcc_lo, v[0:1], v[6:7]
	v_cndmask_b32_e64 v5, 0, 1, vcc_lo
	v_add_co_u32 v2, vcc_lo, v2, v4
	v_add_co_ci_u32_e32 v3, vcc_lo, 0, v3, vcc_lo
	v_cmp_gt_i64_e32 vcc_lo, v[0:1], v[8:9]
	v_cndmask_b32_e64 v4, 0, 1, vcc_lo
	s_delay_alu instid0(VALU_DEP_4) | instskip(NEXT) | instid1(VALU_DEP_4)
	v_add_co_u32 v2, vcc_lo, v2, v5
	v_add_co_ci_u32_e32 v3, vcc_lo, 0, v3, vcc_lo
	s_waitcnt lgkmcnt(6)
	v_cmp_gt_i64_e32 vcc_lo, v[0:1], v[10:11]
	v_cndmask_b32_e64 v5, 0, 1, vcc_lo
	v_add_co_u32 v2, vcc_lo, v2, v4
	v_add_co_ci_u32_e32 v3, vcc_lo, 0, v3, vcc_lo
	;; [unrolled: 10-line block ×7, first 2 shown]
	v_cmp_gt_i64_e32 vcc_lo, v[0:1], v[24:25]
	v_cndmask_b32_e64 v4, 0, 1, vcc_lo
	s_delay_alu instid0(VALU_DEP_4) | instskip(NEXT) | instid1(VALU_DEP_4)
	v_add_co_u32 v2, vcc_lo, v2, v5
	v_add_co_ci_u32_e32 v3, vcc_lo, 0, v3, vcc_lo
	s_delay_alu instid0(VALU_DEP_2)
	v_add_co_u32 v6, vcc_lo, v2, v4
	s_waitcnt lgkmcnt(0)
	v_mov_b32_e32 v2, v35
	v_or_b32_e32 v42, s0, v41
	s_cselect_b32 s0, 2, 1
	v_add_co_ci_u32_e32 v7, vcc_lo, 0, v3, vcc_lo
	v_or_b32_e32 v41, s0, v41
	s_delay_alu instid0(VALU_DEP_3) | instskip(SKIP_2) | instid1(VALU_DEP_4)
	v_lshl_add_u32 v42, v42, 3, v26
	v_mov_b32_e32 v3, v36
	v_add_co_u32 v0, vcc_lo, v0, s38
	v_lshl_add_u32 v8, v41, 3, v26
	ds_load_b64 v[4:5], v42
	ds_load_b64 v[35:36], v8
	v_lshlrev_b64 v[8:9], 3, v[6:7]
	v_lshlrev_b64 v[6:7], 5, v[6:7]
	v_add_co_ci_u32_e32 v1, vcc_lo, 0, v1, vcc_lo
	s_delay_alu instid0(VALU_DEP_3) | instskip(NEXT) | instid1(VALU_DEP_4)
	v_add_co_u32 v8, vcc_lo, s10, v8
	v_add_co_ci_u32_e32 v9, vcc_lo, s11, v9, vcc_lo
	s_delay_alu instid0(VALU_DEP_4)
	v_add_co_u32 v6, vcc_lo, s2, v6
	v_add_co_ci_u32_e32 v7, vcc_lo, s3, v7, vcc_lo
	global_store_b64 v[8:9], v[0:1], off
	s_waitcnt lgkmcnt(1)
	global_store_b128 v[6:7], v[2:5], off
	s_waitcnt lgkmcnt(0)
	global_store_b128 v[6:7], v[35:38], off offset:16
.LBB128_127:
	s_nop 0
	s_sendmsg sendmsg(MSG_DEALLOC_VGPRS)
	s_endpgm
	.section	.rodata,"a",@progbits
	.p2align	6, 0x0
	.amdhsa_kernel _ZN9rocsparseL27bsrgemm_fill_wf_per_row_2x2ILj256ELj16ELj16ELj137Ell21rocsparse_complex_numIfEEEv20rocsparse_direction_T4_S4_PKS4_S6_NS_24const_host_device_scalarIT5_EEPKT3_S6_PKS8_SC_S6_SE_S9_SC_S6_SE_SC_PS4_PS8_21rocsparse_index_base_SH_SH_SH_bbb
		.amdhsa_group_segment_fixed_size 10240
		.amdhsa_private_segment_fixed_size 0
		.amdhsa_kernarg_size 172
		.amdhsa_user_sgpr_count 15
		.amdhsa_user_sgpr_dispatch_ptr 0
		.amdhsa_user_sgpr_queue_ptr 0
		.amdhsa_user_sgpr_kernarg_segment_ptr 1
		.amdhsa_user_sgpr_dispatch_id 0
		.amdhsa_user_sgpr_private_segment_size 0
		.amdhsa_wavefront_size32 1
		.amdhsa_uses_dynamic_stack 0
		.amdhsa_enable_private_segment 0
		.amdhsa_system_sgpr_workgroup_id_x 1
		.amdhsa_system_sgpr_workgroup_id_y 0
		.amdhsa_system_sgpr_workgroup_id_z 0
		.amdhsa_system_sgpr_workgroup_info 0
		.amdhsa_system_vgpr_workitem_id 0
		.amdhsa_next_free_vgpr 43
		.amdhsa_next_free_sgpr 48
		.amdhsa_reserve_vcc 1
		.amdhsa_float_round_mode_32 0
		.amdhsa_float_round_mode_16_64 0
		.amdhsa_float_denorm_mode_32 3
		.amdhsa_float_denorm_mode_16_64 3
		.amdhsa_dx10_clamp 1
		.amdhsa_ieee_mode 1
		.amdhsa_fp16_overflow 0
		.amdhsa_workgroup_processor_mode 1
		.amdhsa_memory_ordered 1
		.amdhsa_forward_progress 0
		.amdhsa_shared_vgpr_count 0
		.amdhsa_exception_fp_ieee_invalid_op 0
		.amdhsa_exception_fp_denorm_src 0
		.amdhsa_exception_fp_ieee_div_zero 0
		.amdhsa_exception_fp_ieee_overflow 0
		.amdhsa_exception_fp_ieee_underflow 0
		.amdhsa_exception_fp_ieee_inexact 0
		.amdhsa_exception_int_div_zero 0
	.end_amdhsa_kernel
	.section	.text._ZN9rocsparseL27bsrgemm_fill_wf_per_row_2x2ILj256ELj16ELj16ELj137Ell21rocsparse_complex_numIfEEEv20rocsparse_direction_T4_S4_PKS4_S6_NS_24const_host_device_scalarIT5_EEPKT3_S6_PKS8_SC_S6_SE_S9_SC_S6_SE_SC_PS4_PS8_21rocsparse_index_base_SH_SH_SH_bbb,"axG",@progbits,_ZN9rocsparseL27bsrgemm_fill_wf_per_row_2x2ILj256ELj16ELj16ELj137Ell21rocsparse_complex_numIfEEEv20rocsparse_direction_T4_S4_PKS4_S6_NS_24const_host_device_scalarIT5_EEPKT3_S6_PKS8_SC_S6_SE_S9_SC_S6_SE_SC_PS4_PS8_21rocsparse_index_base_SH_SH_SH_bbb,comdat
.Lfunc_end128:
	.size	_ZN9rocsparseL27bsrgemm_fill_wf_per_row_2x2ILj256ELj16ELj16ELj137Ell21rocsparse_complex_numIfEEEv20rocsparse_direction_T4_S4_PKS4_S6_NS_24const_host_device_scalarIT5_EEPKT3_S6_PKS8_SC_S6_SE_S9_SC_S6_SE_SC_PS4_PS8_21rocsparse_index_base_SH_SH_SH_bbb, .Lfunc_end128-_ZN9rocsparseL27bsrgemm_fill_wf_per_row_2x2ILj256ELj16ELj16ELj137Ell21rocsparse_complex_numIfEEEv20rocsparse_direction_T4_S4_PKS4_S6_NS_24const_host_device_scalarIT5_EEPKT3_S6_PKS8_SC_S6_SE_S9_SC_S6_SE_SC_PS4_PS8_21rocsparse_index_base_SH_SH_SH_bbb
                                        ; -- End function
	.section	.AMDGPU.csdata,"",@progbits
; Kernel info:
; codeLenInByte = 4928
; NumSgprs: 50
; NumVgprs: 43
; ScratchSize: 0
; MemoryBound: 0
; FloatMode: 240
; IeeeMode: 1
; LDSByteSize: 10240 bytes/workgroup (compile time only)
; SGPRBlocks: 6
; VGPRBlocks: 5
; NumSGPRsForWavesPerEU: 50
; NumVGPRsForWavesPerEU: 43
; Occupancy: 16
; WaveLimiterHint : 1
; COMPUTE_PGM_RSRC2:SCRATCH_EN: 0
; COMPUTE_PGM_RSRC2:USER_SGPR: 15
; COMPUTE_PGM_RSRC2:TRAP_HANDLER: 0
; COMPUTE_PGM_RSRC2:TGID_X_EN: 1
; COMPUTE_PGM_RSRC2:TGID_Y_EN: 0
; COMPUTE_PGM_RSRC2:TGID_Z_EN: 0
; COMPUTE_PGM_RSRC2:TIDIG_COMP_CNT: 0
	.section	.text._ZN9rocsparseL27bsrgemm_fill_wf_per_row_2x2ILj256ELj16ELj32ELj137Ell21rocsparse_complex_numIfEEEv20rocsparse_direction_T4_S4_PKS4_S6_NS_24const_host_device_scalarIT5_EEPKT3_S6_PKS8_SC_S6_SE_S9_SC_S6_SE_SC_PS4_PS8_21rocsparse_index_base_SH_SH_SH_bbb,"axG",@progbits,_ZN9rocsparseL27bsrgemm_fill_wf_per_row_2x2ILj256ELj16ELj32ELj137Ell21rocsparse_complex_numIfEEEv20rocsparse_direction_T4_S4_PKS4_S6_NS_24const_host_device_scalarIT5_EEPKT3_S6_PKS8_SC_S6_SE_S9_SC_S6_SE_SC_PS4_PS8_21rocsparse_index_base_SH_SH_SH_bbb,comdat
	.globl	_ZN9rocsparseL27bsrgemm_fill_wf_per_row_2x2ILj256ELj16ELj32ELj137Ell21rocsparse_complex_numIfEEEv20rocsparse_direction_T4_S4_PKS4_S6_NS_24const_host_device_scalarIT5_EEPKT3_S6_PKS8_SC_S6_SE_S9_SC_S6_SE_SC_PS4_PS8_21rocsparse_index_base_SH_SH_SH_bbb ; -- Begin function _ZN9rocsparseL27bsrgemm_fill_wf_per_row_2x2ILj256ELj16ELj32ELj137Ell21rocsparse_complex_numIfEEEv20rocsparse_direction_T4_S4_PKS4_S6_NS_24const_host_device_scalarIT5_EEPKT3_S6_PKS8_SC_S6_SE_S9_SC_S6_SE_SC_PS4_PS8_21rocsparse_index_base_SH_SH_SH_bbb
	.p2align	8
	.type	_ZN9rocsparseL27bsrgemm_fill_wf_per_row_2x2ILj256ELj16ELj32ELj137Ell21rocsparse_complex_numIfEEEv20rocsparse_direction_T4_S4_PKS4_S6_NS_24const_host_device_scalarIT5_EEPKT3_S6_PKS8_SC_S6_SE_S9_SC_S6_SE_SC_PS4_PS8_21rocsparse_index_base_SH_SH_SH_bbb,@function
_ZN9rocsparseL27bsrgemm_fill_wf_per_row_2x2ILj256ELj16ELj32ELj137Ell21rocsparse_complex_numIfEEEv20rocsparse_direction_T4_S4_PKS4_S6_NS_24const_host_device_scalarIT5_EEPKT3_S6_PKS8_SC_S6_SE_S9_SC_S6_SE_SC_PS4_PS8_21rocsparse_index_base_SH_SH_SH_bbb: ; @_ZN9rocsparseL27bsrgemm_fill_wf_per_row_2x2ILj256ELj16ELj32ELj137Ell21rocsparse_complex_numIfEEEv20rocsparse_direction_T4_S4_PKS4_S6_NS_24const_host_device_scalarIT5_EEPKT3_S6_PKS8_SC_S6_SE_S9_SC_S6_SE_SC_PS4_PS8_21rocsparse_index_base_SH_SH_SH_bbb
; %bb.0:
	s_clause 0x6
	s_load_b32 s14, s[0:1], 0xa8
	s_load_b256 s[4:11], s[0:1], 0x70
	s_load_b256 s[16:23], s[0:1], 0x50
	s_load_b128 s[44:47], s[0:1], 0x18
	s_load_b256 s[24:31], s[0:1], 0x30
	s_load_b64 s[2:3], s[0:1], 0x90
	s_load_b128 s[36:39], s[0:1], 0x98
	s_mov_b32 s13, 0
	s_mov_b32 s33, 0
	s_waitcnt lgkmcnt(0)
	s_bitcmp1_b32 s14, 0
	s_cselect_b32 s35, -1, 0
	s_bitcmp1_b32 s14, 16
	s_cselect_b32 s12, -1, 0
	s_delay_alu instid0(SALU_CYCLE_1) | instskip(SKIP_2) | instid1(VALU_DEP_1)
	s_xor_b32 s34, s12, -1
	s_bitcmp0_b32 s14, 0
	v_cndmask_b32_e64 v1, 0, 1, s34
	v_cmp_ne_u32_e32 vcc_lo, 1, v1
	s_cbranch_scc1 .LBB129_5
; %bb.1:
	s_load_b64 s[12:13], s[0:1], 0x28
	s_and_b32 vcc_lo, exec_lo, vcc_lo
	s_waitcnt lgkmcnt(0)
	s_mov_b32 s33, s12
	s_cbranch_vccnz .LBB129_3
; %bb.2:
	s_load_b32 s33, s[12:13], 0x0
.LBB129_3:
	s_and_not1_b32 vcc_lo, exec_lo, s34
	s_cbranch_vccnz .LBB129_5
; %bb.4:
	s_load_b32 s13, s[12:13], 0x4
.LBB129_5:
	s_bitcmp1_b32 s14, 8
	s_cselect_b32 s34, -1, 0
	s_bfe_u32 s12, s14, 0x10008
	s_mov_b32 s14, 0
	s_cmp_eq_u32 s12, 0
	s_mov_b32 s12, 0
	s_cbranch_scc1 .LBB129_11
; %bb.6:
	v_cmp_ne_u32_e32 vcc_lo, 1, v1
	s_mov_b32 s12, s20
	s_cbranch_vccnz .LBB129_8
; %bb.7:
	s_load_b32 s12, s[20:21], 0x0
.LBB129_8:
	v_cmp_ne_u32_e32 vcc_lo, 1, v1
	s_cbranch_vccnz .LBB129_10
; %bb.9:
	s_load_b32 s21, s[20:21], 0x4
.LBB129_10:
	s_waitcnt lgkmcnt(0)
	s_mov_b32 s14, s21
.LBB129_11:
	s_load_b128 s[40:43], s[0:1], 0x8
	v_lshrrev_b32_e32 v2, 4, v0
	v_and_b32_e32 v27, 15, v0
	s_mov_b32 s20, 0
	s_delay_alu instid0(VALU_DEP_2) | instskip(NEXT) | instid1(VALU_DEP_2)
	v_lshlrev_b32_e32 v0, 8, v2
	v_lshlrev_b32_e32 v3, 3, v27
	s_delay_alu instid0(VALU_DEP_1) | instskip(NEXT) | instid1(VALU_DEP_1)
	v_or3_b32 v24, v0, v3, 0x4000
	v_mov_b32_e32 v4, v24
	v_or_b32_e32 v25, -16, v27
	s_waitcnt lgkmcnt(0)
	v_dual_mov_b32 v0, s42 :: v_dual_mov_b32 v1, s43
	s_delay_alu instid0(VALU_DEP_2)
	v_mov_b32_e32 v5, v25
.LBB129_12:                             ; =>This Inner Loop Header: Depth=1
	s_delay_alu instid0(VALU_DEP_1) | instskip(NEXT) | instid1(VALU_DEP_1)
	v_add_co_u32 v5, s21, v5, 16
	s_xor_b32 s21, s21, -1
	ds_store_b64 v4, v[0:1]
	v_add_nc_u32_e32 v4, 0x80, v4
	s_and_b32 s21, exec_lo, s21
	s_delay_alu instid0(SALU_CYCLE_1) | instskip(NEXT) | instid1(SALU_CYCLE_1)
	s_or_b32 s20, s21, s20
	s_and_not1_b32 exec_lo, exec_lo, s20
	s_cbranch_execnz .LBB129_12
; %bb.13:
	s_or_b32 exec_lo, exec_lo, s20
	v_mov_b32_e32 v0, 0
	v_lshlrev_b32_e32 v28, 10, v2
	v_mov_b32_e32 v4, v25
	s_mov_b32 s20, 0
	s_delay_alu instid0(VALU_DEP_3) | instskip(NEXT) | instid1(VALU_DEP_3)
	v_mov_b32_e32 v1, v0
	v_or_b32_e32 v3, v28, v3
.LBB129_14:                             ; =>This Inner Loop Header: Depth=1
	s_delay_alu instid0(VALU_DEP_3) | instskip(SKIP_4) | instid1(SALU_CYCLE_1)
	v_add_nc_u32_e32 v4, 16, v4
	ds_store_b64 v3, v[0:1]
	v_add_nc_u32_e32 v3, 0x80, v3
	v_cmp_lt_u32_e32 vcc_lo, 0x6f, v4
	s_or_b32 s20, vcc_lo, s20
	s_and_not1_b32 exec_lo, exec_lo, s20
	s_cbranch_execnz .LBB129_14
; %bb.15:
	s_or_b32 exec_lo, exec_lo, s20
	v_lshl_or_b32 v0, s15, 4, v2
	v_mov_b32_e32 v1, 0
	s_waitcnt lgkmcnt(0)
	s_barrier
	buffer_gl0_inv
	s_mov_b32 s15, exec_lo
	v_cmpx_gt_i64_e64 s[40:41], v[0:1]
	s_cbranch_execz .LBB129_131
; %bb.16:
	s_cmp_eq_u64 s[46:47], 0
	s_cbranch_scc1 .LBB129_18
; %bb.17:
	s_load_b64 s[20:21], s[44:45], 0x0
	v_lshlrev_b64 v[0:1], 3, v[0:1]
	s_waitcnt lgkmcnt(0)
	s_lshl_b64 s[20:21], s[20:21], 3
	s_delay_alu instid0(SALU_CYCLE_1) | instskip(SKIP_1) | instid1(VALU_DEP_1)
	s_add_u32 s15, s46, s20
	s_addc_u32 s20, s47, s21
	v_add_co_u32 v0, vcc_lo, s15, v0
	v_add_co_ci_u32_e32 v1, vcc_lo, s20, v1, vcc_lo
	global_load_b64 v[0:1], v[0:1], off
.LBB129_18:
	s_load_b32 s0, s[0:1], 0x0
	s_waitcnt vmcnt(0)
	v_lshlrev_b64 v[4:5], 3, v[0:1]
	v_lshl_or_b32 v26, v2, 8, 0x4000
	s_and_not1_b32 vcc_lo, exec_lo, s35
	s_cbranch_vccnz .LBB129_74
; %bb.19:
	s_delay_alu instid0(VALU_DEP_2) | instskip(NEXT) | instid1(VALU_DEP_3)
	v_add_co_u32 v0, vcc_lo, s24, v4
	v_add_co_ci_u32_e32 v1, vcc_lo, s25, v5, vcc_lo
	v_sub_co_u32 v8, s1, v27, s36
	s_delay_alu instid0(VALU_DEP_1)
	v_sub_co_ci_u32_e64 v9, null, 0, 0, s1
	global_load_b128 v[0:3], v[0:1], off
	s_mov_b32 s15, 0
	s_mov_b32 s1, exec_lo
	s_waitcnt vmcnt(0)
	v_sub_co_u32 v6, vcc_lo, v2, s36
	v_subrev_co_ci_u32_e32 v7, vcc_lo, 0, v3, vcc_lo
	v_add_co_u32 v8, vcc_lo, v0, v8
	v_add_co_ci_u32_e32 v9, vcc_lo, v1, v9, vcc_lo
	s_delay_alu instid0(VALU_DEP_1)
	v_cmpx_lt_i64_e64 v[8:9], v[6:7]
	s_cbranch_execz .LBB129_73
; %bb.20:
	s_waitcnt lgkmcnt(0)
	s_cmp_eq_u32 s0, 0
	s_mov_b32 s20, s37
	s_cselect_b32 s21, 2, 1
	s_cselect_b32 s24, 1, 2
	s_branch .LBB129_22
.LBB129_21:                             ;   in Loop: Header=BB129_22 Depth=1
	s_or_b32 exec_lo, exec_lo, s25
	v_add_co_u32 v8, vcc_lo, v8, 16
	v_add_co_ci_u32_e32 v9, vcc_lo, 0, v9, vcc_lo
	s_delay_alu instid0(VALU_DEP_1) | instskip(SKIP_1) | instid1(SALU_CYCLE_1)
	v_cmp_ge_i64_e32 vcc_lo, v[8:9], v[6:7]
	s_or_b32 s15, vcc_lo, s15
	s_and_not1_b32 exec_lo, exec_lo, s15
	s_cbranch_execz .LBB129_73
.LBB129_22:                             ; =>This Loop Header: Depth=1
                                        ;     Child Loop BB129_25 Depth 2
                                        ;       Child Loop BB129_27 Depth 3
                                        ;       Child Loop BB129_39 Depth 3
	;; [unrolled: 1-line block ×4, first 2 shown]
	v_lshlrev_b64 v[0:1], 3, v[8:9]
	s_mov_b32 s25, exec_lo
	s_delay_alu instid0(VALU_DEP_1) | instskip(NEXT) | instid1(VALU_DEP_2)
	v_add_co_u32 v0, vcc_lo, s26, v0
	v_add_co_ci_u32_e32 v1, vcc_lo, s27, v1, vcc_lo
	global_load_b64 v[0:1], v[0:1], off
	s_waitcnt vmcnt(0)
	v_sub_co_u32 v0, vcc_lo, v0, s36
	v_subrev_co_ci_u32_e32 v1, vcc_lo, 0, v1, vcc_lo
	s_delay_alu instid0(VALU_DEP_1) | instskip(NEXT) | instid1(VALU_DEP_1)
	v_lshlrev_b64 v[0:1], 3, v[0:1]
	v_add_co_u32 v0, vcc_lo, s30, v0
	s_delay_alu instid0(VALU_DEP_2)
	v_add_co_ci_u32_e32 v1, vcc_lo, s31, v1, vcc_lo
	global_load_b128 v[0:3], v[0:1], off
	s_waitcnt vmcnt(0)
	v_cmpx_lt_i64_e64 v[0:1], v[2:3]
	s_cbranch_execz .LBB129_21
; %bb.23:                               ;   in Loop: Header=BB129_22 Depth=1
	v_lshlrev_b64 v[10:11], 2, v[8:9]
	v_lshlrev_b64 v[12:13], 5, v[8:9]
	s_mov_b32 s35, 0
	s_delay_alu instid0(VALU_DEP_2) | instskip(NEXT) | instid1(VALU_DEP_3)
	v_or_b32_e32 v15, 0, v11
	v_or_b32_e32 v14, s21, v10
	v_or_b32_e32 v11, 0, v11
	v_or_b32_e32 v10, s24, v10
	v_add_co_u32 v12, vcc_lo, s28, v12
	s_delay_alu instid0(VALU_DEP_4) | instskip(SKIP_1) | instid1(VALU_DEP_4)
	v_lshlrev_b64 v[14:15], 3, v[14:15]
	v_add_co_ci_u32_e32 v13, vcc_lo, s29, v13, vcc_lo
	v_lshlrev_b64 v[10:11], 3, v[10:11]
	global_load_b64 v[16:17], v[12:13], off
	v_add_co_u32 v14, vcc_lo, s28, v14
	v_add_co_ci_u32_e32 v15, vcc_lo, s29, v15, vcc_lo
	v_add_co_u32 v10, vcc_lo, s28, v10
	v_add_co_ci_u32_e32 v11, vcc_lo, s29, v11, vcc_lo
	s_clause 0x2
	global_load_b64 v[14:15], v[14:15], off
	global_load_b64 v[10:11], v[10:11], off
	global_load_b64 v[12:13], v[12:13], off offset:24
	v_sub_co_u32 v2, vcc_lo, v2, s20
	v_subrev_co_ci_u32_e32 v3, vcc_lo, 0, v3, vcc_lo
	v_sub_co_u32 v0, vcc_lo, v0, s20
	v_subrev_co_ci_u32_e32 v1, vcc_lo, 0, v1, vcc_lo
	s_waitcnt vmcnt(3)
	v_mul_f32_e64 v29, v17, -s13
	s_delay_alu instid0(VALU_DEP_1) | instskip(NEXT) | instid1(VALU_DEP_1)
	v_dual_mul_f32 v30, s33, v17 :: v_dual_fmac_f32 v29, s33, v16
	v_fmac_f32_e32 v30, s13, v16
	s_waitcnt vmcnt(2)
	v_mul_f32_e64 v31, v15, -s13
	s_waitcnt vmcnt(0)
	v_dual_mul_f32 v32, s33, v15 :: v_dual_mul_f32 v33, s33, v13
	v_mul_f32_e64 v34, v13, -s13
	v_mul_f32_e64 v36, v11, -s13
	v_fmac_f32_e32 v31, s33, v14
	s_delay_alu instid0(VALU_DEP_4) | instskip(NEXT) | instid1(VALU_DEP_3)
	v_dual_mul_f32 v35, s33, v11 :: v_dual_fmac_f32 v32, s13, v14
	v_dual_fmac_f32 v33, s13, v12 :: v_dual_fmac_f32 v36, s33, v10
	s_delay_alu instid0(VALU_DEP_2)
	v_dual_fmac_f32 v34, s33, v12 :: v_dual_fmac_f32 v35, s13, v10
	s_branch .LBB129_25
.LBB129_24:                             ;   in Loop: Header=BB129_25 Depth=2
	s_or_b32 exec_lo, exec_lo, s37
	v_add_co_u32 v0, vcc_lo, v0, 1
	v_add_co_ci_u32_e32 v1, vcc_lo, 0, v1, vcc_lo
	s_delay_alu instid0(VALU_DEP_1) | instskip(SKIP_1) | instid1(SALU_CYCLE_1)
	v_cmp_ge_i64_e32 vcc_lo, v[0:1], v[2:3]
	s_or_b32 s35, vcc_lo, s35
	s_and_not1_b32 exec_lo, exec_lo, s35
	s_cbranch_execz .LBB129_21
.LBB129_25:                             ;   Parent Loop BB129_22 Depth=1
                                        ; =>  This Loop Header: Depth=2
                                        ;       Child Loop BB129_27 Depth 3
                                        ;       Child Loop BB129_39 Depth 3
	;; [unrolled: 1-line block ×4, first 2 shown]
	v_lshlrev_b64 v[10:11], 2, v[0:1]
	v_lshlrev_b64 v[14:15], 3, v[0:1]
	;; [unrolled: 1-line block ×3, first 2 shown]
	s_mov_b32 s37, 0
	s_delay_alu instid0(VALU_DEP_3) | instskip(NEXT) | instid1(VALU_DEP_4)
	v_or_b32_e32 v13, 0, v11
	v_or_b32_e32 v12, s21, v10
	;; [unrolled: 1-line block ×4, first 2 shown]
	s_delay_alu instid0(VALU_DEP_3) | instskip(NEXT) | instid1(VALU_DEP_2)
	v_lshlrev_b64 v[12:13], 3, v[12:13]
	v_lshlrev_b64 v[10:11], 3, v[10:11]
	s_delay_alu instid0(VALU_DEP_2) | instskip(NEXT) | instid1(VALU_DEP_3)
	v_add_co_u32 v12, vcc_lo, s18, v12
	v_add_co_ci_u32_e32 v13, vcc_lo, s19, v13, vcc_lo
	v_add_co_u32 v14, vcc_lo, s16, v14
	v_add_co_ci_u32_e32 v15, vcc_lo, s17, v15, vcc_lo
	global_load_b64 v[19:20], v[12:13], off
	global_load_b64 v[21:22], v[14:15], off
	v_add_co_u32 v15, vcc_lo, s18, v16
	v_add_co_ci_u32_e32 v16, vcc_lo, s19, v17, vcc_lo
	v_add_co_u32 v10, vcc_lo, s18, v10
	v_add_co_ci_u32_e32 v11, vcc_lo, s19, v11, vcc_lo
	s_clause 0x2
	global_load_b64 v[17:18], v[15:16], off
	global_load_b64 v[13:14], v[10:11], off
	global_load_b64 v[15:16], v[15:16], off offset:24
	s_waitcnt vmcnt(4)
	v_mul_f32_e64 v23, v20, -v35
	s_waitcnt vmcnt(3)
	v_sub_co_u32 v10, vcc_lo, v21, s20
	v_subrev_co_ci_u32_e32 v11, vcc_lo, 0, v22, vcc_lo
	s_delay_alu instid0(VALU_DEP_2) | instskip(NEXT) | instid1(VALU_DEP_1)
	v_lshl_add_u32 v12, v10, 3, v10
	v_dual_fmac_f32 v23, v36, v19 :: v_dual_and_b32 v12, 31, v12
	s_waitcnt vmcnt(1)
	v_dual_mul_f32 v37, v36, v20 :: v_dual_mov_b32 v22, v13
	s_delay_alu instid0(VALU_DEP_2) | instskip(NEXT) | instid1(VALU_DEP_3)
	v_fmac_f32_e32 v23, v29, v17
	v_mov_b32_e32 v21, v12
	s_delay_alu instid0(VALU_DEP_3) | instskip(NEXT) | instid1(VALU_DEP_3)
	v_fmac_f32_e32 v37, v35, v19
	v_fma_f32 v38, -v30, v18, v23
	s_delay_alu instid0(VALU_DEP_2) | instskip(NEXT) | instid1(VALU_DEP_1)
	v_fmac_f32_e32 v37, v30, v17
	v_fmac_f32_e32 v37, v29, v18
	s_branch .LBB129_27
.LBB129_26:                             ;   in Loop: Header=BB129_27 Depth=3
	s_or_b32 exec_lo, exec_lo, s40
	s_xor_b32 s40, s41, -1
	s_delay_alu instid0(SALU_CYCLE_1) | instskip(NEXT) | instid1(SALU_CYCLE_1)
	s_and_b32 s40, exec_lo, s40
	s_or_b32 s37, s40, s37
	s_delay_alu instid0(SALU_CYCLE_1)
	s_and_not1_b32 exec_lo, exec_lo, s37
	s_cbranch_execz .LBB129_37
.LBB129_27:                             ;   Parent Loop BB129_22 Depth=1
                                        ;     Parent Loop BB129_25 Depth=2
                                        ; =>    This Inner Loop Header: Depth=3
	v_lshl_add_u32 v39, v21, 3, v26
	s_mov_b32 s40, exec_lo
                                        ; implicit-def: $sgpr41
	ds_load_b64 v[22:23], v39
	s_waitcnt lgkmcnt(0)
	v_cmpx_ne_u64_e64 v[22:23], v[10:11]
	s_xor_b32 s40, exec_lo, s40
	s_cbranch_execz .LBB129_35
; %bb.28:                               ;   in Loop: Header=BB129_27 Depth=3
	s_mov_b32 s44, exec_lo
                                        ; implicit-def: $sgpr41
	v_cmpx_ne_u64_e64 s[42:43], v[22:23]
	s_xor_b32 s44, exec_lo, s44
; %bb.29:                               ;   in Loop: Header=BB129_27 Depth=3
	v_add_nc_u32_e32 v21, 1, v21
	s_mov_b32 s41, -1
                                        ; implicit-def: $vgpr39
	s_delay_alu instid0(VALU_DEP_1)
	v_and_b32_e32 v21, 31, v21
; %bb.30:                               ;   in Loop: Header=BB129_27 Depth=3
	s_and_not1_saveexec_b32 s44, s44
	s_cbranch_execz .LBB129_34
; %bb.31:                               ;   in Loop: Header=BB129_27 Depth=3
	v_dual_mov_b32 v22, s42 :: v_dual_mov_b32 v23, s43
	s_mov_b32 s45, -1
	s_mov_b32 s46, exec_lo
	ds_cmpstore_rtn_b64 v[22:23], v39, v[10:11], v[22:23]
	s_waitcnt lgkmcnt(0)
	v_cmpx_eq_u64_e64 s[42:43], v[22:23]
	s_cbranch_execz .LBB129_33
; %bb.32:                               ;   in Loop: Header=BB129_27 Depth=3
	v_lshl_add_u32 v22, v21, 5, v28
	s_xor_b32 s45, exec_lo, -1
	ds_add_f32 v22, v38
	ds_add_f32 v22, v37 offset:4
.LBB129_33:                             ;   in Loop: Header=BB129_27 Depth=3
	s_or_b32 exec_lo, exec_lo, s46
	s_delay_alu instid0(SALU_CYCLE_1) | instskip(SKIP_1) | instid1(SALU_CYCLE_1)
	s_and_not1_b32 s41, s41, exec_lo
	s_and_b32 s45, s45, exec_lo
	s_or_b32 s41, s41, s45
.LBB129_34:                             ;   in Loop: Header=BB129_27 Depth=3
	s_or_b32 exec_lo, exec_lo, s44
	s_delay_alu instid0(SALU_CYCLE_1)
	s_and_b32 s41, s41, exec_lo
.LBB129_35:                             ;   in Loop: Header=BB129_27 Depth=3
	s_and_not1_saveexec_b32 s40, s40
	s_cbranch_execz .LBB129_26
; %bb.36:                               ;   in Loop: Header=BB129_27 Depth=3
	v_lshl_add_u32 v22, v21, 5, v28
	s_and_not1_b32 s41, s41, exec_lo
	ds_add_f32 v22, v38
	ds_add_f32 v22, v37 offset:4
	s_branch .LBB129_26
.LBB129_37:                             ;   in Loop: Header=BB129_25 Depth=2
	s_or_b32 exec_lo, exec_lo, s37
	s_waitcnt vmcnt(0)
	v_mul_f32_e64 v21, v16, -v35
	v_mul_f32_e32 v37, v36, v16
	s_mov_b32 s37, 0
	s_delay_alu instid0(VALU_DEP_2) | instskip(NEXT) | instid1(VALU_DEP_1)
	v_fmac_f32_e32 v21, v36, v15
	v_fmac_f32_e32 v21, v29, v13
	s_delay_alu instid0(VALU_DEP_1) | instskip(SKIP_2) | instid1(VALU_DEP_2)
	v_fma_f32 v38, -v30, v14, v21
	v_dual_mov_b32 v22, v13 :: v_dual_fmac_f32 v37, v35, v15
	v_mov_b32_e32 v21, v12
	v_fmac_f32_e32 v37, v30, v13
	s_delay_alu instid0(VALU_DEP_1)
	v_fmac_f32_e32 v37, v29, v14
	s_branch .LBB129_39
.LBB129_38:                             ;   in Loop: Header=BB129_39 Depth=3
	s_or_b32 exec_lo, exec_lo, s40
	s_xor_b32 s40, s41, -1
	s_delay_alu instid0(SALU_CYCLE_1) | instskip(NEXT) | instid1(SALU_CYCLE_1)
	s_and_b32 s40, exec_lo, s40
	s_or_b32 s37, s40, s37
	s_delay_alu instid0(SALU_CYCLE_1)
	s_and_not1_b32 exec_lo, exec_lo, s37
	s_cbranch_execz .LBB129_49
.LBB129_39:                             ;   Parent Loop BB129_22 Depth=1
                                        ;     Parent Loop BB129_25 Depth=2
                                        ; =>    This Inner Loop Header: Depth=3
	s_delay_alu instid0(VALU_DEP_3)
	v_lshl_add_u32 v39, v21, 3, v26
	s_mov_b32 s40, exec_lo
                                        ; implicit-def: $sgpr41
	ds_load_b64 v[22:23], v39
	s_waitcnt lgkmcnt(0)
	v_cmpx_ne_u64_e64 v[22:23], v[10:11]
	s_xor_b32 s40, exec_lo, s40
	s_cbranch_execz .LBB129_47
; %bb.40:                               ;   in Loop: Header=BB129_39 Depth=3
	s_mov_b32 s44, exec_lo
                                        ; implicit-def: $sgpr41
	v_cmpx_ne_u64_e64 s[42:43], v[22:23]
	s_xor_b32 s44, exec_lo, s44
; %bb.41:                               ;   in Loop: Header=BB129_39 Depth=3
	v_add_nc_u32_e32 v21, 1, v21
	s_mov_b32 s41, -1
                                        ; implicit-def: $vgpr39
	s_delay_alu instid0(VALU_DEP_1)
	v_and_b32_e32 v21, 31, v21
; %bb.42:                               ;   in Loop: Header=BB129_39 Depth=3
	s_and_not1_saveexec_b32 s44, s44
	s_cbranch_execz .LBB129_46
; %bb.43:                               ;   in Loop: Header=BB129_39 Depth=3
	v_dual_mov_b32 v22, s42 :: v_dual_mov_b32 v23, s43
	s_mov_b32 s45, -1
	s_mov_b32 s46, exec_lo
	ds_cmpstore_rtn_b64 v[22:23], v39, v[10:11], v[22:23]
	s_waitcnt lgkmcnt(0)
	v_cmpx_eq_u64_e64 s[42:43], v[22:23]
	s_cbranch_execz .LBB129_45
; %bb.44:                               ;   in Loop: Header=BB129_39 Depth=3
	v_lshl_add_u32 v22, v21, 5, v28
	s_xor_b32 s45, exec_lo, -1
	ds_add_f32 v22, v38 offset:8
	ds_add_f32 v22, v37 offset:12
.LBB129_45:                             ;   in Loop: Header=BB129_39 Depth=3
	s_or_b32 exec_lo, exec_lo, s46
	s_delay_alu instid0(SALU_CYCLE_1) | instskip(SKIP_1) | instid1(SALU_CYCLE_1)
	s_and_not1_b32 s41, s41, exec_lo
	s_and_b32 s45, s45, exec_lo
	s_or_b32 s41, s41, s45
.LBB129_46:                             ;   in Loop: Header=BB129_39 Depth=3
	s_or_b32 exec_lo, exec_lo, s44
	s_delay_alu instid0(SALU_CYCLE_1)
	s_and_b32 s41, s41, exec_lo
.LBB129_47:                             ;   in Loop: Header=BB129_39 Depth=3
	s_and_not1_saveexec_b32 s40, s40
	s_cbranch_execz .LBB129_38
; %bb.48:                               ;   in Loop: Header=BB129_39 Depth=3
	v_lshl_add_u32 v22, v21, 5, v28
	s_and_not1_b32 s41, s41, exec_lo
	ds_add_f32 v22, v38 offset:8
	ds_add_f32 v22, v37 offset:12
	s_branch .LBB129_38
.LBB129_49:                             ;   in Loop: Header=BB129_25 Depth=2
	s_or_b32 exec_lo, exec_lo, s37
	v_mul_f32_e64 v21, v20, -v33
	s_mov_b32 s37, 0
	s_delay_alu instid0(VALU_DEP_1) | instskip(NEXT) | instid1(VALU_DEP_1)
	v_fmac_f32_e32 v21, v34, v19
	v_dual_mul_f32 v20, v34, v20 :: v_dual_fmac_f32 v21, v31, v17
	s_delay_alu instid0(VALU_DEP_1) | instskip(NEXT) | instid1(VALU_DEP_2)
	v_fmac_f32_e32 v20, v33, v19
	v_fma_f32 v21, -v32, v18, v21
	s_delay_alu instid0(VALU_DEP_2) | instskip(NEXT) | instid1(VALU_DEP_1)
	v_fmac_f32_e32 v20, v32, v17
	v_fmac_f32_e32 v20, v31, v18
	v_dual_mov_b32 v18, v13 :: v_dual_mov_b32 v17, v12
	s_branch .LBB129_51
.LBB129_50:                             ;   in Loop: Header=BB129_51 Depth=3
	s_or_b32 exec_lo, exec_lo, s40
	s_xor_b32 s40, s41, -1
	s_delay_alu instid0(SALU_CYCLE_1) | instskip(NEXT) | instid1(SALU_CYCLE_1)
	s_and_b32 s40, exec_lo, s40
	s_or_b32 s37, s40, s37
	s_delay_alu instid0(SALU_CYCLE_1)
	s_and_not1_b32 exec_lo, exec_lo, s37
	s_cbranch_execz .LBB129_61
.LBB129_51:                             ;   Parent Loop BB129_22 Depth=1
                                        ;     Parent Loop BB129_25 Depth=2
                                        ; =>    This Inner Loop Header: Depth=3
	s_delay_alu instid0(VALU_DEP_1)
	v_lshl_add_u32 v22, v17, 3, v26
	s_mov_b32 s40, exec_lo
                                        ; implicit-def: $sgpr41
	ds_load_b64 v[18:19], v22
	s_waitcnt lgkmcnt(0)
	v_cmpx_ne_u64_e64 v[18:19], v[10:11]
	s_xor_b32 s40, exec_lo, s40
	s_cbranch_execz .LBB129_59
; %bb.52:                               ;   in Loop: Header=BB129_51 Depth=3
	s_mov_b32 s44, exec_lo
                                        ; implicit-def: $sgpr41
	v_cmpx_ne_u64_e64 s[42:43], v[18:19]
	s_xor_b32 s44, exec_lo, s44
; %bb.53:                               ;   in Loop: Header=BB129_51 Depth=3
	v_add_nc_u32_e32 v17, 1, v17
	s_mov_b32 s41, -1
                                        ; implicit-def: $vgpr22
	s_delay_alu instid0(VALU_DEP_1)
	v_and_b32_e32 v17, 31, v17
; %bb.54:                               ;   in Loop: Header=BB129_51 Depth=3
	s_and_not1_saveexec_b32 s44, s44
	s_cbranch_execz .LBB129_58
; %bb.55:                               ;   in Loop: Header=BB129_51 Depth=3
	v_dual_mov_b32 v18, s42 :: v_dual_mov_b32 v19, s43
	s_mov_b32 s45, -1
	s_mov_b32 s46, exec_lo
	ds_cmpstore_rtn_b64 v[18:19], v22, v[10:11], v[18:19]
	s_waitcnt lgkmcnt(0)
	v_cmpx_eq_u64_e64 s[42:43], v[18:19]
	s_cbranch_execz .LBB129_57
; %bb.56:                               ;   in Loop: Header=BB129_51 Depth=3
	v_lshl_add_u32 v18, v17, 5, v28
	s_xor_b32 s45, exec_lo, -1
	ds_add_f32 v18, v21 offset:16
	ds_add_f32 v18, v20 offset:20
.LBB129_57:                             ;   in Loop: Header=BB129_51 Depth=3
	s_or_b32 exec_lo, exec_lo, s46
	s_delay_alu instid0(SALU_CYCLE_1) | instskip(SKIP_1) | instid1(SALU_CYCLE_1)
	s_and_not1_b32 s41, s41, exec_lo
	s_and_b32 s45, s45, exec_lo
	s_or_b32 s41, s41, s45
.LBB129_58:                             ;   in Loop: Header=BB129_51 Depth=3
	s_or_b32 exec_lo, exec_lo, s44
	s_delay_alu instid0(SALU_CYCLE_1)
	s_and_b32 s41, s41, exec_lo
.LBB129_59:                             ;   in Loop: Header=BB129_51 Depth=3
	s_and_not1_saveexec_b32 s40, s40
	s_cbranch_execz .LBB129_50
; %bb.60:                               ;   in Loop: Header=BB129_51 Depth=3
	v_lshl_add_u32 v18, v17, 5, v28
	s_and_not1_b32 s41, s41, exec_lo
	ds_add_f32 v18, v21 offset:16
	ds_add_f32 v18, v20 offset:20
	s_branch .LBB129_50
.LBB129_61:                             ;   in Loop: Header=BB129_25 Depth=2
	s_or_b32 exec_lo, exec_lo, s37
	v_mul_f32_e64 v17, v16, -v33
	s_mov_b32 s37, 0
	s_delay_alu instid0(VALU_DEP_1) | instskip(NEXT) | instid1(VALU_DEP_1)
	v_fmac_f32_e32 v17, v34, v15
	v_dual_mul_f32 v16, v34, v16 :: v_dual_fmac_f32 v17, v31, v13
	s_delay_alu instid0(VALU_DEP_1) | instskip(NEXT) | instid1(VALU_DEP_2)
	v_fmac_f32_e32 v16, v33, v15
	v_fma_f32 v15, -v32, v14, v17
	s_delay_alu instid0(VALU_DEP_2) | instskip(NEXT) | instid1(VALU_DEP_1)
	v_fmac_f32_e32 v16, v32, v13
	v_fmac_f32_e32 v16, v31, v14
	s_branch .LBB129_63
.LBB129_62:                             ;   in Loop: Header=BB129_63 Depth=3
	s_or_b32 exec_lo, exec_lo, s40
	s_xor_b32 s40, s41, -1
	s_delay_alu instid0(SALU_CYCLE_1) | instskip(NEXT) | instid1(SALU_CYCLE_1)
	s_and_b32 s40, exec_lo, s40
	s_or_b32 s37, s40, s37
	s_delay_alu instid0(SALU_CYCLE_1)
	s_and_not1_b32 exec_lo, exec_lo, s37
	s_cbranch_execz .LBB129_24
.LBB129_63:                             ;   Parent Loop BB129_22 Depth=1
                                        ;     Parent Loop BB129_25 Depth=2
                                        ; =>    This Inner Loop Header: Depth=3
	v_lshl_add_u32 v17, v12, 3, v26
	s_mov_b32 s40, exec_lo
                                        ; implicit-def: $sgpr41
	ds_load_b64 v[13:14], v17
	s_waitcnt lgkmcnt(0)
	v_cmpx_ne_u64_e64 v[13:14], v[10:11]
	s_xor_b32 s40, exec_lo, s40
	s_cbranch_execz .LBB129_71
; %bb.64:                               ;   in Loop: Header=BB129_63 Depth=3
	s_mov_b32 s44, exec_lo
                                        ; implicit-def: $sgpr41
	v_cmpx_ne_u64_e64 s[42:43], v[13:14]
	s_xor_b32 s44, exec_lo, s44
; %bb.65:                               ;   in Loop: Header=BB129_63 Depth=3
	v_add_nc_u32_e32 v12, 1, v12
	s_mov_b32 s41, -1
                                        ; implicit-def: $vgpr17
	s_delay_alu instid0(VALU_DEP_1)
	v_and_b32_e32 v12, 31, v12
; %bb.66:                               ;   in Loop: Header=BB129_63 Depth=3
	s_and_not1_saveexec_b32 s44, s44
	s_cbranch_execz .LBB129_70
; %bb.67:                               ;   in Loop: Header=BB129_63 Depth=3
	v_dual_mov_b32 v13, s42 :: v_dual_mov_b32 v14, s43
	s_mov_b32 s45, -1
	s_mov_b32 s46, exec_lo
	ds_cmpstore_rtn_b64 v[13:14], v17, v[10:11], v[13:14]
	s_waitcnt lgkmcnt(0)
	v_cmpx_eq_u64_e64 s[42:43], v[13:14]
	s_cbranch_execz .LBB129_69
; %bb.68:                               ;   in Loop: Header=BB129_63 Depth=3
	v_lshl_add_u32 v13, v12, 5, v28
	s_xor_b32 s45, exec_lo, -1
	ds_add_f32 v13, v15 offset:24
	ds_add_f32 v13, v16 offset:28
.LBB129_69:                             ;   in Loop: Header=BB129_63 Depth=3
	s_or_b32 exec_lo, exec_lo, s46
	s_delay_alu instid0(SALU_CYCLE_1) | instskip(SKIP_1) | instid1(SALU_CYCLE_1)
	s_and_not1_b32 s41, s41, exec_lo
	s_and_b32 s45, s45, exec_lo
	s_or_b32 s41, s41, s45
.LBB129_70:                             ;   in Loop: Header=BB129_63 Depth=3
	s_or_b32 exec_lo, exec_lo, s44
	s_delay_alu instid0(SALU_CYCLE_1)
	s_and_b32 s41, s41, exec_lo
.LBB129_71:                             ;   in Loop: Header=BB129_63 Depth=3
	s_and_not1_saveexec_b32 s40, s40
	s_cbranch_execz .LBB129_62
; %bb.72:                               ;   in Loop: Header=BB129_63 Depth=3
	v_lshl_add_u32 v13, v12, 5, v28
	s_and_not1_b32 s41, s41, exec_lo
	ds_add_f32 v13, v15 offset:24
	ds_add_f32 v13, v16 offset:28
	s_branch .LBB129_62
.LBB129_73:
	s_or_b32 exec_lo, exec_lo, s1
.LBB129_74:
	s_delay_alu instid0(SALU_CYCLE_1)
	s_and_not1_b32 vcc_lo, exec_lo, s34
	s_waitcnt lgkmcnt(0)
	buffer_gl0_inv
	s_cbranch_vccnz .LBB129_127
; %bb.75:
	v_add_co_u32 v0, vcc_lo, s22, v4
	v_add_co_ci_u32_e32 v1, vcc_lo, s23, v5, vcc_lo
	v_sub_co_u32 v2, s1, v27, s39
	s_delay_alu instid0(VALU_DEP_1)
	v_sub_co_ci_u32_e64 v3, null, 0, 0, s1
	global_load_b128 v[6:9], v[0:1], off
	s_mov_b32 s1, 0
	s_mov_b32 s13, exec_lo
	s_waitcnt vmcnt(0)
	v_sub_co_u32 v0, vcc_lo, v8, s39
	v_subrev_co_ci_u32_e32 v1, vcc_lo, 0, v9, vcc_lo
	v_add_co_u32 v2, vcc_lo, v6, v2
	v_add_co_ci_u32_e32 v3, vcc_lo, v7, v3, vcc_lo
	s_delay_alu instid0(VALU_DEP_1)
	v_cmpx_lt_i64_e64 v[2:3], v[0:1]
	s_cbranch_execz .LBB129_126
; %bb.76:
	s_cmp_eq_u32 s0, 0
	s_mov_b32 s15, s39
	s_cselect_b32 s16, 1, 2
	s_cselect_b32 s17, 2, 1
	s_branch .LBB129_78
.LBB129_77:                             ;   in Loop: Header=BB129_78 Depth=1
	s_or_b32 exec_lo, exec_lo, s18
	v_add_co_u32 v2, vcc_lo, v2, 16
	v_add_co_ci_u32_e32 v3, vcc_lo, 0, v3, vcc_lo
	s_delay_alu instid0(VALU_DEP_1) | instskip(SKIP_1) | instid1(SALU_CYCLE_1)
	v_cmp_ge_i64_e32 vcc_lo, v[2:3], v[0:1]
	s_or_b32 s1, vcc_lo, s1
	s_and_not1_b32 exec_lo, exec_lo, s1
	s_cbranch_execz .LBB129_126
.LBB129_78:                             ; =>This Loop Header: Depth=1
                                        ;     Child Loop BB129_80 Depth 2
                                        ;     Child Loop BB129_92 Depth 2
	;; [unrolled: 1-line block ×4, first 2 shown]
	v_lshlrev_b64 v[8:9], 3, v[2:3]
	v_lshlrev_b64 v[6:7], 2, v[2:3]
	;; [unrolled: 1-line block ×3, first 2 shown]
	s_mov_b32 s18, 0
	s_delay_alu instid0(VALU_DEP_3) | instskip(NEXT) | instid1(VALU_DEP_4)
	v_add_co_u32 v8, vcc_lo, s4, v8
	v_add_co_ci_u32_e32 v9, vcc_lo, s5, v9, vcc_lo
	s_delay_alu instid0(VALU_DEP_4)
	v_or_b32_e32 v13, 0, v7
	v_or_b32_e32 v12, s16, v6
	;; [unrolled: 1-line block ×3, first 2 shown]
	global_load_b64 v[15:16], v[8:9], off
	v_or_b32_e32 v6, s17, v6
	v_add_co_u32 v10, vcc_lo, s6, v10
	v_lshlrev_b64 v[8:9], 3, v[12:13]
	v_add_co_ci_u32_e32 v11, vcc_lo, s7, v11, vcc_lo
	s_delay_alu instid0(VALU_DEP_4) | instskip(NEXT) | instid1(VALU_DEP_3)
	v_lshlrev_b64 v[6:7], 3, v[6:7]
	v_add_co_u32 v12, vcc_lo, s6, v8
	global_load_b64 v[20:21], v[10:11], off
	v_add_co_ci_u32_e32 v13, vcc_lo, s7, v9, vcc_lo
	v_add_co_u32 v6, vcc_lo, s6, v6
	v_add_co_ci_u32_e32 v7, vcc_lo, s7, v7, vcc_lo
	s_clause 0x2
	global_load_b64 v[9:10], v[10:11], off offset:24
	global_load_b64 v[13:14], v[12:13], off
	global_load_b64 v[11:12], v[6:7], off
	s_waitcnt vmcnt(4)
	v_sub_co_u32 v6, vcc_lo, v15, s15
	v_subrev_co_ci_u32_e32 v7, vcc_lo, 0, v16, vcc_lo
	s_delay_alu instid0(VALU_DEP_2) | instskip(SKIP_1) | instid1(VALU_DEP_1)
	v_lshl_add_u32 v8, v6, 3, v6
	s_waitcnt vmcnt(3)
	v_dual_mul_f32 v19, s12, v21 :: v_dual_and_b32 v8, 31, v8
	v_mul_f32_e64 v18, v21, -s14
	s_waitcnt vmcnt(2)
	s_delay_alu instid0(VALU_DEP_2) | instskip(NEXT) | instid1(VALU_DEP_2)
	v_dual_fmac_f32 v19, s14, v20 :: v_dual_mov_b32 v16, v9
	v_dual_fmac_f32 v18, s12, v20 :: v_dual_mov_b32 v15, v8
	s_branch .LBB129_80
.LBB129_79:                             ;   in Loop: Header=BB129_80 Depth=2
	s_or_b32 exec_lo, exec_lo, s19
	s_xor_b32 s19, s20, -1
	s_delay_alu instid0(SALU_CYCLE_1) | instskip(NEXT) | instid1(SALU_CYCLE_1)
	s_and_b32 s19, exec_lo, s19
	s_or_b32 s18, s19, s18
	s_delay_alu instid0(SALU_CYCLE_1)
	s_and_not1_b32 exec_lo, exec_lo, s18
	s_cbranch_execz .LBB129_90
.LBB129_80:                             ;   Parent Loop BB129_78 Depth=1
                                        ; =>  This Inner Loop Header: Depth=2
	s_delay_alu instid0(VALU_DEP_1)
	v_lshl_add_u32 v20, v15, 3, v26
	s_mov_b32 s19, exec_lo
                                        ; implicit-def: $sgpr20
	ds_load_b64 v[16:17], v20
	s_waitcnt lgkmcnt(0)
	v_cmpx_ne_u64_e64 v[16:17], v[6:7]
	s_xor_b32 s19, exec_lo, s19
	s_cbranch_execz .LBB129_88
; %bb.81:                               ;   in Loop: Header=BB129_80 Depth=2
	s_mov_b32 s21, exec_lo
                                        ; implicit-def: $sgpr20
	v_cmpx_ne_u64_e64 s[42:43], v[16:17]
	s_xor_b32 s21, exec_lo, s21
; %bb.82:                               ;   in Loop: Header=BB129_80 Depth=2
	v_add_nc_u32_e32 v15, 1, v15
	s_mov_b32 s20, -1
                                        ; implicit-def: $vgpr20
	s_delay_alu instid0(VALU_DEP_1)
	v_and_b32_e32 v15, 31, v15
; %bb.83:                               ;   in Loop: Header=BB129_80 Depth=2
	s_and_not1_saveexec_b32 s21, s21
	s_cbranch_execz .LBB129_87
; %bb.84:                               ;   in Loop: Header=BB129_80 Depth=2
	v_dual_mov_b32 v16, s42 :: v_dual_mov_b32 v17, s43
	s_mov_b32 s22, -1
	s_mov_b32 s23, exec_lo
	ds_cmpstore_rtn_b64 v[16:17], v20, v[6:7], v[16:17]
	s_waitcnt lgkmcnt(0)
	v_cmpx_eq_u64_e64 s[42:43], v[16:17]
	s_cbranch_execz .LBB129_86
; %bb.85:                               ;   in Loop: Header=BB129_80 Depth=2
	v_lshl_add_u32 v16, v15, 5, v28
	s_xor_b32 s22, exec_lo, -1
	ds_add_f32 v16, v18
	ds_add_f32 v16, v19 offset:4
.LBB129_86:                             ;   in Loop: Header=BB129_80 Depth=2
	s_or_b32 exec_lo, exec_lo, s23
	s_delay_alu instid0(SALU_CYCLE_1) | instskip(SKIP_1) | instid1(SALU_CYCLE_1)
	s_and_not1_b32 s20, s20, exec_lo
	s_and_b32 s22, s22, exec_lo
	s_or_b32 s20, s20, s22
.LBB129_87:                             ;   in Loop: Header=BB129_80 Depth=2
	s_or_b32 exec_lo, exec_lo, s21
	s_delay_alu instid0(SALU_CYCLE_1)
	s_and_b32 s20, s20, exec_lo
.LBB129_88:                             ;   in Loop: Header=BB129_80 Depth=2
	s_and_not1_saveexec_b32 s19, s19
	s_cbranch_execz .LBB129_79
; %bb.89:                               ;   in Loop: Header=BB129_80 Depth=2
	v_lshl_add_u32 v16, v15, 5, v28
	s_and_not1_b32 s20, s20, exec_lo
	ds_add_f32 v16, v18
	ds_add_f32 v16, v19 offset:4
	s_branch .LBB129_79
.LBB129_90:                             ;   in Loop: Header=BB129_78 Depth=1
	s_or_b32 exec_lo, exec_lo, s18
	s_waitcnt vmcnt(1)
	v_mul_f32_e64 v16, v14, -s14
	v_mul_f32_e32 v17, s12, v14
	s_mov_b32 s18, 0
	s_delay_alu instid0(VALU_DEP_2) | instskip(NEXT) | instid1(VALU_DEP_2)
	v_fmac_f32_e32 v16, s12, v13
	v_dual_fmac_f32 v17, s14, v13 :: v_dual_mov_b32 v14, v9
	v_mov_b32_e32 v13, v8
	s_branch .LBB129_92
.LBB129_91:                             ;   in Loop: Header=BB129_92 Depth=2
	s_or_b32 exec_lo, exec_lo, s19
	s_xor_b32 s19, s20, -1
	s_delay_alu instid0(SALU_CYCLE_1) | instskip(NEXT) | instid1(SALU_CYCLE_1)
	s_and_b32 s19, exec_lo, s19
	s_or_b32 s18, s19, s18
	s_delay_alu instid0(SALU_CYCLE_1)
	s_and_not1_b32 exec_lo, exec_lo, s18
	s_cbranch_execz .LBB129_102
.LBB129_92:                             ;   Parent Loop BB129_78 Depth=1
                                        ; =>  This Inner Loop Header: Depth=2
	s_delay_alu instid0(VALU_DEP_1)
	v_lshl_add_u32 v18, v13, 3, v26
	s_mov_b32 s19, exec_lo
                                        ; implicit-def: $sgpr20
	ds_load_b64 v[14:15], v18
	s_waitcnt lgkmcnt(0)
	v_cmpx_ne_u64_e64 v[14:15], v[6:7]
	s_xor_b32 s19, exec_lo, s19
	s_cbranch_execz .LBB129_100
; %bb.93:                               ;   in Loop: Header=BB129_92 Depth=2
	s_mov_b32 s21, exec_lo
                                        ; implicit-def: $sgpr20
	v_cmpx_ne_u64_e64 s[42:43], v[14:15]
	s_xor_b32 s21, exec_lo, s21
; %bb.94:                               ;   in Loop: Header=BB129_92 Depth=2
	v_add_nc_u32_e32 v13, 1, v13
	s_mov_b32 s20, -1
                                        ; implicit-def: $vgpr18
	s_delay_alu instid0(VALU_DEP_1)
	v_and_b32_e32 v13, 31, v13
; %bb.95:                               ;   in Loop: Header=BB129_92 Depth=2
	s_and_not1_saveexec_b32 s21, s21
	s_cbranch_execz .LBB129_99
; %bb.96:                               ;   in Loop: Header=BB129_92 Depth=2
	v_dual_mov_b32 v14, s42 :: v_dual_mov_b32 v15, s43
	s_mov_b32 s22, -1
	s_mov_b32 s23, exec_lo
	ds_cmpstore_rtn_b64 v[14:15], v18, v[6:7], v[14:15]
	s_waitcnt lgkmcnt(0)
	v_cmpx_eq_u64_e64 s[42:43], v[14:15]
	s_cbranch_execz .LBB129_98
; %bb.97:                               ;   in Loop: Header=BB129_92 Depth=2
	v_lshl_add_u32 v14, v13, 5, v28
	s_xor_b32 s22, exec_lo, -1
	ds_add_f32 v14, v16 offset:8
	ds_add_f32 v14, v17 offset:12
.LBB129_98:                             ;   in Loop: Header=BB129_92 Depth=2
	s_or_b32 exec_lo, exec_lo, s23
	s_delay_alu instid0(SALU_CYCLE_1) | instskip(SKIP_1) | instid1(SALU_CYCLE_1)
	s_and_not1_b32 s20, s20, exec_lo
	s_and_b32 s22, s22, exec_lo
	s_or_b32 s20, s20, s22
.LBB129_99:                             ;   in Loop: Header=BB129_92 Depth=2
	s_or_b32 exec_lo, exec_lo, s21
	s_delay_alu instid0(SALU_CYCLE_1)
	s_and_b32 s20, s20, exec_lo
.LBB129_100:                            ;   in Loop: Header=BB129_92 Depth=2
	s_and_not1_saveexec_b32 s19, s19
	s_cbranch_execz .LBB129_91
; %bb.101:                              ;   in Loop: Header=BB129_92 Depth=2
	v_lshl_add_u32 v14, v13, 5, v28
	s_and_not1_b32 s20, s20, exec_lo
	ds_add_f32 v14, v16 offset:8
	ds_add_f32 v14, v17 offset:12
	s_branch .LBB129_91
.LBB129_102:                            ;   in Loop: Header=BB129_78 Depth=1
	s_or_b32 exec_lo, exec_lo, s18
	s_waitcnt vmcnt(0)
	v_mul_f32_e64 v14, v12, -s14
	v_mul_f32_e32 v15, s12, v12
	s_mov_b32 s18, 0
	s_delay_alu instid0(VALU_DEP_2) | instskip(NEXT) | instid1(VALU_DEP_2)
	v_fmac_f32_e32 v14, s12, v11
	v_dual_fmac_f32 v15, s14, v11 :: v_dual_mov_b32 v12, v9
	v_mov_b32_e32 v11, v8
	s_branch .LBB129_104
.LBB129_103:                            ;   in Loop: Header=BB129_104 Depth=2
	s_or_b32 exec_lo, exec_lo, s19
	s_xor_b32 s19, s20, -1
	s_delay_alu instid0(SALU_CYCLE_1) | instskip(NEXT) | instid1(SALU_CYCLE_1)
	s_and_b32 s19, exec_lo, s19
	s_or_b32 s18, s19, s18
	s_delay_alu instid0(SALU_CYCLE_1)
	s_and_not1_b32 exec_lo, exec_lo, s18
	s_cbranch_execz .LBB129_114
.LBB129_104:                            ;   Parent Loop BB129_78 Depth=1
                                        ; =>  This Inner Loop Header: Depth=2
	s_delay_alu instid0(VALU_DEP_1)
	v_lshl_add_u32 v16, v11, 3, v26
	s_mov_b32 s19, exec_lo
                                        ; implicit-def: $sgpr20
	ds_load_b64 v[12:13], v16
	s_waitcnt lgkmcnt(0)
	v_cmpx_ne_u64_e64 v[12:13], v[6:7]
	s_xor_b32 s19, exec_lo, s19
	s_cbranch_execz .LBB129_112
; %bb.105:                              ;   in Loop: Header=BB129_104 Depth=2
	s_mov_b32 s21, exec_lo
                                        ; implicit-def: $sgpr20
	v_cmpx_ne_u64_e64 s[42:43], v[12:13]
	s_xor_b32 s21, exec_lo, s21
; %bb.106:                              ;   in Loop: Header=BB129_104 Depth=2
	v_add_nc_u32_e32 v11, 1, v11
	s_mov_b32 s20, -1
                                        ; implicit-def: $vgpr16
	s_delay_alu instid0(VALU_DEP_1)
	v_and_b32_e32 v11, 31, v11
; %bb.107:                              ;   in Loop: Header=BB129_104 Depth=2
	s_and_not1_saveexec_b32 s21, s21
	s_cbranch_execz .LBB129_111
; %bb.108:                              ;   in Loop: Header=BB129_104 Depth=2
	v_dual_mov_b32 v12, s42 :: v_dual_mov_b32 v13, s43
	s_mov_b32 s22, -1
	s_mov_b32 s23, exec_lo
	ds_cmpstore_rtn_b64 v[12:13], v16, v[6:7], v[12:13]
	s_waitcnt lgkmcnt(0)
	v_cmpx_eq_u64_e64 s[42:43], v[12:13]
	s_cbranch_execz .LBB129_110
; %bb.109:                              ;   in Loop: Header=BB129_104 Depth=2
	v_lshl_add_u32 v12, v11, 5, v28
	s_xor_b32 s22, exec_lo, -1
	ds_add_f32 v12, v14 offset:16
	ds_add_f32 v12, v15 offset:20
.LBB129_110:                            ;   in Loop: Header=BB129_104 Depth=2
	s_or_b32 exec_lo, exec_lo, s23
	s_delay_alu instid0(SALU_CYCLE_1) | instskip(SKIP_1) | instid1(SALU_CYCLE_1)
	s_and_not1_b32 s20, s20, exec_lo
	s_and_b32 s22, s22, exec_lo
	s_or_b32 s20, s20, s22
.LBB129_111:                            ;   in Loop: Header=BB129_104 Depth=2
	s_or_b32 exec_lo, exec_lo, s21
	s_delay_alu instid0(SALU_CYCLE_1)
	s_and_b32 s20, s20, exec_lo
.LBB129_112:                            ;   in Loop: Header=BB129_104 Depth=2
	s_and_not1_saveexec_b32 s19, s19
	s_cbranch_execz .LBB129_103
; %bb.113:                              ;   in Loop: Header=BB129_104 Depth=2
	v_lshl_add_u32 v12, v11, 5, v28
	s_and_not1_b32 s20, s20, exec_lo
	ds_add_f32 v12, v14 offset:16
	ds_add_f32 v12, v15 offset:20
	s_branch .LBB129_103
.LBB129_114:                            ;   in Loop: Header=BB129_78 Depth=1
	s_or_b32 exec_lo, exec_lo, s18
	v_mul_f32_e64 v11, v10, -s14
	v_mul_f32_e32 v12, s12, v10
	s_mov_b32 s18, 0
	s_delay_alu instid0(VALU_DEP_2) | instskip(NEXT) | instid1(VALU_DEP_2)
	v_fmac_f32_e32 v11, s12, v9
	v_fmac_f32_e32 v12, s14, v9
	s_branch .LBB129_116
.LBB129_115:                            ;   in Loop: Header=BB129_116 Depth=2
	s_or_b32 exec_lo, exec_lo, s19
	s_xor_b32 s19, s20, -1
	s_delay_alu instid0(SALU_CYCLE_1) | instskip(NEXT) | instid1(SALU_CYCLE_1)
	s_and_b32 s19, exec_lo, s19
	s_or_b32 s18, s19, s18
	s_delay_alu instid0(SALU_CYCLE_1)
	s_and_not1_b32 exec_lo, exec_lo, s18
	s_cbranch_execz .LBB129_77
.LBB129_116:                            ;   Parent Loop BB129_78 Depth=1
                                        ; =>  This Inner Loop Header: Depth=2
	v_lshl_add_u32 v13, v8, 3, v26
	s_mov_b32 s19, exec_lo
                                        ; implicit-def: $sgpr20
	ds_load_b64 v[9:10], v13
	s_waitcnt lgkmcnt(0)
	v_cmpx_ne_u64_e64 v[9:10], v[6:7]
	s_xor_b32 s19, exec_lo, s19
	s_cbranch_execz .LBB129_124
; %bb.117:                              ;   in Loop: Header=BB129_116 Depth=2
	s_mov_b32 s21, exec_lo
                                        ; implicit-def: $sgpr20
	v_cmpx_ne_u64_e64 s[42:43], v[9:10]
	s_xor_b32 s21, exec_lo, s21
; %bb.118:                              ;   in Loop: Header=BB129_116 Depth=2
	v_add_nc_u32_e32 v8, 1, v8
	s_mov_b32 s20, -1
                                        ; implicit-def: $vgpr13
	s_delay_alu instid0(VALU_DEP_1)
	v_and_b32_e32 v8, 31, v8
; %bb.119:                              ;   in Loop: Header=BB129_116 Depth=2
	s_and_not1_saveexec_b32 s21, s21
	s_cbranch_execz .LBB129_123
; %bb.120:                              ;   in Loop: Header=BB129_116 Depth=2
	v_dual_mov_b32 v9, s42 :: v_dual_mov_b32 v10, s43
	s_mov_b32 s22, -1
	s_mov_b32 s23, exec_lo
	ds_cmpstore_rtn_b64 v[9:10], v13, v[6:7], v[9:10]
	s_waitcnt lgkmcnt(0)
	v_cmpx_eq_u64_e64 s[42:43], v[9:10]
	s_cbranch_execz .LBB129_122
; %bb.121:                              ;   in Loop: Header=BB129_116 Depth=2
	v_lshl_add_u32 v9, v8, 5, v28
	s_xor_b32 s22, exec_lo, -1
	ds_add_f32 v9, v11 offset:24
	ds_add_f32 v9, v12 offset:28
.LBB129_122:                            ;   in Loop: Header=BB129_116 Depth=2
	s_or_b32 exec_lo, exec_lo, s23
	s_delay_alu instid0(SALU_CYCLE_1) | instskip(SKIP_1) | instid1(SALU_CYCLE_1)
	s_and_not1_b32 s20, s20, exec_lo
	s_and_b32 s22, s22, exec_lo
	s_or_b32 s20, s20, s22
.LBB129_123:                            ;   in Loop: Header=BB129_116 Depth=2
	s_or_b32 exec_lo, exec_lo, s21
	s_delay_alu instid0(SALU_CYCLE_1)
	s_and_b32 s20, s20, exec_lo
.LBB129_124:                            ;   in Loop: Header=BB129_116 Depth=2
	s_and_not1_saveexec_b32 s19, s19
	s_cbranch_execz .LBB129_115
; %bb.125:                              ;   in Loop: Header=BB129_116 Depth=2
	v_lshl_add_u32 v9, v8, 5, v28
	s_and_not1_b32 s20, s20, exec_lo
	ds_add_f32 v9, v11 offset:24
	ds_add_f32 v9, v12 offset:28
	s_branch .LBB129_115
.LBB129_126:
	s_or_b32 exec_lo, exec_lo, s13
.LBB129_127:
	v_add_co_u32 v0, vcc_lo, s8, v4
	v_add_co_ci_u32_e32 v1, vcc_lo, s9, v5, vcc_lo
	s_waitcnt lgkmcnt(0)
	buffer_gl0_inv
	v_lshl_add_u32 v4, v27, 5, v28
	s_cmp_eq_u32 s0, 0
	global_load_b64 v[0:1], v[0:1], off
	s_mov_b32 s0, 0
	s_cselect_b32 s1, 8, 16
	s_cselect_b32 s4, 16, 8
	s_waitcnt vmcnt(0)
	v_sub_co_u32 v2, vcc_lo, v0, s38
	v_subrev_co_ci_u32_e32 v3, vcc_lo, 0, v1, vcc_lo
	s_branch .LBB129_129
.LBB129_128:                            ;   in Loop: Header=BB129_129 Depth=1
	s_or_b32 exec_lo, exec_lo, s5
	v_add_co_u32 v25, s5, v25, 16
	s_delay_alu instid0(VALU_DEP_1) | instskip(SKIP_3) | instid1(SALU_CYCLE_1)
	s_xor_b32 s5, s5, -1
	v_add_nc_u32_e32 v4, 0x200, v4
	v_add_nc_u32_e32 v24, 0x80, v24
	s_and_b32 s5, exec_lo, s5
	s_or_b32 s0, s5, s0
	s_delay_alu instid0(SALU_CYCLE_1)
	s_and_not1_b32 exec_lo, exec_lo, s0
	s_cbranch_execz .LBB129_131
.LBB129_129:                            ; =>This Inner Loop Header: Depth=1
	ds_load_b64 v[0:1], v24
	s_mov_b32 s5, exec_lo
	s_waitcnt lgkmcnt(0)
	v_cmpx_gt_i64_e64 s[42:43], v[0:1]
	s_cbranch_execz .LBB129_128
; %bb.130:                              ;   in Loop: Header=BB129_129 Depth=1
	ds_load_b128 v[5:8], v26
	ds_load_b128 v[9:12], v26 offset:16
	ds_load_b128 v[13:16], v26 offset:32
	;; [unrolled: 1-line block ×7, first 2 shown]
	s_waitcnt lgkmcnt(7)
	v_cmp_gt_i64_e32 vcc_lo, v[0:1], v[5:6]
	v_cndmask_b32_e64 v5, 0, 1, vcc_lo
	v_cmp_gt_i64_e32 vcc_lo, v[0:1], v[7:8]
	v_cndmask_b32_e64 v6, 0, 1, vcc_lo
	s_delay_alu instid0(VALU_DEP_3)
	v_add_co_u32 v5, vcc_lo, v2, v5
	v_add_co_ci_u32_e32 v7, vcc_lo, 0, v3, vcc_lo
	s_waitcnt lgkmcnt(6)
	v_cmp_gt_i64_e32 vcc_lo, v[0:1], v[9:10]
	v_cndmask_b32_e64 v8, 0, 1, vcc_lo
	v_add_co_u32 v5, vcc_lo, v5, v6
	v_add_co_ci_u32_e32 v6, vcc_lo, 0, v7, vcc_lo
	v_cmp_gt_i64_e32 vcc_lo, v[0:1], v[11:12]
	v_cndmask_b32_e64 v7, 0, 1, vcc_lo
	s_delay_alu instid0(VALU_DEP_4) | instskip(NEXT) | instid1(VALU_DEP_4)
	v_add_co_u32 v5, vcc_lo, v5, v8
	v_add_co_ci_u32_e32 v6, vcc_lo, 0, v6, vcc_lo
	s_waitcnt lgkmcnt(5)
	v_cmp_gt_i64_e32 vcc_lo, v[0:1], v[13:14]
	v_cndmask_b32_e64 v8, 0, 1, vcc_lo
	v_add_co_u32 v5, vcc_lo, v5, v7
	v_add_co_ci_u32_e32 v6, vcc_lo, 0, v6, vcc_lo
	v_cmp_gt_i64_e32 vcc_lo, v[0:1], v[15:16]
	v_cndmask_b32_e64 v7, 0, 1, vcc_lo
	s_delay_alu instid0(VALU_DEP_4) | instskip(NEXT) | instid1(VALU_DEP_4)
	;; [unrolled: 10-line block ×5, first 2 shown]
	v_add_co_u32 v5, vcc_lo, v5, v8
	v_add_co_ci_u32_e32 v6, vcc_lo, 0, v6, vcc_lo
	s_delay_alu instid0(VALU_DEP_2) | instskip(NEXT) | instid1(VALU_DEP_2)
	v_add_co_u32 v9, vcc_lo, v5, v7
	v_add_co_ci_u32_e32 v10, vcc_lo, 0, v6, vcc_lo
	s_waitcnt lgkmcnt(1)
	v_cmp_gt_i64_e32 vcc_lo, v[0:1], v[35:36]
	ds_load_b128 v[5:8], v26 offset:128
	v_cndmask_b32_e64 v11, 0, 1, vcc_lo
	v_cmp_gt_i64_e32 vcc_lo, v[0:1], v[37:38]
	v_cndmask_b32_e64 v12, 0, 1, vcc_lo
	s_delay_alu instid0(VALU_DEP_3) | instskip(SKIP_1) | instid1(VALU_DEP_2)
	v_add_co_u32 v9, vcc_lo, v9, v11
	v_add_co_ci_u32_e32 v10, vcc_lo, 0, v10, vcc_lo
	v_add_co_u32 v13, vcc_lo, v9, v12
	s_delay_alu instid0(VALU_DEP_2)
	v_add_co_ci_u32_e32 v14, vcc_lo, 0, v10, vcc_lo
	ds_load_b128 v[9:12], v26 offset:144
	s_waitcnt lgkmcnt(2)
	v_cmp_gt_i64_e32 vcc_lo, v[0:1], v[39:40]
	v_cndmask_b32_e64 v15, 0, 1, vcc_lo
	v_cmp_gt_i64_e32 vcc_lo, v[0:1], v[41:42]
	v_cndmask_b32_e64 v16, 0, 1, vcc_lo
	s_delay_alu instid0(VALU_DEP_3) | instskip(SKIP_1) | instid1(VALU_DEP_2)
	v_add_co_u32 v13, vcc_lo, v13, v15
	v_add_co_ci_u32_e32 v14, vcc_lo, 0, v14, vcc_lo
	v_add_co_u32 v13, vcc_lo, v13, v16
	s_delay_alu instid0(VALU_DEP_2)
	v_add_co_ci_u32_e32 v14, vcc_lo, 0, v14, vcc_lo
	s_waitcnt lgkmcnt(1)
	v_cmp_gt_i64_e32 vcc_lo, v[0:1], v[5:6]
	v_cndmask_b32_e64 v15, 0, 1, vcc_lo
	v_cmp_gt_i64_e32 vcc_lo, v[0:1], v[7:8]
	ds_load_b128 v[5:8], v26 offset:160
	v_cndmask_b32_e64 v16, 0, 1, vcc_lo
	v_add_co_u32 v13, vcc_lo, v13, v15
	v_add_co_ci_u32_e32 v14, vcc_lo, 0, v14, vcc_lo
	s_waitcnt lgkmcnt(1)
	v_cmp_gt_i64_e32 vcc_lo, v[0:1], v[9:10]
	v_cndmask_b32_e64 v9, 0, 1, vcc_lo
	v_add_co_u32 v10, vcc_lo, v13, v16
	v_add_co_ci_u32_e32 v13, vcc_lo, 0, v14, vcc_lo
	v_cmp_gt_i64_e32 vcc_lo, v[0:1], v[11:12]
	v_cndmask_b32_e64 v14, 0, 1, vcc_lo
	s_delay_alu instid0(VALU_DEP_4) | instskip(SKIP_3) | instid1(VALU_DEP_2)
	v_add_co_u32 v15, vcc_lo, v10, v9
	ds_load_b128 v[9:12], v26 offset:176
	v_add_co_ci_u32_e32 v13, vcc_lo, 0, v13, vcc_lo
	v_add_co_u32 v17, vcc_lo, v15, v14
	v_add_co_ci_u32_e32 v18, vcc_lo, 0, v13, vcc_lo
	s_waitcnt lgkmcnt(1)
	v_cmp_gt_i64_e32 vcc_lo, v[0:1], v[5:6]
	ds_load_b128 v[13:16], v26 offset:192
	v_cndmask_b32_e64 v5, 0, 1, vcc_lo
	v_cmp_gt_i64_e32 vcc_lo, v[0:1], v[7:8]
	v_cndmask_b32_e64 v6, 0, 1, vcc_lo
	s_delay_alu instid0(VALU_DEP_3) | instskip(SKIP_1) | instid1(VALU_DEP_2)
	v_add_co_u32 v5, vcc_lo, v17, v5
	v_add_co_ci_u32_e32 v7, vcc_lo, 0, v18, vcc_lo
	v_add_co_u32 v17, vcc_lo, v5, v6
	s_delay_alu instid0(VALU_DEP_2)
	v_add_co_ci_u32_e32 v18, vcc_lo, 0, v7, vcc_lo
	ds_load_b128 v[5:8], v26 offset:208
	s_waitcnt lgkmcnt(2)
	v_cmp_gt_i64_e32 vcc_lo, v[0:1], v[9:10]
	v_cndmask_b32_e64 v9, 0, 1, vcc_lo
	v_cmp_gt_i64_e32 vcc_lo, v[0:1], v[11:12]
	v_cndmask_b32_e64 v10, 0, 1, vcc_lo
	s_delay_alu instid0(VALU_DEP_3)
	v_add_co_u32 v9, vcc_lo, v17, v9
	v_add_co_ci_u32_e32 v11, vcc_lo, 0, v18, vcc_lo
	s_waitcnt lgkmcnt(1)
	v_cmp_gt_i64_e32 vcc_lo, v[0:1], v[13:14]
	v_cndmask_b32_e64 v12, 0, 1, vcc_lo
	v_add_co_u32 v9, vcc_lo, v9, v10
	v_add_co_ci_u32_e32 v10, vcc_lo, 0, v11, vcc_lo
	v_cmp_gt_i64_e32 vcc_lo, v[0:1], v[15:16]
	v_cndmask_b32_e64 v13, 0, 1, vcc_lo
	s_delay_alu instid0(VALU_DEP_4) | instskip(NEXT) | instid1(VALU_DEP_4)
	v_add_co_u32 v14, vcc_lo, v9, v12
	v_add_co_ci_u32_e32 v15, vcc_lo, 0, v10, vcc_lo
	ds_load_b128 v[9:12], v26 offset:224
	v_add_co_u32 v17, vcc_lo, v14, v13
	v_add_co_ci_u32_e32 v18, vcc_lo, 0, v15, vcc_lo
	ds_load_b128 v[13:16], v26 offset:240
	s_waitcnt lgkmcnt(2)
	v_cmp_gt_i64_e32 vcc_lo, v[0:1], v[5:6]
	v_cndmask_b32_e64 v5, 0, 1, vcc_lo
	v_cmp_gt_i64_e32 vcc_lo, v[0:1], v[7:8]
	v_cndmask_b32_e64 v6, 0, 1, vcc_lo
	s_delay_alu instid0(VALU_DEP_3) | instskip(SKIP_1) | instid1(VALU_DEP_2)
	v_add_co_u32 v5, vcc_lo, v17, v5
	v_add_co_ci_u32_e32 v7, vcc_lo, 0, v18, vcc_lo
	v_add_co_u32 v17, vcc_lo, v5, v6
	s_delay_alu instid0(VALU_DEP_2)
	v_add_co_ci_u32_e32 v18, vcc_lo, 0, v7, vcc_lo
	s_waitcnt lgkmcnt(1)
	v_cmp_gt_i64_e32 vcc_lo, v[0:1], v[9:10]
	ds_load_2addr_b64 v[5:8], v4 offset1:3
	v_cndmask_b32_e64 v9, 0, 1, vcc_lo
	v_cmp_gt_i64_e32 vcc_lo, v[0:1], v[11:12]
	v_cndmask_b32_e64 v10, 0, 1, vcc_lo
	s_delay_alu instid0(VALU_DEP_3)
	v_add_co_u32 v9, vcc_lo, v17, v9
	v_add_co_ci_u32_e32 v11, vcc_lo, 0, v18, vcc_lo
	s_waitcnt lgkmcnt(1)
	v_cmp_gt_i64_e32 vcc_lo, v[0:1], v[13:14]
	v_cndmask_b32_e64 v12, 0, 1, vcc_lo
	v_add_co_u32 v9, vcc_lo, v9, v10
	v_add_co_ci_u32_e32 v10, vcc_lo, 0, v11, vcc_lo
	v_cmp_gt_i64_e32 vcc_lo, v[0:1], v[15:16]
	v_add_nc_u32_e32 v15, s4, v4
	v_cndmask_b32_e64 v11, 0, 1, vcc_lo
	v_add_co_u32 v9, vcc_lo, v9, v12
	v_add_co_ci_u32_e32 v10, vcc_lo, 0, v10, vcc_lo
	v_add_nc_u32_e32 v12, s1, v4
	s_delay_alu instid0(VALU_DEP_3)
	v_add_co_u32 v13, vcc_lo, v9, v11
	s_waitcnt lgkmcnt(0)
	v_mov_b32_e32 v9, v5
	v_add_co_ci_u32_e32 v14, vcc_lo, 0, v10, vcc_lo
	v_mov_b32_e32 v10, v6
	ds_load_b64 v[11:12], v12
	ds_load_b64 v[5:6], v15
	v_add_co_u32 v0, vcc_lo, v0, s38
	v_lshlrev_b64 v[15:16], 3, v[13:14]
	v_lshlrev_b64 v[13:14], 5, v[13:14]
	v_add_co_ci_u32_e32 v1, vcc_lo, 0, v1, vcc_lo
	s_delay_alu instid0(VALU_DEP_3) | instskip(NEXT) | instid1(VALU_DEP_4)
	v_add_co_u32 v15, vcc_lo, s10, v15
	v_add_co_ci_u32_e32 v16, vcc_lo, s11, v16, vcc_lo
	s_delay_alu instid0(VALU_DEP_4)
	v_add_co_u32 v13, vcc_lo, s2, v13
	v_add_co_ci_u32_e32 v14, vcc_lo, s3, v14, vcc_lo
	global_store_b64 v[15:16], v[0:1], off
	s_waitcnt lgkmcnt(1)
	global_store_b128 v[13:14], v[9:12], off
	s_waitcnt lgkmcnt(0)
	global_store_b128 v[13:14], v[5:8], off offset:16
	s_branch .LBB129_128
.LBB129_131:
	s_nop 0
	s_sendmsg sendmsg(MSG_DEALLOC_VGPRS)
	s_endpgm
	.section	.rodata,"a",@progbits
	.p2align	6, 0x0
	.amdhsa_kernel _ZN9rocsparseL27bsrgemm_fill_wf_per_row_2x2ILj256ELj16ELj32ELj137Ell21rocsparse_complex_numIfEEEv20rocsparse_direction_T4_S4_PKS4_S6_NS_24const_host_device_scalarIT5_EEPKT3_S6_PKS8_SC_S6_SE_S9_SC_S6_SE_SC_PS4_PS8_21rocsparse_index_base_SH_SH_SH_bbb
		.amdhsa_group_segment_fixed_size 20480
		.amdhsa_private_segment_fixed_size 0
		.amdhsa_kernarg_size 172
		.amdhsa_user_sgpr_count 15
		.amdhsa_user_sgpr_dispatch_ptr 0
		.amdhsa_user_sgpr_queue_ptr 0
		.amdhsa_user_sgpr_kernarg_segment_ptr 1
		.amdhsa_user_sgpr_dispatch_id 0
		.amdhsa_user_sgpr_private_segment_size 0
		.amdhsa_wavefront_size32 1
		.amdhsa_uses_dynamic_stack 0
		.amdhsa_enable_private_segment 0
		.amdhsa_system_sgpr_workgroup_id_x 1
		.amdhsa_system_sgpr_workgroup_id_y 0
		.amdhsa_system_sgpr_workgroup_id_z 0
		.amdhsa_system_sgpr_workgroup_info 0
		.amdhsa_system_vgpr_workitem_id 0
		.amdhsa_next_free_vgpr 43
		.amdhsa_next_free_sgpr 48
		.amdhsa_reserve_vcc 1
		.amdhsa_float_round_mode_32 0
		.amdhsa_float_round_mode_16_64 0
		.amdhsa_float_denorm_mode_32 3
		.amdhsa_float_denorm_mode_16_64 3
		.amdhsa_dx10_clamp 1
		.amdhsa_ieee_mode 1
		.amdhsa_fp16_overflow 0
		.amdhsa_workgroup_processor_mode 1
		.amdhsa_memory_ordered 1
		.amdhsa_forward_progress 0
		.amdhsa_shared_vgpr_count 0
		.amdhsa_exception_fp_ieee_invalid_op 0
		.amdhsa_exception_fp_denorm_src 0
		.amdhsa_exception_fp_ieee_div_zero 0
		.amdhsa_exception_fp_ieee_overflow 0
		.amdhsa_exception_fp_ieee_underflow 0
		.amdhsa_exception_fp_ieee_inexact 0
		.amdhsa_exception_int_div_zero 0
	.end_amdhsa_kernel
	.section	.text._ZN9rocsparseL27bsrgemm_fill_wf_per_row_2x2ILj256ELj16ELj32ELj137Ell21rocsparse_complex_numIfEEEv20rocsparse_direction_T4_S4_PKS4_S6_NS_24const_host_device_scalarIT5_EEPKT3_S6_PKS8_SC_S6_SE_S9_SC_S6_SE_SC_PS4_PS8_21rocsparse_index_base_SH_SH_SH_bbb,"axG",@progbits,_ZN9rocsparseL27bsrgemm_fill_wf_per_row_2x2ILj256ELj16ELj32ELj137Ell21rocsparse_complex_numIfEEEv20rocsparse_direction_T4_S4_PKS4_S6_NS_24const_host_device_scalarIT5_EEPKT3_S6_PKS8_SC_S6_SE_S9_SC_S6_SE_SC_PS4_PS8_21rocsparse_index_base_SH_SH_SH_bbb,comdat
.Lfunc_end129:
	.size	_ZN9rocsparseL27bsrgemm_fill_wf_per_row_2x2ILj256ELj16ELj32ELj137Ell21rocsparse_complex_numIfEEEv20rocsparse_direction_T4_S4_PKS4_S6_NS_24const_host_device_scalarIT5_EEPKT3_S6_PKS8_SC_S6_SE_S9_SC_S6_SE_SC_PS4_PS8_21rocsparse_index_base_SH_SH_SH_bbb, .Lfunc_end129-_ZN9rocsparseL27bsrgemm_fill_wf_per_row_2x2ILj256ELj16ELj32ELj137Ell21rocsparse_complex_numIfEEEv20rocsparse_direction_T4_S4_PKS4_S6_NS_24const_host_device_scalarIT5_EEPKT3_S6_PKS8_SC_S6_SE_S9_SC_S6_SE_SC_PS4_PS8_21rocsparse_index_base_SH_SH_SH_bbb
                                        ; -- End function
	.section	.AMDGPU.csdata,"",@progbits
; Kernel info:
; codeLenInByte = 5576
; NumSgprs: 50
; NumVgprs: 43
; ScratchSize: 0
; MemoryBound: 0
; FloatMode: 240
; IeeeMode: 1
; LDSByteSize: 20480 bytes/workgroup (compile time only)
; SGPRBlocks: 6
; VGPRBlocks: 5
; NumSGPRsForWavesPerEU: 50
; NumVGPRsForWavesPerEU: 43
; Occupancy: 12
; WaveLimiterHint : 1
; COMPUTE_PGM_RSRC2:SCRATCH_EN: 0
; COMPUTE_PGM_RSRC2:USER_SGPR: 15
; COMPUTE_PGM_RSRC2:TRAP_HANDLER: 0
; COMPUTE_PGM_RSRC2:TGID_X_EN: 1
; COMPUTE_PGM_RSRC2:TGID_Y_EN: 0
; COMPUTE_PGM_RSRC2:TGID_Z_EN: 0
; COMPUTE_PGM_RSRC2:TIDIG_COMP_CNT: 0
	.section	.text._ZN9rocsparseL30bsrgemm_fill_block_per_row_2x2ILj256ELj16ELj64ELj137Ell21rocsparse_complex_numIfEEEv20rocsparse_direction_T4_S4_PKS4_S6_NS_24const_host_device_scalarIT5_EEPKT3_S6_PKS8_SC_S6_SE_S9_SC_S6_SE_SC_PS4_PS8_21rocsparse_index_base_SH_SH_SH_bbb,"axG",@progbits,_ZN9rocsparseL30bsrgemm_fill_block_per_row_2x2ILj256ELj16ELj64ELj137Ell21rocsparse_complex_numIfEEEv20rocsparse_direction_T4_S4_PKS4_S6_NS_24const_host_device_scalarIT5_EEPKT3_S6_PKS8_SC_S6_SE_S9_SC_S6_SE_SC_PS4_PS8_21rocsparse_index_base_SH_SH_SH_bbb,comdat
	.globl	_ZN9rocsparseL30bsrgemm_fill_block_per_row_2x2ILj256ELj16ELj64ELj137Ell21rocsparse_complex_numIfEEEv20rocsparse_direction_T4_S4_PKS4_S6_NS_24const_host_device_scalarIT5_EEPKT3_S6_PKS8_SC_S6_SE_S9_SC_S6_SE_SC_PS4_PS8_21rocsparse_index_base_SH_SH_SH_bbb ; -- Begin function _ZN9rocsparseL30bsrgemm_fill_block_per_row_2x2ILj256ELj16ELj64ELj137Ell21rocsparse_complex_numIfEEEv20rocsparse_direction_T4_S4_PKS4_S6_NS_24const_host_device_scalarIT5_EEPKT3_S6_PKS8_SC_S6_SE_S9_SC_S6_SE_SC_PS4_PS8_21rocsparse_index_base_SH_SH_SH_bbb
	.p2align	8
	.type	_ZN9rocsparseL30bsrgemm_fill_block_per_row_2x2ILj256ELj16ELj64ELj137Ell21rocsparse_complex_numIfEEEv20rocsparse_direction_T4_S4_PKS4_S6_NS_24const_host_device_scalarIT5_EEPKT3_S6_PKS8_SC_S6_SE_S9_SC_S6_SE_SC_PS4_PS8_21rocsparse_index_base_SH_SH_SH_bbb,@function
_ZN9rocsparseL30bsrgemm_fill_block_per_row_2x2ILj256ELj16ELj64ELj137Ell21rocsparse_complex_numIfEEEv20rocsparse_direction_T4_S4_PKS4_S6_NS_24const_host_device_scalarIT5_EEPKT3_S6_PKS8_SC_S6_SE_S9_SC_S6_SE_SC_PS4_PS8_21rocsparse_index_base_SH_SH_SH_bbb: ; @_ZN9rocsparseL30bsrgemm_fill_block_per_row_2x2ILj256ELj16ELj64ELj137Ell21rocsparse_complex_numIfEEEv20rocsparse_direction_T4_S4_PKS4_S6_NS_24const_host_device_scalarIT5_EEPKT3_S6_PKS8_SC_S6_SE_S9_SC_S6_SE_SC_PS4_PS8_21rocsparse_index_base_SH_SH_SH_bbb
; %bb.0:
	s_mov_b32 s40, s15
	s_clause 0x6
	s_load_b32 s33, s[0:1], 0xa8
	s_load_b256 s[4:11], s[0:1], 0x70
	s_load_b256 s[12:19], s[0:1], 0x50
	s_load_b128 s[36:39], s[0:1], 0x18
	s_load_b256 s[20:27], s[0:1], 0x30
	s_load_b64 s[34:35], s[0:1], 0x90
	s_load_b128 s[28:31], s[0:1], 0x98
	s_mov_b32 s3, 0
	s_mov_b32 s44, 0
	s_waitcnt lgkmcnt(0)
	s_bitcmp1_b32 s33, 0
	s_cselect_b32 s46, -1, 0
	s_bitcmp1_b32 s33, 16
	s_cselect_b32 s2, -1, 0
	s_delay_alu instid0(SALU_CYCLE_1) | instskip(SKIP_2) | instid1(VALU_DEP_1)
	s_xor_b32 s41, s2, -1
	s_bitcmp0_b32 s33, 0
	v_cndmask_b32_e64 v1, 0, 1, s41
	v_cmp_ne_u32_e32 vcc_lo, 1, v1
	s_cbranch_scc1 .LBB130_5
; %bb.1:
	s_load_b64 s[2:3], s[0:1], 0x28
	s_and_b32 vcc_lo, exec_lo, vcc_lo
	s_waitcnt lgkmcnt(0)
	s_mov_b32 s44, s2
	s_cbranch_vccnz .LBB130_3
; %bb.2:
	s_load_b32 s44, s[2:3], 0x0
.LBB130_3:
	s_and_not1_b32 vcc_lo, exec_lo, s41
	s_cbranch_vccnz .LBB130_5
; %bb.4:
	s_load_b32 s3, s[2:3], 0x4
.LBB130_5:
	s_bitcmp1_b32 s33, 8
	s_mov_b32 s43, 0
	s_cselect_b32 s45, -1, 0
	s_bfe_u32 s2, s33, 0x10008
	s_mov_b32 s42, 0
	s_cmp_eq_u32 s2, 0
	s_cbranch_scc1 .LBB130_11
; %bb.6:
	v_cmp_ne_u32_e32 vcc_lo, 1, v1
	s_mov_b32 s42, s16
	s_cbranch_vccnz .LBB130_8
; %bb.7:
	s_load_b32 s42, s[16:17], 0x0
.LBB130_8:
	v_cmp_ne_u32_e32 vcc_lo, 1, v1
	s_cbranch_vccnz .LBB130_10
; %bb.9:
	s_load_b32 s17, s[16:17], 0x4
.LBB130_10:
	s_waitcnt lgkmcnt(0)
	s_mov_b32 s43, s17
.LBB130_11:
	s_load_b64 s[16:17], s[0:1], 0x10
	v_cmp_gt_u32_e64 s2, 64, v0
	v_lshl_add_u32 v22, v0, 3, 0
	s_delay_alu instid0(VALU_DEP_2)
	s_and_saveexec_b32 s33, s2
	s_cbranch_execz .LBB130_13
; %bb.12:
	s_waitcnt lgkmcnt(0)
	v_dual_mov_b32 v1, s16 :: v_dual_mov_b32 v2, s17
	ds_store_b64 v22, v[1:2]
.LBB130_13:
	s_or_b32 exec_lo, exec_lo, s33
	s_delay_alu instid0(SALU_CYCLE_1)
	s_mov_b32 s33, exec_lo
	v_cmpx_gt_u32_e32 0x100, v0
	s_cbranch_execz .LBB130_15
; %bb.14:
	v_mov_b32_e32 v1, 0
	ds_store_2addr_b32 v22, v1, v1 offset0:128 offset1:129
.LBB130_15:
	s_or_b32 exec_lo, exec_lo, s33
	s_cmp_eq_u64 s[38:39], 0
	s_mov_b32 s41, 0
	s_waitcnt lgkmcnt(0)
	s_barrier
	buffer_gl0_inv
	s_cbranch_scc1 .LBB130_17
; %bb.16:
	s_load_b64 s[36:37], s[36:37], 0x0
	s_waitcnt lgkmcnt(0)
	s_lshl_b64 s[36:37], s[36:37], 3
	s_delay_alu instid0(SALU_CYCLE_1) | instskip(SKIP_2) | instid1(SALU_CYCLE_1)
	s_add_u32 s33, s38, s36
	s_addc_u32 s38, s39, s37
	s_lshl_b64 s[36:37], s[40:41], 3
	s_add_u32 s36, s33, s36
	s_addc_u32 s37, s38, s37
	s_load_b64 s[40:41], s[36:37], 0x0
.LBB130_17:
	s_load_b32 s33, s[0:1], 0x0
	s_and_not1_b32 vcc_lo, exec_lo, s46
	s_cbranch_vccnz .LBB130_73
; %bb.18:
	s_waitcnt lgkmcnt(0)
	s_lshl_b64 s[0:1], s[40:41], 3
	v_lshrrev_b32_e32 v1, 4, v0
	s_add_u32 s0, s20, s0
	s_addc_u32 s1, s21, s1
	s_mov_b32 s21, 0
	s_load_b128 s[36:39], s[0:1], 0x0
	v_sub_co_u32 v1, s0, v1, s28
	s_delay_alu instid0(VALU_DEP_1) | instskip(SKIP_2) | instid1(VALU_DEP_2)
	v_sub_co_ci_u32_e64 v2, null, 0, 0, s0
	s_mov_b32 s20, exec_lo
	s_waitcnt lgkmcnt(0)
	v_add_co_u32 v1, vcc_lo, s36, v1
	s_delay_alu instid0(VALU_DEP_2)
	v_add_co_ci_u32_e32 v2, vcc_lo, s37, v2, vcc_lo
	s_sub_u32 s0, s38, s28
	s_subb_u32 s1, s39, 0
	s_delay_alu instid0(VALU_DEP_1) | instid1(SALU_CYCLE_1)
	v_cmpx_gt_i64_e64 s[0:1], v[1:2]
	s_cbranch_execz .LBB130_72
; %bb.19:
	v_and_b32_e32 v3, 15, v0
	s_cmp_eq_u32 s33, 0
	s_cselect_b32 s37, 1, 2
	s_delay_alu instid0(VALU_DEP_1) | instskip(NEXT) | instid1(VALU_DEP_1)
	v_sub_co_u32 v23, s36, v3, s29
	v_sub_co_ci_u32_e64 v24, null, 0, 0, s36
	s_cselect_b32 s36, 2, 1
	s_branch .LBB130_21
.LBB130_20:                             ;   in Loop: Header=BB130_21 Depth=1
	s_or_b32 exec_lo, exec_lo, s38
	v_add_co_u32 v1, vcc_lo, v1, 16
	v_add_co_ci_u32_e32 v2, vcc_lo, 0, v2, vcc_lo
	s_delay_alu instid0(VALU_DEP_1) | instskip(SKIP_1) | instid1(SALU_CYCLE_1)
	v_cmp_le_i64_e32 vcc_lo, s[0:1], v[1:2]
	s_or_b32 s21, vcc_lo, s21
	s_and_not1_b32 exec_lo, exec_lo, s21
	s_cbranch_execz .LBB130_72
.LBB130_21:                             ; =>This Loop Header: Depth=1
                                        ;     Child Loop BB130_24 Depth 2
                                        ;       Child Loop BB130_26 Depth 3
                                        ;       Child Loop BB130_38 Depth 3
	;; [unrolled: 1-line block ×4, first 2 shown]
	v_lshlrev_b64 v[3:4], 3, v[1:2]
	s_mov_b32 s38, exec_lo
	s_delay_alu instid0(VALU_DEP_1) | instskip(NEXT) | instid1(VALU_DEP_2)
	v_add_co_u32 v3, vcc_lo, s22, v3
	v_add_co_ci_u32_e32 v4, vcc_lo, s23, v4, vcc_lo
	global_load_b64 v[3:4], v[3:4], off
	s_waitcnt vmcnt(0)
	v_sub_co_u32 v3, vcc_lo, v3, s28
	v_subrev_co_ci_u32_e32 v4, vcc_lo, 0, v4, vcc_lo
	s_delay_alu instid0(VALU_DEP_1) | instskip(NEXT) | instid1(VALU_DEP_1)
	v_lshlrev_b64 v[3:4], 3, v[3:4]
	v_add_co_u32 v3, vcc_lo, s26, v3
	s_delay_alu instid0(VALU_DEP_2)
	v_add_co_ci_u32_e32 v4, vcc_lo, s27, v4, vcc_lo
	global_load_b128 v[5:8], v[3:4], off
	s_waitcnt vmcnt(0)
	v_sub_co_u32 v3, vcc_lo, v7, s29
	v_subrev_co_ci_u32_e32 v4, vcc_lo, 0, v8, vcc_lo
	v_add_co_u32 v5, vcc_lo, v5, v23
	v_add_co_ci_u32_e32 v6, vcc_lo, v6, v24, vcc_lo
	s_delay_alu instid0(VALU_DEP_1)
	v_cmpx_lt_i64_e64 v[5:6], v[3:4]
	s_cbranch_execz .LBB130_20
; %bb.22:                               ;   in Loop: Header=BB130_21 Depth=1
	v_lshlrev_b64 v[7:8], 2, v[1:2]
	v_lshlrev_b64 v[9:10], 5, v[1:2]
	s_mov_b32 s39, 0
	s_delay_alu instid0(VALU_DEP_2) | instskip(NEXT) | instid1(VALU_DEP_3)
	v_or_b32_e32 v12, 0, v8
	v_or_b32_e32 v11, s36, v7
	;; [unrolled: 1-line block ×4, first 2 shown]
	v_add_co_u32 v9, vcc_lo, s24, v9
	s_delay_alu instid0(VALU_DEP_4) | instskip(SKIP_1) | instid1(VALU_DEP_4)
	v_lshlrev_b64 v[11:12], 3, v[11:12]
	v_add_co_ci_u32_e32 v10, vcc_lo, s25, v10, vcc_lo
	v_lshlrev_b64 v[7:8], 3, v[7:8]
	global_load_b64 v[13:14], v[9:10], off
	v_add_co_u32 v11, vcc_lo, s24, v11
	v_add_co_ci_u32_e32 v12, vcc_lo, s25, v12, vcc_lo
	v_add_co_u32 v7, vcc_lo, s24, v7
	v_add_co_ci_u32_e32 v8, vcc_lo, s25, v8, vcc_lo
	s_clause 0x2
	global_load_b64 v[11:12], v[11:12], off
	global_load_b64 v[7:8], v[7:8], off
	global_load_b64 v[9:10], v[9:10], off offset:24
	s_waitcnt vmcnt(3)
	v_mul_f32_e64 v25, v14, -s3
	s_delay_alu instid0(VALU_DEP_1) | instskip(NEXT) | instid1(VALU_DEP_1)
	v_dual_mul_f32 v26, s44, v14 :: v_dual_fmac_f32 v25, s44, v13
	v_fmac_f32_e32 v26, s3, v13
	s_waitcnt vmcnt(2)
	v_mul_f32_e64 v27, v12, -s3
	s_waitcnt vmcnt(0)
	v_dual_mul_f32 v28, s44, v12 :: v_dual_mul_f32 v29, s44, v10
	v_mul_f32_e64 v30, v10, -s3
	v_mul_f32_e64 v32, v8, -s3
	v_fmac_f32_e32 v27, s44, v11
	s_delay_alu instid0(VALU_DEP_4) | instskip(NEXT) | instid1(VALU_DEP_3)
	v_dual_mul_f32 v31, s44, v8 :: v_dual_fmac_f32 v28, s3, v11
	v_dual_fmac_f32 v29, s3, v9 :: v_dual_fmac_f32 v32, s44, v7
	s_delay_alu instid0(VALU_DEP_2)
	v_dual_fmac_f32 v30, s44, v9 :: v_dual_fmac_f32 v31, s3, v7
	s_branch .LBB130_24
.LBB130_23:                             ;   in Loop: Header=BB130_24 Depth=2
	s_or_b32 exec_lo, exec_lo, s46
	v_add_co_u32 v5, vcc_lo, v5, 16
	v_add_co_ci_u32_e32 v6, vcc_lo, 0, v6, vcc_lo
	s_delay_alu instid0(VALU_DEP_1) | instskip(SKIP_1) | instid1(SALU_CYCLE_1)
	v_cmp_ge_i64_e32 vcc_lo, v[5:6], v[3:4]
	s_or_b32 s39, vcc_lo, s39
	s_and_not1_b32 exec_lo, exec_lo, s39
	s_cbranch_execz .LBB130_20
.LBB130_24:                             ;   Parent Loop BB130_21 Depth=1
                                        ; =>  This Loop Header: Depth=2
                                        ;       Child Loop BB130_26 Depth 3
                                        ;       Child Loop BB130_38 Depth 3
	;; [unrolled: 1-line block ×4, first 2 shown]
	v_lshlrev_b64 v[7:8], 2, v[5:6]
	v_lshlrev_b64 v[11:12], 3, v[5:6]
	;; [unrolled: 1-line block ×3, first 2 shown]
	s_mov_b32 s46, 0
	s_delay_alu instid0(VALU_DEP_3) | instskip(NEXT) | instid1(VALU_DEP_4)
	v_or_b32_e32 v10, 0, v8
	v_or_b32_e32 v9, s36, v7
	;; [unrolled: 1-line block ×4, first 2 shown]
	s_delay_alu instid0(VALU_DEP_3) | instskip(NEXT) | instid1(VALU_DEP_2)
	v_lshlrev_b64 v[9:10], 3, v[9:10]
	v_lshlrev_b64 v[7:8], 3, v[7:8]
	s_delay_alu instid0(VALU_DEP_2) | instskip(NEXT) | instid1(VALU_DEP_3)
	v_add_co_u32 v9, vcc_lo, s14, v9
	v_add_co_ci_u32_e32 v10, vcc_lo, s15, v10, vcc_lo
	v_add_co_u32 v11, vcc_lo, s12, v11
	v_add_co_ci_u32_e32 v12, vcc_lo, s13, v12, vcc_lo
	global_load_b64 v[16:17], v[9:10], off
	global_load_b64 v[18:19], v[11:12], off
	v_add_co_u32 v12, vcc_lo, s14, v13
	v_add_co_ci_u32_e32 v13, vcc_lo, s15, v14, vcc_lo
	v_add_co_u32 v7, vcc_lo, s14, v7
	v_add_co_ci_u32_e32 v8, vcc_lo, s15, v8, vcc_lo
	s_clause 0x2
	global_load_b64 v[14:15], v[12:13], off
	global_load_b64 v[10:11], v[7:8], off
	global_load_b64 v[12:13], v[12:13], off offset:24
	s_waitcnt vmcnt(4)
	v_mul_f32_e64 v20, v17, -v31
	s_waitcnt vmcnt(3)
	v_sub_co_u32 v7, vcc_lo, v18, s29
	s_delay_alu instid0(VALU_DEP_2) | instskip(SKIP_2) | instid1(VALU_DEP_4)
	v_fmac_f32_e32 v20, v32, v16
	v_mul_f32_e32 v33, v32, v17
	v_subrev_co_ci_u32_e32 v8, vcc_lo, 0, v19, vcc_lo
	v_lshl_add_u32 v9, v7, 3, v7
	s_waitcnt vmcnt(2)
	s_delay_alu instid0(VALU_DEP_1) | instskip(SKIP_3) | instid1(VALU_DEP_3)
	v_dual_fmac_f32 v20, v25, v14 :: v_dual_and_b32 v9, 63, v9
	v_fmac_f32_e32 v33, v31, v16
	s_waitcnt vmcnt(1)
	v_mov_b32_e32 v19, v10
	v_fma_f32 v34, -v26, v15, v20
	s_delay_alu instid0(VALU_DEP_3) | instskip(NEXT) | instid1(VALU_DEP_1)
	v_dual_mov_b32 v18, v9 :: v_dual_fmac_f32 v33, v26, v14
	v_fmac_f32_e32 v33, v25, v15
	s_branch .LBB130_26
.LBB130_25:                             ;   in Loop: Header=BB130_26 Depth=3
	s_or_b32 exec_lo, exec_lo, s47
	s_xor_b32 s47, s48, -1
	s_delay_alu instid0(SALU_CYCLE_1) | instskip(NEXT) | instid1(SALU_CYCLE_1)
	s_and_b32 s47, exec_lo, s47
	s_or_b32 s46, s47, s46
	s_delay_alu instid0(SALU_CYCLE_1)
	s_and_not1_b32 exec_lo, exec_lo, s46
	s_cbranch_execz .LBB130_36
.LBB130_26:                             ;   Parent Loop BB130_21 Depth=1
                                        ;     Parent Loop BB130_24 Depth=2
                                        ; =>    This Inner Loop Header: Depth=3
	s_delay_alu instid0(VALU_DEP_2)
	v_lshl_add_u32 v19, v18, 3, 0
	s_mov_b32 s47, exec_lo
                                        ; implicit-def: $sgpr48
	ds_load_b64 v[20:21], v19
	s_waitcnt lgkmcnt(0)
	v_cmpx_ne_u64_e64 v[20:21], v[7:8]
	s_xor_b32 s47, exec_lo, s47
	s_cbranch_execz .LBB130_34
; %bb.27:                               ;   in Loop: Header=BB130_26 Depth=3
	s_mov_b32 s49, exec_lo
                                        ; implicit-def: $sgpr48
	v_cmpx_ne_u64_e64 s[16:17], v[20:21]
	s_xor_b32 s49, exec_lo, s49
; %bb.28:                               ;   in Loop: Header=BB130_26 Depth=3
	v_add_nc_u32_e32 v18, 1, v18
	s_mov_b32 s48, -1
                                        ; implicit-def: $vgpr19
	s_delay_alu instid0(VALU_DEP_1)
	v_and_b32_e32 v18, 63, v18
; %bb.29:                               ;   in Loop: Header=BB130_26 Depth=3
	s_and_not1_saveexec_b32 s49, s49
	s_cbranch_execz .LBB130_33
; %bb.30:                               ;   in Loop: Header=BB130_26 Depth=3
	v_dual_mov_b32 v21, s17 :: v_dual_mov_b32 v20, s16
	s_mov_b32 s51, -1
	s_mov_b32 s50, exec_lo
	ds_cmpstore_rtn_b64 v[20:21], v19, v[7:8], v[20:21]
	s_waitcnt lgkmcnt(0)
	v_cmpx_eq_u64_e64 s[16:17], v[20:21]
	s_cbranch_execz .LBB130_32
; %bb.31:                               ;   in Loop: Header=BB130_26 Depth=3
	v_mad_u64_u32 v[20:21], null, v18, 24, v[19:20]
	s_xor_b32 s51, exec_lo, -1
	ds_add_f32 v20, v34 offset:512
	ds_add_f32 v20, v33 offset:516
.LBB130_32:                             ;   in Loop: Header=BB130_26 Depth=3
	s_or_b32 exec_lo, exec_lo, s50
	s_delay_alu instid0(SALU_CYCLE_1) | instskip(SKIP_1) | instid1(SALU_CYCLE_1)
	s_and_not1_b32 s48, s48, exec_lo
	s_and_b32 s50, s51, exec_lo
	s_or_b32 s48, s48, s50
.LBB130_33:                             ;   in Loop: Header=BB130_26 Depth=3
	s_or_b32 exec_lo, exec_lo, s49
	s_delay_alu instid0(SALU_CYCLE_1)
	s_and_b32 s48, s48, exec_lo
                                        ; implicit-def: $vgpr19
.LBB130_34:                             ;   in Loop: Header=BB130_26 Depth=3
	s_and_not1_saveexec_b32 s47, s47
	s_cbranch_execz .LBB130_25
; %bb.35:                               ;   in Loop: Header=BB130_26 Depth=3
	v_mad_u64_u32 v[20:21], null, v18, 24, v[19:20]
	s_and_not1_b32 s48, s48, exec_lo
	ds_add_f32 v20, v34 offset:512
	ds_add_f32 v20, v33 offset:516
	s_branch .LBB130_25
.LBB130_36:                             ;   in Loop: Header=BB130_24 Depth=2
	s_or_b32 exec_lo, exec_lo, s46
	s_waitcnt vmcnt(0)
	v_mul_f32_e64 v18, v13, -v31
	s_mov_b32 s46, 0
	s_delay_alu instid0(VALU_DEP_1) | instskip(NEXT) | instid1(VALU_DEP_1)
	v_fmac_f32_e32 v18, v32, v12
	v_dual_mul_f32 v33, v32, v13 :: v_dual_fmac_f32 v18, v25, v10
	s_delay_alu instid0(VALU_DEP_1) | instskip(NEXT) | instid1(VALU_DEP_2)
	v_fmac_f32_e32 v33, v31, v12
	v_fma_f32 v34, -v26, v11, v18
	v_dual_mov_b32 v19, v10 :: v_dual_mov_b32 v18, v9
	s_delay_alu instid0(VALU_DEP_3) | instskip(NEXT) | instid1(VALU_DEP_1)
	v_fmac_f32_e32 v33, v26, v10
	v_fmac_f32_e32 v33, v25, v11
	s_branch .LBB130_38
.LBB130_37:                             ;   in Loop: Header=BB130_38 Depth=3
	s_or_b32 exec_lo, exec_lo, s47
	s_xor_b32 s47, s48, -1
	s_delay_alu instid0(SALU_CYCLE_1) | instskip(NEXT) | instid1(SALU_CYCLE_1)
	s_and_b32 s47, exec_lo, s47
	s_or_b32 s46, s47, s46
	s_delay_alu instid0(SALU_CYCLE_1)
	s_and_not1_b32 exec_lo, exec_lo, s46
	s_cbranch_execz .LBB130_48
.LBB130_38:                             ;   Parent Loop BB130_21 Depth=1
                                        ;     Parent Loop BB130_24 Depth=2
                                        ; =>    This Inner Loop Header: Depth=3
	s_delay_alu instid0(VALU_DEP_3)
	v_lshl_add_u32 v19, v18, 3, 0
	s_mov_b32 s47, exec_lo
                                        ; implicit-def: $sgpr48
	ds_load_b64 v[20:21], v19
	s_waitcnt lgkmcnt(0)
	v_cmpx_ne_u64_e64 v[20:21], v[7:8]
	s_xor_b32 s47, exec_lo, s47
	s_cbranch_execz .LBB130_46
; %bb.39:                               ;   in Loop: Header=BB130_38 Depth=3
	s_mov_b32 s49, exec_lo
                                        ; implicit-def: $sgpr48
	v_cmpx_ne_u64_e64 s[16:17], v[20:21]
	s_xor_b32 s49, exec_lo, s49
; %bb.40:                               ;   in Loop: Header=BB130_38 Depth=3
	v_add_nc_u32_e32 v18, 1, v18
	s_mov_b32 s48, -1
                                        ; implicit-def: $vgpr19
	s_delay_alu instid0(VALU_DEP_1)
	v_and_b32_e32 v18, 63, v18
; %bb.41:                               ;   in Loop: Header=BB130_38 Depth=3
	s_and_not1_saveexec_b32 s49, s49
	s_cbranch_execz .LBB130_45
; %bb.42:                               ;   in Loop: Header=BB130_38 Depth=3
	v_dual_mov_b32 v21, s17 :: v_dual_mov_b32 v20, s16
	s_mov_b32 s51, -1
	s_mov_b32 s50, exec_lo
	ds_cmpstore_rtn_b64 v[20:21], v19, v[7:8], v[20:21]
	s_waitcnt lgkmcnt(0)
	v_cmpx_eq_u64_e64 s[16:17], v[20:21]
	s_cbranch_execz .LBB130_44
; %bb.43:                               ;   in Loop: Header=BB130_38 Depth=3
	v_mad_u64_u32 v[20:21], null, v18, 24, v[19:20]
	s_xor_b32 s51, exec_lo, -1
	ds_add_f32 v20, v34 offset:520
	ds_add_f32 v20, v33 offset:524
.LBB130_44:                             ;   in Loop: Header=BB130_38 Depth=3
	s_or_b32 exec_lo, exec_lo, s50
	s_delay_alu instid0(SALU_CYCLE_1) | instskip(SKIP_1) | instid1(SALU_CYCLE_1)
	s_and_not1_b32 s48, s48, exec_lo
	s_and_b32 s50, s51, exec_lo
	s_or_b32 s48, s48, s50
.LBB130_45:                             ;   in Loop: Header=BB130_38 Depth=3
	s_or_b32 exec_lo, exec_lo, s49
	s_delay_alu instid0(SALU_CYCLE_1)
	s_and_b32 s48, s48, exec_lo
                                        ; implicit-def: $vgpr19
.LBB130_46:                             ;   in Loop: Header=BB130_38 Depth=3
	s_and_not1_saveexec_b32 s47, s47
	s_cbranch_execz .LBB130_37
; %bb.47:                               ;   in Loop: Header=BB130_38 Depth=3
	v_mad_u64_u32 v[20:21], null, v18, 24, v[19:20]
	s_and_not1_b32 s48, s48, exec_lo
	ds_add_f32 v20, v34 offset:520
	ds_add_f32 v20, v33 offset:524
	s_branch .LBB130_37
.LBB130_48:                             ;   in Loop: Header=BB130_24 Depth=2
	s_or_b32 exec_lo, exec_lo, s46
	v_mul_f32_e64 v19, v17, -v29
	s_mov_b32 s46, 0
	s_delay_alu instid0(VALU_DEP_1) | instskip(NEXT) | instid1(VALU_DEP_1)
	v_fmac_f32_e32 v19, v30, v16
	v_dual_mul_f32 v18, v30, v17 :: v_dual_fmac_f32 v19, v27, v14
	s_delay_alu instid0(VALU_DEP_1) | instskip(NEXT) | instid1(VALU_DEP_2)
	v_fmac_f32_e32 v18, v29, v16
	v_fma_f32 v19, -v28, v15, v19
	s_delay_alu instid0(VALU_DEP_2) | instskip(NEXT) | instid1(VALU_DEP_1)
	v_fmac_f32_e32 v18, v28, v14
	v_dual_fmac_f32 v18, v27, v15 :: v_dual_mov_b32 v15, v10
	v_mov_b32_e32 v14, v9
	s_branch .LBB130_50
.LBB130_49:                             ;   in Loop: Header=BB130_50 Depth=3
	s_or_b32 exec_lo, exec_lo, s47
	s_xor_b32 s47, s48, -1
	s_delay_alu instid0(SALU_CYCLE_1) | instskip(NEXT) | instid1(SALU_CYCLE_1)
	s_and_b32 s47, exec_lo, s47
	s_or_b32 s46, s47, s46
	s_delay_alu instid0(SALU_CYCLE_1)
	s_and_not1_b32 exec_lo, exec_lo, s46
	s_cbranch_execz .LBB130_60
.LBB130_50:                             ;   Parent Loop BB130_21 Depth=1
                                        ;     Parent Loop BB130_24 Depth=2
                                        ; =>    This Inner Loop Header: Depth=3
	s_delay_alu instid0(VALU_DEP_1)
	v_lshl_add_u32 v15, v14, 3, 0
	s_mov_b32 s47, exec_lo
                                        ; implicit-def: $sgpr48
	ds_load_b64 v[16:17], v15
	s_waitcnt lgkmcnt(0)
	v_cmpx_ne_u64_e64 v[16:17], v[7:8]
	s_xor_b32 s47, exec_lo, s47
	s_cbranch_execz .LBB130_58
; %bb.51:                               ;   in Loop: Header=BB130_50 Depth=3
	s_mov_b32 s49, exec_lo
                                        ; implicit-def: $sgpr48
	v_cmpx_ne_u64_e64 s[16:17], v[16:17]
	s_xor_b32 s49, exec_lo, s49
; %bb.52:                               ;   in Loop: Header=BB130_50 Depth=3
	v_add_nc_u32_e32 v14, 1, v14
	s_mov_b32 s48, -1
                                        ; implicit-def: $vgpr15
	s_delay_alu instid0(VALU_DEP_1)
	v_and_b32_e32 v14, 63, v14
; %bb.53:                               ;   in Loop: Header=BB130_50 Depth=3
	s_and_not1_saveexec_b32 s49, s49
	s_cbranch_execz .LBB130_57
; %bb.54:                               ;   in Loop: Header=BB130_50 Depth=3
	v_dual_mov_b32 v16, s16 :: v_dual_mov_b32 v17, s17
	s_mov_b32 s51, -1
	s_mov_b32 s50, exec_lo
	ds_cmpstore_rtn_b64 v[16:17], v15, v[7:8], v[16:17]
	s_waitcnt lgkmcnt(0)
	v_cmpx_eq_u64_e64 s[16:17], v[16:17]
	s_cbranch_execz .LBB130_56
; %bb.55:                               ;   in Loop: Header=BB130_50 Depth=3
	v_mad_u64_u32 v[16:17], null, v14, 24, v[15:16]
	s_xor_b32 s51, exec_lo, -1
	ds_add_f32 v16, v19 offset:528
	ds_add_f32 v16, v18 offset:532
.LBB130_56:                             ;   in Loop: Header=BB130_50 Depth=3
	s_or_b32 exec_lo, exec_lo, s50
	s_delay_alu instid0(SALU_CYCLE_1) | instskip(SKIP_1) | instid1(SALU_CYCLE_1)
	s_and_not1_b32 s48, s48, exec_lo
	s_and_b32 s50, s51, exec_lo
	s_or_b32 s48, s48, s50
.LBB130_57:                             ;   in Loop: Header=BB130_50 Depth=3
	s_or_b32 exec_lo, exec_lo, s49
	s_delay_alu instid0(SALU_CYCLE_1)
	s_and_b32 s48, s48, exec_lo
                                        ; implicit-def: $vgpr15
.LBB130_58:                             ;   in Loop: Header=BB130_50 Depth=3
	s_and_not1_saveexec_b32 s47, s47
	s_cbranch_execz .LBB130_49
; %bb.59:                               ;   in Loop: Header=BB130_50 Depth=3
	v_mad_u64_u32 v[16:17], null, v14, 24, v[15:16]
	s_and_not1_b32 s48, s48, exec_lo
	ds_add_f32 v16, v19 offset:528
	ds_add_f32 v16, v18 offset:532
	s_branch .LBB130_49
.LBB130_60:                             ;   in Loop: Header=BB130_24 Depth=2
	s_or_b32 exec_lo, exec_lo, s46
	v_mul_f32_e64 v14, v13, -v29
	s_mov_b32 s46, 0
	s_delay_alu instid0(VALU_DEP_1) | instskip(NEXT) | instid1(VALU_DEP_1)
	v_fmac_f32_e32 v14, v30, v12
	v_dual_mul_f32 v13, v30, v13 :: v_dual_fmac_f32 v14, v27, v10
	s_delay_alu instid0(VALU_DEP_1) | instskip(NEXT) | instid1(VALU_DEP_2)
	v_fmac_f32_e32 v13, v29, v12
	v_fma_f32 v14, -v28, v11, v14
	s_delay_alu instid0(VALU_DEP_2) | instskip(NEXT) | instid1(VALU_DEP_1)
	v_fmac_f32_e32 v13, v28, v10
	v_fmac_f32_e32 v13, v27, v11
	s_branch .LBB130_62
.LBB130_61:                             ;   in Loop: Header=BB130_62 Depth=3
	s_or_b32 exec_lo, exec_lo, s47
	s_xor_b32 s47, s48, -1
	s_delay_alu instid0(SALU_CYCLE_1) | instskip(NEXT) | instid1(SALU_CYCLE_1)
	s_and_b32 s47, exec_lo, s47
	s_or_b32 s46, s47, s46
	s_delay_alu instid0(SALU_CYCLE_1)
	s_and_not1_b32 exec_lo, exec_lo, s46
	s_cbranch_execz .LBB130_23
.LBB130_62:                             ;   Parent Loop BB130_21 Depth=1
                                        ;     Parent Loop BB130_24 Depth=2
                                        ; =>    This Inner Loop Header: Depth=3
	v_lshl_add_u32 v10, v9, 3, 0
	s_mov_b32 s47, exec_lo
                                        ; implicit-def: $sgpr48
	ds_load_b64 v[11:12], v10
	s_waitcnt lgkmcnt(0)
	v_cmpx_ne_u64_e64 v[11:12], v[7:8]
	s_xor_b32 s47, exec_lo, s47
	s_cbranch_execz .LBB130_70
; %bb.63:                               ;   in Loop: Header=BB130_62 Depth=3
	s_mov_b32 s49, exec_lo
                                        ; implicit-def: $sgpr48
	v_cmpx_ne_u64_e64 s[16:17], v[11:12]
	s_xor_b32 s49, exec_lo, s49
; %bb.64:                               ;   in Loop: Header=BB130_62 Depth=3
	v_add_nc_u32_e32 v9, 1, v9
	s_mov_b32 s48, -1
                                        ; implicit-def: $vgpr10
	s_delay_alu instid0(VALU_DEP_1)
	v_and_b32_e32 v9, 63, v9
; %bb.65:                               ;   in Loop: Header=BB130_62 Depth=3
	s_and_not1_saveexec_b32 s49, s49
	s_cbranch_execz .LBB130_69
; %bb.66:                               ;   in Loop: Header=BB130_62 Depth=3
	v_dual_mov_b32 v11, s16 :: v_dual_mov_b32 v12, s17
	s_mov_b32 s51, -1
	s_mov_b32 s50, exec_lo
	ds_cmpstore_rtn_b64 v[11:12], v10, v[7:8], v[11:12]
	s_waitcnt lgkmcnt(0)
	v_cmpx_eq_u64_e64 s[16:17], v[11:12]
	s_cbranch_execz .LBB130_68
; %bb.67:                               ;   in Loop: Header=BB130_62 Depth=3
	v_mad_u64_u32 v[11:12], null, v9, 24, v[10:11]
	s_xor_b32 s51, exec_lo, -1
	ds_add_f32 v11, v14 offset:536
	ds_add_f32 v11, v13 offset:540
.LBB130_68:                             ;   in Loop: Header=BB130_62 Depth=3
	s_or_b32 exec_lo, exec_lo, s50
	s_delay_alu instid0(SALU_CYCLE_1) | instskip(SKIP_1) | instid1(SALU_CYCLE_1)
	s_and_not1_b32 s48, s48, exec_lo
	s_and_b32 s50, s51, exec_lo
	s_or_b32 s48, s48, s50
.LBB130_69:                             ;   in Loop: Header=BB130_62 Depth=3
	s_or_b32 exec_lo, exec_lo, s49
	s_delay_alu instid0(SALU_CYCLE_1)
	s_and_b32 s48, s48, exec_lo
                                        ; implicit-def: $vgpr10
.LBB130_70:                             ;   in Loop: Header=BB130_62 Depth=3
	s_and_not1_saveexec_b32 s47, s47
	s_cbranch_execz .LBB130_61
; %bb.71:                               ;   in Loop: Header=BB130_62 Depth=3
	v_mad_u64_u32 v[11:12], null, v9, 24, v[10:11]
	s_and_not1_b32 s48, s48, exec_lo
	ds_add_f32 v11, v14 offset:536
	ds_add_f32 v11, v13 offset:540
	s_branch .LBB130_61
.LBB130_72:
	s_or_b32 exec_lo, exec_lo, s20
.LBB130_73:
	s_delay_alu instid0(SALU_CYCLE_1)
	s_and_not1_b32 vcc_lo, exec_lo, s45
	s_waitcnt lgkmcnt(0)
	s_barrier
	buffer_gl0_inv
	s_cbranch_vccnz .LBB130_126
; %bb.74:
	s_lshl_b64 s[0:1], s[40:41], 3
	s_mov_b32 s3, 0
	s_add_u32 s0, s18, s0
	s_addc_u32 s1, s19, s1
	s_load_b128 s[12:15], s[0:1], 0x0
	v_sub_co_u32 v1, s0, v0, s31
	s_delay_alu instid0(VALU_DEP_1) | instskip(SKIP_1) | instid1(VALU_DEP_2)
	v_sub_co_ci_u32_e64 v2, null, 0, 0, s0
	s_waitcnt lgkmcnt(0)
	v_add_co_u32 v1, vcc_lo, s12, v1
	s_delay_alu instid0(VALU_DEP_2) | instskip(SKIP_3) | instid1(VALU_DEP_1)
	v_add_co_ci_u32_e32 v2, vcc_lo, s13, v2, vcc_lo
	s_sub_u32 s0, s14, s31
	s_subb_u32 s1, s15, 0
	s_mov_b32 s12, exec_lo
	v_cmpx_gt_i64_e64 s[0:1], v[1:2]
	s_cbranch_execz .LBB130_125
; %bb.75:
	s_cmp_eq_u32 s33, 0
	s_mov_b32 s13, s31
	s_cselect_b32 s14, 1, 2
	s_cselect_b32 s15, 2, 1
	s_branch .LBB130_77
.LBB130_76:                             ;   in Loop: Header=BB130_77 Depth=1
	s_or_b32 exec_lo, exec_lo, s18
	v_add_co_u32 v1, vcc_lo, 0x100, v1
	v_add_co_ci_u32_e32 v2, vcc_lo, 0, v2, vcc_lo
	s_delay_alu instid0(VALU_DEP_1) | instskip(SKIP_1) | instid1(SALU_CYCLE_1)
	v_cmp_le_i64_e32 vcc_lo, s[0:1], v[1:2]
	s_or_b32 s3, vcc_lo, s3
	s_and_not1_b32 exec_lo, exec_lo, s3
	s_cbranch_execz .LBB130_125
.LBB130_77:                             ; =>This Loop Header: Depth=1
                                        ;     Child Loop BB130_79 Depth 2
                                        ;     Child Loop BB130_91 Depth 2
	;; [unrolled: 1-line block ×4, first 2 shown]
	v_lshlrev_b64 v[5:6], 3, v[1:2]
	v_lshlrev_b64 v[3:4], 2, v[1:2]
	;; [unrolled: 1-line block ×3, first 2 shown]
	s_mov_b32 s18, 0
	s_delay_alu instid0(VALU_DEP_3) | instskip(NEXT) | instid1(VALU_DEP_4)
	v_add_co_u32 v5, vcc_lo, s4, v5
	v_add_co_ci_u32_e32 v6, vcc_lo, s5, v6, vcc_lo
	s_delay_alu instid0(VALU_DEP_4)
	v_or_b32_e32 v10, 0, v4
	v_or_b32_e32 v9, s14, v3
	;; [unrolled: 1-line block ×3, first 2 shown]
	global_load_b64 v[12:13], v[5:6], off
	v_or_b32_e32 v3, s15, v3
	v_add_co_u32 v7, vcc_lo, s6, v7
	v_lshlrev_b64 v[5:6], 3, v[9:10]
	v_add_co_ci_u32_e32 v8, vcc_lo, s7, v8, vcc_lo
	s_delay_alu instid0(VALU_DEP_4) | instskip(NEXT) | instid1(VALU_DEP_3)
	v_lshlrev_b64 v[3:4], 3, v[3:4]
	v_add_co_u32 v9, vcc_lo, s6, v5
	global_load_b64 v[14:15], v[7:8], off
	v_add_co_ci_u32_e32 v10, vcc_lo, s7, v6, vcc_lo
	v_add_co_u32 v3, vcc_lo, s6, v3
	v_add_co_ci_u32_e32 v4, vcc_lo, s7, v4, vcc_lo
	s_clause 0x2
	global_load_b64 v[6:7], v[7:8], off offset:24
	global_load_b64 v[10:11], v[9:10], off
	global_load_b64 v[8:9], v[3:4], off
	s_waitcnt vmcnt(4)
	v_sub_co_u32 v3, vcc_lo, v12, s13
	v_subrev_co_ci_u32_e32 v4, vcc_lo, 0, v13, vcc_lo
	s_delay_alu instid0(VALU_DEP_2) | instskip(NEXT) | instid1(VALU_DEP_1)
	v_lshl_add_u32 v5, v3, 3, v3
	v_and_b32_e32 v5, 63, v5
	s_waitcnt vmcnt(3)
	v_mul_f32_e64 v16, v15, -s43
	s_delay_alu instid0(VALU_DEP_1) | instskip(SKIP_2) | instid1(VALU_DEP_2)
	v_dual_mul_f32 v17, s42, v15 :: v_dual_fmac_f32 v16, s42, v14
	s_waitcnt vmcnt(2)
	v_mov_b32_e32 v13, v6
	v_dual_fmac_f32 v17, s43, v14 :: v_dual_mov_b32 v12, v5
	s_branch .LBB130_79
.LBB130_78:                             ;   in Loop: Header=BB130_79 Depth=2
	s_or_b32 exec_lo, exec_lo, s19
	s_xor_b32 s19, s20, -1
	s_delay_alu instid0(SALU_CYCLE_1) | instskip(NEXT) | instid1(SALU_CYCLE_1)
	s_and_b32 s19, exec_lo, s19
	s_or_b32 s18, s19, s18
	s_delay_alu instid0(SALU_CYCLE_1)
	s_and_not1_b32 exec_lo, exec_lo, s18
	s_cbranch_execz .LBB130_89
.LBB130_79:                             ;   Parent Loop BB130_77 Depth=1
                                        ; =>  This Inner Loop Header: Depth=2
	s_delay_alu instid0(VALU_DEP_1)
	v_lshl_add_u32 v13, v12, 3, 0
	s_mov_b32 s19, exec_lo
                                        ; implicit-def: $sgpr20
	ds_load_b64 v[14:15], v13
	s_waitcnt lgkmcnt(0)
	v_cmpx_ne_u64_e64 v[14:15], v[3:4]
	s_xor_b32 s19, exec_lo, s19
	s_cbranch_execz .LBB130_87
; %bb.80:                               ;   in Loop: Header=BB130_79 Depth=2
	s_mov_b32 s21, exec_lo
                                        ; implicit-def: $sgpr20
	v_cmpx_ne_u64_e64 s[16:17], v[14:15]
	s_xor_b32 s21, exec_lo, s21
; %bb.81:                               ;   in Loop: Header=BB130_79 Depth=2
	v_add_nc_u32_e32 v12, 1, v12
	s_mov_b32 s20, -1
                                        ; implicit-def: $vgpr13
	s_delay_alu instid0(VALU_DEP_1)
	v_and_b32_e32 v12, 63, v12
; %bb.82:                               ;   in Loop: Header=BB130_79 Depth=2
	s_and_not1_saveexec_b32 s21, s21
	s_cbranch_execz .LBB130_86
; %bb.83:                               ;   in Loop: Header=BB130_79 Depth=2
	v_dual_mov_b32 v14, s16 :: v_dual_mov_b32 v15, s17
	s_mov_b32 s23, -1
	s_mov_b32 s22, exec_lo
	ds_cmpstore_rtn_b64 v[14:15], v13, v[3:4], v[14:15]
	s_waitcnt lgkmcnt(0)
	v_cmpx_eq_u64_e64 s[16:17], v[14:15]
	s_cbranch_execz .LBB130_85
; %bb.84:                               ;   in Loop: Header=BB130_79 Depth=2
	v_mad_u64_u32 v[14:15], null, v12, 24, v[13:14]
	s_xor_b32 s23, exec_lo, -1
	ds_add_f32 v14, v16 offset:512
	ds_add_f32 v14, v17 offset:516
.LBB130_85:                             ;   in Loop: Header=BB130_79 Depth=2
	s_or_b32 exec_lo, exec_lo, s22
	s_delay_alu instid0(SALU_CYCLE_1) | instskip(SKIP_1) | instid1(SALU_CYCLE_1)
	s_and_not1_b32 s20, s20, exec_lo
	s_and_b32 s22, s23, exec_lo
	s_or_b32 s20, s20, s22
.LBB130_86:                             ;   in Loop: Header=BB130_79 Depth=2
	s_or_b32 exec_lo, exec_lo, s21
	s_delay_alu instid0(SALU_CYCLE_1)
	s_and_b32 s20, s20, exec_lo
                                        ; implicit-def: $vgpr13
.LBB130_87:                             ;   in Loop: Header=BB130_79 Depth=2
	s_and_not1_saveexec_b32 s19, s19
	s_cbranch_execz .LBB130_78
; %bb.88:                               ;   in Loop: Header=BB130_79 Depth=2
	v_mad_u64_u32 v[14:15], null, v12, 24, v[13:14]
	s_and_not1_b32 s20, s20, exec_lo
	ds_add_f32 v14, v16 offset:512
	ds_add_f32 v14, v17 offset:516
	s_branch .LBB130_78
.LBB130_89:                             ;   in Loop: Header=BB130_77 Depth=1
	s_or_b32 exec_lo, exec_lo, s18
	s_waitcnt vmcnt(1)
	v_mul_f32_e64 v14, v11, -s43
	v_mul_f32_e32 v15, s42, v11
	s_mov_b32 s18, 0
	s_delay_alu instid0(VALU_DEP_2) | instskip(NEXT) | instid1(VALU_DEP_2)
	v_fmac_f32_e32 v14, s42, v10
	v_fmac_f32_e32 v15, s43, v10
	v_dual_mov_b32 v11, v6 :: v_dual_mov_b32 v10, v5
	s_branch .LBB130_91
.LBB130_90:                             ;   in Loop: Header=BB130_91 Depth=2
	s_or_b32 exec_lo, exec_lo, s19
	s_xor_b32 s19, s20, -1
	s_delay_alu instid0(SALU_CYCLE_1) | instskip(NEXT) | instid1(SALU_CYCLE_1)
	s_and_b32 s19, exec_lo, s19
	s_or_b32 s18, s19, s18
	s_delay_alu instid0(SALU_CYCLE_1)
	s_and_not1_b32 exec_lo, exec_lo, s18
	s_cbranch_execz .LBB130_101
.LBB130_91:                             ;   Parent Loop BB130_77 Depth=1
                                        ; =>  This Inner Loop Header: Depth=2
	s_delay_alu instid0(VALU_DEP_1)
	v_lshl_add_u32 v11, v10, 3, 0
	s_mov_b32 s19, exec_lo
                                        ; implicit-def: $sgpr20
	ds_load_b64 v[12:13], v11
	s_waitcnt lgkmcnt(0)
	v_cmpx_ne_u64_e64 v[12:13], v[3:4]
	s_xor_b32 s19, exec_lo, s19
	s_cbranch_execz .LBB130_99
; %bb.92:                               ;   in Loop: Header=BB130_91 Depth=2
	s_mov_b32 s21, exec_lo
                                        ; implicit-def: $sgpr20
	v_cmpx_ne_u64_e64 s[16:17], v[12:13]
	s_xor_b32 s21, exec_lo, s21
; %bb.93:                               ;   in Loop: Header=BB130_91 Depth=2
	v_add_nc_u32_e32 v10, 1, v10
	s_mov_b32 s20, -1
                                        ; implicit-def: $vgpr11
	s_delay_alu instid0(VALU_DEP_1)
	v_and_b32_e32 v10, 63, v10
; %bb.94:                               ;   in Loop: Header=BB130_91 Depth=2
	s_and_not1_saveexec_b32 s21, s21
	s_cbranch_execz .LBB130_98
; %bb.95:                               ;   in Loop: Header=BB130_91 Depth=2
	v_dual_mov_b32 v12, s16 :: v_dual_mov_b32 v13, s17
	s_mov_b32 s23, -1
	s_mov_b32 s22, exec_lo
	ds_cmpstore_rtn_b64 v[12:13], v11, v[3:4], v[12:13]
	s_waitcnt lgkmcnt(0)
	v_cmpx_eq_u64_e64 s[16:17], v[12:13]
	s_cbranch_execz .LBB130_97
; %bb.96:                               ;   in Loop: Header=BB130_91 Depth=2
	v_mad_u64_u32 v[12:13], null, v10, 24, v[11:12]
	s_xor_b32 s23, exec_lo, -1
	ds_add_f32 v12, v14 offset:520
	ds_add_f32 v12, v15 offset:524
.LBB130_97:                             ;   in Loop: Header=BB130_91 Depth=2
	s_or_b32 exec_lo, exec_lo, s22
	s_delay_alu instid0(SALU_CYCLE_1) | instskip(SKIP_1) | instid1(SALU_CYCLE_1)
	s_and_not1_b32 s20, s20, exec_lo
	s_and_b32 s22, s23, exec_lo
	s_or_b32 s20, s20, s22
.LBB130_98:                             ;   in Loop: Header=BB130_91 Depth=2
	s_or_b32 exec_lo, exec_lo, s21
	s_delay_alu instid0(SALU_CYCLE_1)
	s_and_b32 s20, s20, exec_lo
                                        ; implicit-def: $vgpr11
.LBB130_99:                             ;   in Loop: Header=BB130_91 Depth=2
	s_and_not1_saveexec_b32 s19, s19
	s_cbranch_execz .LBB130_90
; %bb.100:                              ;   in Loop: Header=BB130_91 Depth=2
	v_mad_u64_u32 v[12:13], null, v10, 24, v[11:12]
	s_and_not1_b32 s20, s20, exec_lo
	ds_add_f32 v12, v14 offset:520
	ds_add_f32 v12, v15 offset:524
	s_branch .LBB130_90
.LBB130_101:                            ;   in Loop: Header=BB130_77 Depth=1
	s_or_b32 exec_lo, exec_lo, s18
	s_waitcnt vmcnt(0)
	v_mul_f32_e64 v12, v9, -s43
	v_mul_f32_e32 v13, s42, v9
	s_mov_b32 s18, 0
	s_delay_alu instid0(VALU_DEP_2) | instskip(NEXT) | instid1(VALU_DEP_2)
	v_fmac_f32_e32 v12, s42, v8
	v_fmac_f32_e32 v13, s43, v8
	v_dual_mov_b32 v9, v6 :: v_dual_mov_b32 v8, v5
	s_branch .LBB130_103
.LBB130_102:                            ;   in Loop: Header=BB130_103 Depth=2
	s_or_b32 exec_lo, exec_lo, s19
	s_xor_b32 s19, s20, -1
	s_delay_alu instid0(SALU_CYCLE_1) | instskip(NEXT) | instid1(SALU_CYCLE_1)
	s_and_b32 s19, exec_lo, s19
	s_or_b32 s18, s19, s18
	s_delay_alu instid0(SALU_CYCLE_1)
	s_and_not1_b32 exec_lo, exec_lo, s18
	s_cbranch_execz .LBB130_113
.LBB130_103:                            ;   Parent Loop BB130_77 Depth=1
                                        ; =>  This Inner Loop Header: Depth=2
	s_delay_alu instid0(VALU_DEP_1)
	v_lshl_add_u32 v9, v8, 3, 0
	s_mov_b32 s19, exec_lo
                                        ; implicit-def: $sgpr20
	ds_load_b64 v[10:11], v9
	s_waitcnt lgkmcnt(0)
	v_cmpx_ne_u64_e64 v[10:11], v[3:4]
	s_xor_b32 s19, exec_lo, s19
	s_cbranch_execz .LBB130_111
; %bb.104:                              ;   in Loop: Header=BB130_103 Depth=2
	s_mov_b32 s21, exec_lo
                                        ; implicit-def: $sgpr20
	v_cmpx_ne_u64_e64 s[16:17], v[10:11]
	s_xor_b32 s21, exec_lo, s21
; %bb.105:                              ;   in Loop: Header=BB130_103 Depth=2
	v_add_nc_u32_e32 v8, 1, v8
	s_mov_b32 s20, -1
                                        ; implicit-def: $vgpr9
	s_delay_alu instid0(VALU_DEP_1)
	v_and_b32_e32 v8, 63, v8
; %bb.106:                              ;   in Loop: Header=BB130_103 Depth=2
	s_and_not1_saveexec_b32 s21, s21
	s_cbranch_execz .LBB130_110
; %bb.107:                              ;   in Loop: Header=BB130_103 Depth=2
	v_dual_mov_b32 v10, s16 :: v_dual_mov_b32 v11, s17
	s_mov_b32 s23, -1
	s_mov_b32 s22, exec_lo
	ds_cmpstore_rtn_b64 v[10:11], v9, v[3:4], v[10:11]
	s_waitcnt lgkmcnt(0)
	v_cmpx_eq_u64_e64 s[16:17], v[10:11]
	s_cbranch_execz .LBB130_109
; %bb.108:                              ;   in Loop: Header=BB130_103 Depth=2
	v_mad_u64_u32 v[10:11], null, v8, 24, v[9:10]
	s_xor_b32 s23, exec_lo, -1
	ds_add_f32 v10, v12 offset:528
	ds_add_f32 v10, v13 offset:532
.LBB130_109:                            ;   in Loop: Header=BB130_103 Depth=2
	s_or_b32 exec_lo, exec_lo, s22
	s_delay_alu instid0(SALU_CYCLE_1) | instskip(SKIP_1) | instid1(SALU_CYCLE_1)
	s_and_not1_b32 s20, s20, exec_lo
	s_and_b32 s22, s23, exec_lo
	s_or_b32 s20, s20, s22
.LBB130_110:                            ;   in Loop: Header=BB130_103 Depth=2
	s_or_b32 exec_lo, exec_lo, s21
	s_delay_alu instid0(SALU_CYCLE_1)
	s_and_b32 s20, s20, exec_lo
                                        ; implicit-def: $vgpr9
.LBB130_111:                            ;   in Loop: Header=BB130_103 Depth=2
	s_and_not1_saveexec_b32 s19, s19
	s_cbranch_execz .LBB130_102
; %bb.112:                              ;   in Loop: Header=BB130_103 Depth=2
	v_mad_u64_u32 v[10:11], null, v8, 24, v[9:10]
	s_and_not1_b32 s20, s20, exec_lo
	ds_add_f32 v10, v12 offset:528
	ds_add_f32 v10, v13 offset:532
	s_branch .LBB130_102
.LBB130_113:                            ;   in Loop: Header=BB130_77 Depth=1
	s_or_b32 exec_lo, exec_lo, s18
	v_mul_f32_e64 v9, v7, -s43
	v_mul_f32_e32 v10, s42, v7
	s_mov_b32 s18, 0
	s_delay_alu instid0(VALU_DEP_2) | instskip(NEXT) | instid1(VALU_DEP_2)
	v_fmac_f32_e32 v9, s42, v6
	v_fmac_f32_e32 v10, s43, v6
	s_branch .LBB130_115
.LBB130_114:                            ;   in Loop: Header=BB130_115 Depth=2
	s_or_b32 exec_lo, exec_lo, s19
	s_xor_b32 s19, s20, -1
	s_delay_alu instid0(SALU_CYCLE_1) | instskip(NEXT) | instid1(SALU_CYCLE_1)
	s_and_b32 s19, exec_lo, s19
	s_or_b32 s18, s19, s18
	s_delay_alu instid0(SALU_CYCLE_1)
	s_and_not1_b32 exec_lo, exec_lo, s18
	s_cbranch_execz .LBB130_76
.LBB130_115:                            ;   Parent Loop BB130_77 Depth=1
                                        ; =>  This Inner Loop Header: Depth=2
	v_lshl_add_u32 v6, v5, 3, 0
	s_mov_b32 s19, exec_lo
                                        ; implicit-def: $sgpr20
	ds_load_b64 v[7:8], v6
	s_waitcnt lgkmcnt(0)
	v_cmpx_ne_u64_e64 v[7:8], v[3:4]
	s_xor_b32 s19, exec_lo, s19
	s_cbranch_execz .LBB130_123
; %bb.116:                              ;   in Loop: Header=BB130_115 Depth=2
	s_mov_b32 s21, exec_lo
                                        ; implicit-def: $sgpr20
	v_cmpx_ne_u64_e64 s[16:17], v[7:8]
	s_xor_b32 s21, exec_lo, s21
; %bb.117:                              ;   in Loop: Header=BB130_115 Depth=2
	v_add_nc_u32_e32 v5, 1, v5
	s_mov_b32 s20, -1
                                        ; implicit-def: $vgpr6
	s_delay_alu instid0(VALU_DEP_1)
	v_and_b32_e32 v5, 63, v5
; %bb.118:                              ;   in Loop: Header=BB130_115 Depth=2
	s_and_not1_saveexec_b32 s21, s21
	s_cbranch_execz .LBB130_122
; %bb.119:                              ;   in Loop: Header=BB130_115 Depth=2
	v_dual_mov_b32 v7, s16 :: v_dual_mov_b32 v8, s17
	s_mov_b32 s23, -1
	s_mov_b32 s22, exec_lo
	ds_cmpstore_rtn_b64 v[7:8], v6, v[3:4], v[7:8]
	s_waitcnt lgkmcnt(0)
	v_cmpx_eq_u64_e64 s[16:17], v[7:8]
	s_cbranch_execz .LBB130_121
; %bb.120:                              ;   in Loop: Header=BB130_115 Depth=2
	v_mad_u64_u32 v[7:8], null, v5, 24, v[6:7]
	s_xor_b32 s23, exec_lo, -1
	ds_add_f32 v7, v9 offset:536
	ds_add_f32 v7, v10 offset:540
.LBB130_121:                            ;   in Loop: Header=BB130_115 Depth=2
	s_or_b32 exec_lo, exec_lo, s22
	s_delay_alu instid0(SALU_CYCLE_1) | instskip(SKIP_1) | instid1(SALU_CYCLE_1)
	s_and_not1_b32 s20, s20, exec_lo
	s_and_b32 s22, s23, exec_lo
	s_or_b32 s20, s20, s22
.LBB130_122:                            ;   in Loop: Header=BB130_115 Depth=2
	s_or_b32 exec_lo, exec_lo, s21
	s_delay_alu instid0(SALU_CYCLE_1)
	s_and_b32 s20, s20, exec_lo
                                        ; implicit-def: $vgpr6
.LBB130_123:                            ;   in Loop: Header=BB130_115 Depth=2
	s_and_not1_saveexec_b32 s19, s19
	s_cbranch_execz .LBB130_114
; %bb.124:                              ;   in Loop: Header=BB130_115 Depth=2
	v_mad_u64_u32 v[7:8], null, v5, 24, v[6:7]
	s_and_not1_b32 s20, s20, exec_lo
	ds_add_f32 v7, v9 offset:536
	ds_add_f32 v7, v10 offset:540
	s_branch .LBB130_114
.LBB130_125:
	s_or_b32 exec_lo, exec_lo, s12
.LBB130_126:
	s_waitcnt lgkmcnt(0)
	s_barrier
	buffer_gl0_inv
	s_and_saveexec_b32 s0, s2
	s_cbranch_execz .LBB130_129
; %bb.127:
	ds_load_b64 v[1:2], v22
	s_waitcnt lgkmcnt(0)
	v_cmp_gt_i64_e32 vcc_lo, s[16:17], v[1:2]
	s_and_b32 exec_lo, exec_lo, vcc_lo
	s_cbranch_execz .LBB130_129
; %bb.128:
	s_lshl_b64 s[0:1], s[40:41], 3
	v_mov_b32_e32 v3, 0
	s_add_u32 s0, s8, s0
	s_addc_u32 s1, s9, s1
	s_load_b64 s[0:1], s[0:1], 0x0
	ds_load_2addr_b64 v[4:7], v3 offset1:1
	ds_load_2addr_b64 v[8:11], v3 offset0:2 offset1:3
	ds_load_2addr_b64 v[12:15], v3 offset0:4 offset1:5
	;; [unrolled: 1-line block ×7, first 2 shown]
	s_waitcnt lgkmcnt(0)
	v_cmp_gt_i64_e32 vcc_lo, v[1:2], v[4:5]
	v_cndmask_b32_e64 v4, 0, 1, vcc_lo
	v_cmp_gt_i64_e32 vcc_lo, v[1:2], v[6:7]
	s_sub_u32 s0, s0, s30
	s_subb_u32 s1, s1, 0
	s_cmp_eq_u32 s33, 0
	v_add_co_u32 v4, s0, s0, v4
	v_cndmask_b32_e64 v5, 0, 1, vcc_lo
	v_cmp_gt_i64_e32 vcc_lo, v[1:2], v[8:9]
	v_add_co_ci_u32_e64 v6, null, s1, 0, s0
	s_cselect_b32 s0, 1, 2
	s_cselect_b32 s1, 2, 1
	v_cndmask_b32_e64 v7, 0, 1, vcc_lo
	v_add_co_u32 v4, vcc_lo, v4, v5
	v_add_co_ci_u32_e32 v5, vcc_lo, 0, v6, vcc_lo
	v_cmp_gt_i64_e32 vcc_lo, v[1:2], v[10:11]
	v_cndmask_b32_e64 v6, 0, 1, vcc_lo
	s_delay_alu instid0(VALU_DEP_4) | instskip(NEXT) | instid1(VALU_DEP_4)
	v_add_co_u32 v4, vcc_lo, v4, v7
	v_add_co_ci_u32_e32 v5, vcc_lo, 0, v5, vcc_lo
	v_cmp_gt_i64_e32 vcc_lo, v[1:2], v[12:13]
	v_cndmask_b32_e64 v7, 0, 1, vcc_lo
	s_delay_alu instid0(VALU_DEP_4) | instskip(NEXT) | instid1(VALU_DEP_4)
	;; [unrolled: 5-line block ×9, first 2 shown]
	v_add_co_u32 v4, vcc_lo, v4, v7
	v_add_co_ci_u32_e32 v5, vcc_lo, 0, v5, vcc_lo
	s_delay_alu instid0(VALU_DEP_2) | instskip(NEXT) | instid1(VALU_DEP_2)
	v_add_co_u32 v8, vcc_lo, v4, v6
	v_add_co_ci_u32_e32 v9, vcc_lo, 0, v5, vcc_lo
	v_cmp_gt_i64_e32 vcc_lo, v[1:2], v[28:29]
	ds_load_2addr_b64 v[4:7], v3 offset0:16 offset1:17
	v_cndmask_b32_e64 v10, 0, 1, vcc_lo
	v_cmp_gt_i64_e32 vcc_lo, v[1:2], v[30:31]
	v_cndmask_b32_e64 v11, 0, 1, vcc_lo
	s_delay_alu instid0(VALU_DEP_3) | instskip(SKIP_3) | instid1(VALU_DEP_4)
	v_add_co_u32 v8, vcc_lo, v8, v10
	v_add_co_ci_u32_e32 v9, vcc_lo, 0, v9, vcc_lo
	v_cmp_gt_i64_e32 vcc_lo, v[1:2], v[32:33]
	v_cndmask_b32_e64 v10, 0, 1, vcc_lo
	v_add_co_u32 v8, vcc_lo, v8, v11
	s_delay_alu instid0(VALU_DEP_4) | instskip(SKIP_2) | instid1(VALU_DEP_4)
	v_add_co_ci_u32_e32 v9, vcc_lo, 0, v9, vcc_lo
	v_cmp_gt_i64_e32 vcc_lo, v[1:2], v[34:35]
	v_cndmask_b32_e64 v12, 0, 1, vcc_lo
	v_add_co_u32 v13, vcc_lo, v8, v10
	s_delay_alu instid0(VALU_DEP_4)
	v_add_co_ci_u32_e32 v14, vcc_lo, 0, v9, vcc_lo
	ds_load_2addr_b64 v[8:11], v3 offset0:18 offset1:19
	v_add_co_u32 v16, vcc_lo, v13, v12
	v_add_co_ci_u32_e32 v17, vcc_lo, 0, v14, vcc_lo
	s_waitcnt lgkmcnt(1)
	v_cmp_gt_i64_e32 vcc_lo, v[1:2], v[4:5]
	ds_load_2addr_b64 v[12:15], v3 offset0:20 offset1:21
	v_cndmask_b32_e64 v4, 0, 1, vcc_lo
	v_cmp_gt_i64_e32 vcc_lo, v[1:2], v[6:7]
	v_cndmask_b32_e64 v5, 0, 1, vcc_lo
	s_delay_alu instid0(VALU_DEP_3) | instskip(SKIP_1) | instid1(VALU_DEP_2)
	v_add_co_u32 v4, vcc_lo, v16, v4
	v_add_co_ci_u32_e32 v6, vcc_lo, 0, v17, vcc_lo
	v_add_co_u32 v16, vcc_lo, v4, v5
	s_delay_alu instid0(VALU_DEP_2)
	v_add_co_ci_u32_e32 v17, vcc_lo, 0, v6, vcc_lo
	ds_load_2addr_b64 v[4:7], v3 offset0:22 offset1:23
	s_waitcnt lgkmcnt(2)
	v_cmp_gt_i64_e32 vcc_lo, v[1:2], v[8:9]
	v_cndmask_b32_e64 v8, 0, 1, vcc_lo
	v_cmp_gt_i64_e32 vcc_lo, v[1:2], v[10:11]
	v_cndmask_b32_e64 v9, 0, 1, vcc_lo
	s_delay_alu instid0(VALU_DEP_3)
	v_add_co_u32 v8, vcc_lo, v16, v8
	v_add_co_ci_u32_e32 v10, vcc_lo, 0, v17, vcc_lo
	s_waitcnt lgkmcnt(1)
	v_cmp_gt_i64_e32 vcc_lo, v[1:2], v[12:13]
	v_cndmask_b32_e64 v11, 0, 1, vcc_lo
	v_add_co_u32 v8, vcc_lo, v8, v9
	v_add_co_ci_u32_e32 v9, vcc_lo, 0, v10, vcc_lo
	v_cmp_gt_i64_e32 vcc_lo, v[1:2], v[14:15]
	v_cndmask_b32_e64 v12, 0, 1, vcc_lo
	s_delay_alu instid0(VALU_DEP_4) | instskip(NEXT) | instid1(VALU_DEP_4)
	v_add_co_u32 v13, vcc_lo, v8, v11
	v_add_co_ci_u32_e32 v14, vcc_lo, 0, v9, vcc_lo
	ds_load_2addr_b64 v[8:11], v3 offset0:24 offset1:25
	v_add_co_u32 v16, vcc_lo, v13, v12
	v_add_co_ci_u32_e32 v17, vcc_lo, 0, v14, vcc_lo
	ds_load_2addr_b64 v[12:15], v3 offset0:26 offset1:27
	s_waitcnt lgkmcnt(2)
	v_cmp_gt_i64_e32 vcc_lo, v[1:2], v[4:5]
	v_cndmask_b32_e64 v4, 0, 1, vcc_lo
	v_cmp_gt_i64_e32 vcc_lo, v[1:2], v[6:7]
	v_cndmask_b32_e64 v5, 0, 1, vcc_lo
	s_delay_alu instid0(VALU_DEP_3) | instskip(SKIP_1) | instid1(VALU_DEP_2)
	v_add_co_u32 v4, vcc_lo, v16, v4
	v_add_co_ci_u32_e32 v6, vcc_lo, 0, v17, vcc_lo
	v_add_co_u32 v16, vcc_lo, v4, v5
	s_delay_alu instid0(VALU_DEP_2)
	v_add_co_ci_u32_e32 v17, vcc_lo, 0, v6, vcc_lo
	s_waitcnt lgkmcnt(1)
	v_cmp_gt_i64_e32 vcc_lo, v[1:2], v[8:9]
	ds_load_2addr_b64 v[4:7], v3 offset0:28 offset1:29
	v_cndmask_b32_e64 v8, 0, 1, vcc_lo
	v_cmp_gt_i64_e32 vcc_lo, v[1:2], v[10:11]
	v_cndmask_b32_e64 v9, 0, 1, vcc_lo
	s_delay_alu instid0(VALU_DEP_3)
	v_add_co_u32 v8, vcc_lo, v16, v8
	v_add_co_ci_u32_e32 v10, vcc_lo, 0, v17, vcc_lo
	s_waitcnt lgkmcnt(1)
	v_cmp_gt_i64_e32 vcc_lo, v[1:2], v[12:13]
	v_cndmask_b32_e64 v11, 0, 1, vcc_lo
	v_add_co_u32 v8, vcc_lo, v8, v9
	v_add_co_ci_u32_e32 v9, vcc_lo, 0, v10, vcc_lo
	v_cmp_gt_i64_e32 vcc_lo, v[1:2], v[14:15]
	v_cndmask_b32_e64 v12, 0, 1, vcc_lo
	s_delay_alu instid0(VALU_DEP_4) | instskip(NEXT) | instid1(VALU_DEP_4)
	v_add_co_u32 v13, vcc_lo, v8, v11
	v_add_co_ci_u32_e32 v14, vcc_lo, 0, v9, vcc_lo
	ds_load_2addr_b64 v[8:11], v3 offset0:30 offset1:31
	v_add_co_u32 v16, vcc_lo, v13, v12
	v_add_co_ci_u32_e32 v17, vcc_lo, 0, v14, vcc_lo
	s_waitcnt lgkmcnt(1)
	v_cmp_gt_i64_e32 vcc_lo, v[1:2], v[4:5]
	ds_load_2addr_b64 v[12:15], v3 offset0:32 offset1:33
	v_cndmask_b32_e64 v4, 0, 1, vcc_lo
	v_cmp_gt_i64_e32 vcc_lo, v[1:2], v[6:7]
	v_cndmask_b32_e64 v5, 0, 1, vcc_lo
	s_delay_alu instid0(VALU_DEP_3) | instskip(SKIP_1) | instid1(VALU_DEP_2)
	v_add_co_u32 v4, vcc_lo, v16, v4
	v_add_co_ci_u32_e32 v6, vcc_lo, 0, v17, vcc_lo
	v_add_co_u32 v16, vcc_lo, v4, v5
	s_delay_alu instid0(VALU_DEP_2)
	v_add_co_ci_u32_e32 v17, vcc_lo, 0, v6, vcc_lo
	ds_load_2addr_b64 v[4:7], v3 offset0:34 offset1:35
	s_waitcnt lgkmcnt(2)
	v_cmp_gt_i64_e32 vcc_lo, v[1:2], v[8:9]
	v_cndmask_b32_e64 v8, 0, 1, vcc_lo
	v_cmp_gt_i64_e32 vcc_lo, v[1:2], v[10:11]
	v_cndmask_b32_e64 v9, 0, 1, vcc_lo
	s_delay_alu instid0(VALU_DEP_3)
	v_add_co_u32 v8, vcc_lo, v16, v8
	v_add_co_ci_u32_e32 v10, vcc_lo, 0, v17, vcc_lo
	s_waitcnt lgkmcnt(1)
	v_cmp_gt_i64_e32 vcc_lo, v[1:2], v[12:13]
	v_cndmask_b32_e64 v11, 0, 1, vcc_lo
	v_add_co_u32 v8, vcc_lo, v8, v9
	v_add_co_ci_u32_e32 v9, vcc_lo, 0, v10, vcc_lo
	v_cmp_gt_i64_e32 vcc_lo, v[1:2], v[14:15]
	v_cndmask_b32_e64 v12, 0, 1, vcc_lo
	s_delay_alu instid0(VALU_DEP_4) | instskip(NEXT) | instid1(VALU_DEP_4)
	v_add_co_u32 v13, vcc_lo, v8, v11
	v_add_co_ci_u32_e32 v14, vcc_lo, 0, v9, vcc_lo
	ds_load_2addr_b64 v[8:11], v3 offset0:36 offset1:37
	v_add_co_u32 v16, vcc_lo, v13, v12
	v_add_co_ci_u32_e32 v17, vcc_lo, 0, v14, vcc_lo
	ds_load_2addr_b64 v[12:15], v3 offset0:38 offset1:39
	s_waitcnt lgkmcnt(2)
	v_cmp_gt_i64_e32 vcc_lo, v[1:2], v[4:5]
	v_cndmask_b32_e64 v4, 0, 1, vcc_lo
	v_cmp_gt_i64_e32 vcc_lo, v[1:2], v[6:7]
	v_cndmask_b32_e64 v5, 0, 1, vcc_lo
	s_delay_alu instid0(VALU_DEP_3) | instskip(SKIP_1) | instid1(VALU_DEP_2)
	v_add_co_u32 v4, vcc_lo, v16, v4
	v_add_co_ci_u32_e32 v6, vcc_lo, 0, v17, vcc_lo
	v_add_co_u32 v16, vcc_lo, v4, v5
	s_delay_alu instid0(VALU_DEP_2)
	v_add_co_ci_u32_e32 v17, vcc_lo, 0, v6, vcc_lo
	s_waitcnt lgkmcnt(1)
	v_cmp_gt_i64_e32 vcc_lo, v[1:2], v[8:9]
	ds_load_2addr_b64 v[4:7], v3 offset0:40 offset1:41
	v_cndmask_b32_e64 v8, 0, 1, vcc_lo
	v_cmp_gt_i64_e32 vcc_lo, v[1:2], v[10:11]
	v_cndmask_b32_e64 v9, 0, 1, vcc_lo
	s_delay_alu instid0(VALU_DEP_3)
	v_add_co_u32 v8, vcc_lo, v16, v8
	v_add_co_ci_u32_e32 v10, vcc_lo, 0, v17, vcc_lo
	s_waitcnt lgkmcnt(1)
	v_cmp_gt_i64_e32 vcc_lo, v[1:2], v[12:13]
	v_cndmask_b32_e64 v11, 0, 1, vcc_lo
	v_add_co_u32 v8, vcc_lo, v8, v9
	v_add_co_ci_u32_e32 v9, vcc_lo, 0, v10, vcc_lo
	v_cmp_gt_i64_e32 vcc_lo, v[1:2], v[14:15]
	v_cndmask_b32_e64 v12, 0, 1, vcc_lo
	s_delay_alu instid0(VALU_DEP_4) | instskip(NEXT) | instid1(VALU_DEP_4)
	v_add_co_u32 v13, vcc_lo, v8, v11
	v_add_co_ci_u32_e32 v14, vcc_lo, 0, v9, vcc_lo
	ds_load_2addr_b64 v[8:11], v3 offset0:42 offset1:43
	v_add_co_u32 v16, vcc_lo, v13, v12
	v_add_co_ci_u32_e32 v17, vcc_lo, 0, v14, vcc_lo
	s_waitcnt lgkmcnt(1)
	v_cmp_gt_i64_e32 vcc_lo, v[1:2], v[4:5]
	ds_load_2addr_b64 v[12:15], v3 offset0:44 offset1:45
	v_cndmask_b32_e64 v4, 0, 1, vcc_lo
	v_cmp_gt_i64_e32 vcc_lo, v[1:2], v[6:7]
	v_cndmask_b32_e64 v5, 0, 1, vcc_lo
	s_delay_alu instid0(VALU_DEP_3) | instskip(SKIP_1) | instid1(VALU_DEP_2)
	v_add_co_u32 v4, vcc_lo, v16, v4
	v_add_co_ci_u32_e32 v6, vcc_lo, 0, v17, vcc_lo
	v_add_co_u32 v16, vcc_lo, v4, v5
	s_delay_alu instid0(VALU_DEP_2)
	v_add_co_ci_u32_e32 v17, vcc_lo, 0, v6, vcc_lo
	ds_load_2addr_b64 v[4:7], v3 offset0:46 offset1:47
	s_waitcnt lgkmcnt(2)
	v_cmp_gt_i64_e32 vcc_lo, v[1:2], v[8:9]
	v_cndmask_b32_e64 v8, 0, 1, vcc_lo
	v_cmp_gt_i64_e32 vcc_lo, v[1:2], v[10:11]
	v_cndmask_b32_e64 v9, 0, 1, vcc_lo
	s_delay_alu instid0(VALU_DEP_3)
	v_add_co_u32 v8, vcc_lo, v16, v8
	v_add_co_ci_u32_e32 v10, vcc_lo, 0, v17, vcc_lo
	s_waitcnt lgkmcnt(1)
	v_cmp_gt_i64_e32 vcc_lo, v[1:2], v[12:13]
	v_cndmask_b32_e64 v11, 0, 1, vcc_lo
	v_add_co_u32 v8, vcc_lo, v8, v9
	v_add_co_ci_u32_e32 v9, vcc_lo, 0, v10, vcc_lo
	v_cmp_gt_i64_e32 vcc_lo, v[1:2], v[14:15]
	v_cndmask_b32_e64 v12, 0, 1, vcc_lo
	s_delay_alu instid0(VALU_DEP_4) | instskip(NEXT) | instid1(VALU_DEP_4)
	v_add_co_u32 v13, vcc_lo, v8, v11
	v_add_co_ci_u32_e32 v14, vcc_lo, 0, v9, vcc_lo
	ds_load_2addr_b64 v[8:11], v3 offset0:48 offset1:49
	v_add_co_u32 v16, vcc_lo, v13, v12
	v_add_co_ci_u32_e32 v17, vcc_lo, 0, v14, vcc_lo
	ds_load_2addr_b64 v[12:15], v3 offset0:50 offset1:51
	s_waitcnt lgkmcnt(2)
	v_cmp_gt_i64_e32 vcc_lo, v[1:2], v[4:5]
	v_cndmask_b32_e64 v4, 0, 1, vcc_lo
	v_cmp_gt_i64_e32 vcc_lo, v[1:2], v[6:7]
	v_cndmask_b32_e64 v5, 0, 1, vcc_lo
	s_delay_alu instid0(VALU_DEP_3) | instskip(SKIP_1) | instid1(VALU_DEP_2)
	v_add_co_u32 v4, vcc_lo, v16, v4
	v_add_co_ci_u32_e32 v6, vcc_lo, 0, v17, vcc_lo
	v_add_co_u32 v16, vcc_lo, v4, v5
	s_delay_alu instid0(VALU_DEP_2)
	v_add_co_ci_u32_e32 v17, vcc_lo, 0, v6, vcc_lo
	s_waitcnt lgkmcnt(1)
	v_cmp_gt_i64_e32 vcc_lo, v[1:2], v[8:9]
	ds_load_2addr_b64 v[4:7], v3 offset0:52 offset1:53
	v_cndmask_b32_e64 v8, 0, 1, vcc_lo
	v_cmp_gt_i64_e32 vcc_lo, v[1:2], v[10:11]
	v_cndmask_b32_e64 v9, 0, 1, vcc_lo
	s_delay_alu instid0(VALU_DEP_3)
	v_add_co_u32 v8, vcc_lo, v16, v8
	v_add_co_ci_u32_e32 v10, vcc_lo, 0, v17, vcc_lo
	s_waitcnt lgkmcnt(1)
	v_cmp_gt_i64_e32 vcc_lo, v[1:2], v[12:13]
	v_cndmask_b32_e64 v11, 0, 1, vcc_lo
	v_add_co_u32 v8, vcc_lo, v8, v9
	v_add_co_ci_u32_e32 v9, vcc_lo, 0, v10, vcc_lo
	v_cmp_gt_i64_e32 vcc_lo, v[1:2], v[14:15]
	v_cndmask_b32_e64 v12, 0, 1, vcc_lo
	s_delay_alu instid0(VALU_DEP_4) | instskip(NEXT) | instid1(VALU_DEP_4)
	v_add_co_u32 v13, vcc_lo, v8, v11
	v_add_co_ci_u32_e32 v14, vcc_lo, 0, v9, vcc_lo
	ds_load_2addr_b64 v[8:11], v3 offset0:54 offset1:55
	v_add_co_u32 v16, vcc_lo, v13, v12
	v_add_co_ci_u32_e32 v17, vcc_lo, 0, v14, vcc_lo
	s_waitcnt lgkmcnt(1)
	v_cmp_gt_i64_e32 vcc_lo, v[1:2], v[4:5]
	ds_load_2addr_b64 v[12:15], v3 offset0:56 offset1:57
	v_cndmask_b32_e64 v4, 0, 1, vcc_lo
	v_cmp_gt_i64_e32 vcc_lo, v[1:2], v[6:7]
	v_cndmask_b32_e64 v5, 0, 1, vcc_lo
	s_delay_alu instid0(VALU_DEP_3) | instskip(SKIP_1) | instid1(VALU_DEP_2)
	v_add_co_u32 v4, vcc_lo, v16, v4
	v_add_co_ci_u32_e32 v6, vcc_lo, 0, v17, vcc_lo
	v_add_co_u32 v16, vcc_lo, v4, v5
	s_delay_alu instid0(VALU_DEP_2)
	v_add_co_ci_u32_e32 v17, vcc_lo, 0, v6, vcc_lo
	ds_load_2addr_b64 v[4:7], v3 offset0:58 offset1:59
	s_waitcnt lgkmcnt(2)
	v_cmp_gt_i64_e32 vcc_lo, v[1:2], v[8:9]
	v_cndmask_b32_e64 v8, 0, 1, vcc_lo
	v_cmp_gt_i64_e32 vcc_lo, v[1:2], v[10:11]
	v_cndmask_b32_e64 v9, 0, 1, vcc_lo
	s_delay_alu instid0(VALU_DEP_3)
	v_add_co_u32 v8, vcc_lo, v16, v8
	v_add_co_ci_u32_e32 v10, vcc_lo, 0, v17, vcc_lo
	s_waitcnt lgkmcnt(1)
	v_cmp_gt_i64_e32 vcc_lo, v[1:2], v[12:13]
	v_cndmask_b32_e64 v12, 0, 1, vcc_lo
	v_add_co_u32 v13, vcc_lo, v8, v9
	v_add_co_ci_u32_e32 v16, vcc_lo, 0, v10, vcc_lo
	ds_load_2addr_b64 v[8:11], v3 offset0:60 offset1:61
	v_add_co_u32 v17, vcc_lo, v13, v12
	v_add_co_ci_u32_e32 v16, vcc_lo, 0, v16, vcc_lo
	v_cmp_gt_i64_e32 vcc_lo, v[1:2], v[14:15]
	ds_load_2addr_b64 v[12:15], v3 offset0:62 offset1:63
	v_cndmask_b32_e64 v18, 0, 1, vcc_lo
	s_waitcnt lgkmcnt(2)
	v_cmp_gt_i64_e32 vcc_lo, v[1:2], v[4:5]
	v_cndmask_b32_e64 v4, 0, 1, vcc_lo
	s_delay_alu instid0(VALU_DEP_3) | instskip(SKIP_3) | instid1(VALU_DEP_4)
	v_add_co_u32 v3, vcc_lo, v17, v18
	v_add_co_ci_u32_e32 v5, vcc_lo, 0, v16, vcc_lo
	v_cmp_gt_i64_e32 vcc_lo, v[1:2], v[6:7]
	v_cndmask_b32_e64 v6, 0, 1, vcc_lo
	v_add_co_u32 v3, vcc_lo, v3, v4
	s_delay_alu instid0(VALU_DEP_4)
	v_add_co_ci_u32_e32 v4, vcc_lo, 0, v5, vcc_lo
	s_waitcnt lgkmcnt(1)
	v_cmp_gt_i64_e32 vcc_lo, v[1:2], v[8:9]
	v_cndmask_b32_e64 v5, 0, 1, vcc_lo
	v_add_co_u32 v3, vcc_lo, v3, v6
	v_add_co_ci_u32_e32 v4, vcc_lo, 0, v4, vcc_lo
	v_cmp_gt_i64_e32 vcc_lo, v[1:2], v[10:11]
	v_cndmask_b32_e64 v6, 0, 1, vcc_lo
	s_delay_alu instid0(VALU_DEP_4) | instskip(NEXT) | instid1(VALU_DEP_4)
	v_add_co_u32 v3, vcc_lo, v3, v5
	v_add_co_ci_u32_e32 v4, vcc_lo, 0, v4, vcc_lo
	s_waitcnt lgkmcnt(0)
	v_cmp_gt_i64_e32 vcc_lo, v[1:2], v[12:13]
	v_cndmask_b32_e64 v5, 0, 1, vcc_lo
	v_add_co_u32 v3, vcc_lo, v3, v6
	v_add_co_ci_u32_e32 v4, vcc_lo, 0, v4, vcc_lo
	v_lshlrev_b32_e32 v6, 2, v0
	s_delay_alu instid0(VALU_DEP_3) | instskip(NEXT) | instid1(VALU_DEP_3)
	v_add_co_u32 v3, vcc_lo, v3, v5
	v_add_co_ci_u32_e32 v4, vcc_lo, 0, v4, vcc_lo
	v_cmp_gt_i64_e32 vcc_lo, v[1:2], v[14:15]
	v_lshlrev_b32_e32 v0, 5, v0
	v_or_b32_e32 v5, s0, v6
	v_or_b32_e32 v6, s1, v6
	v_cndmask_b32_e64 v7, 0, 1, vcc_lo
	s_delay_alu instid0(VALU_DEP_4) | instskip(NEXT) | instid1(VALU_DEP_3)
	v_add_nc_u32_e32 v8, 0, v0
	v_lshl_add_u32 v6, v6, 3, 0
	v_lshl_add_u32 v5, v5, 3, 0
	v_add3_u32 v0, 0, 0x200, v0
	v_add_co_u32 v11, vcc_lo, v3, v7
	v_add_co_ci_u32_e32 v12, vcc_lo, 0, v4, vcc_lo
	ds_load_2addr_b32 v[3:4], v8 offset0:128 offset1:129
	ds_load_2addr_b32 v[7:8], v6 offset0:128 offset1:129
	;; [unrolled: 1-line block ×4, first 2 shown]
	v_add_co_u32 v0, vcc_lo, v1, s30
	v_lshlrev_b64 v[13:14], 3, v[11:12]
	v_lshlrev_b64 v[11:12], 5, v[11:12]
	v_add_co_ci_u32_e32 v1, vcc_lo, 0, v2, vcc_lo
	s_delay_alu instid0(VALU_DEP_3) | instskip(NEXT) | instid1(VALU_DEP_4)
	v_add_co_u32 v13, vcc_lo, s10, v13
	v_add_co_ci_u32_e32 v14, vcc_lo, s11, v14, vcc_lo
	s_delay_alu instid0(VALU_DEP_4)
	v_add_co_u32 v11, vcc_lo, s34, v11
	v_add_co_ci_u32_e32 v12, vcc_lo, s35, v12, vcc_lo
	global_store_b64 v[13:14], v[0:1], off
	s_waitcnt lgkmcnt(1)
	global_store_b128 v[11:12], v[3:6], off
	s_waitcnt lgkmcnt(0)
	global_store_b128 v[11:12], v[7:10], off offset:16
.LBB130_129:
	s_nop 0
	s_sendmsg sendmsg(MSG_DEALLOC_VGPRS)
	s_endpgm
	.section	.rodata,"a",@progbits
	.p2align	6, 0x0
	.amdhsa_kernel _ZN9rocsparseL30bsrgemm_fill_block_per_row_2x2ILj256ELj16ELj64ELj137Ell21rocsparse_complex_numIfEEEv20rocsparse_direction_T4_S4_PKS4_S6_NS_24const_host_device_scalarIT5_EEPKT3_S6_PKS8_SC_S6_SE_S9_SC_S6_SE_SC_PS4_PS8_21rocsparse_index_base_SH_SH_SH_bbb
		.amdhsa_group_segment_fixed_size 0
		.amdhsa_private_segment_fixed_size 0
		.amdhsa_kernarg_size 172
		.amdhsa_user_sgpr_count 15
		.amdhsa_user_sgpr_dispatch_ptr 0
		.amdhsa_user_sgpr_queue_ptr 0
		.amdhsa_user_sgpr_kernarg_segment_ptr 1
		.amdhsa_user_sgpr_dispatch_id 0
		.amdhsa_user_sgpr_private_segment_size 0
		.amdhsa_wavefront_size32 1
		.amdhsa_uses_dynamic_stack 0
		.amdhsa_enable_private_segment 0
		.amdhsa_system_sgpr_workgroup_id_x 1
		.amdhsa_system_sgpr_workgroup_id_y 0
		.amdhsa_system_sgpr_workgroup_id_z 0
		.amdhsa_system_sgpr_workgroup_info 0
		.amdhsa_system_vgpr_workitem_id 0
		.amdhsa_next_free_vgpr 36
		.amdhsa_next_free_sgpr 52
		.amdhsa_reserve_vcc 1
		.amdhsa_float_round_mode_32 0
		.amdhsa_float_round_mode_16_64 0
		.amdhsa_float_denorm_mode_32 3
		.amdhsa_float_denorm_mode_16_64 3
		.amdhsa_dx10_clamp 1
		.amdhsa_ieee_mode 1
		.amdhsa_fp16_overflow 0
		.amdhsa_workgroup_processor_mode 1
		.amdhsa_memory_ordered 1
		.amdhsa_forward_progress 0
		.amdhsa_shared_vgpr_count 0
		.amdhsa_exception_fp_ieee_invalid_op 0
		.amdhsa_exception_fp_denorm_src 0
		.amdhsa_exception_fp_ieee_div_zero 0
		.amdhsa_exception_fp_ieee_overflow 0
		.amdhsa_exception_fp_ieee_underflow 0
		.amdhsa_exception_fp_ieee_inexact 0
		.amdhsa_exception_int_div_zero 0
	.end_amdhsa_kernel
	.section	.text._ZN9rocsparseL30bsrgemm_fill_block_per_row_2x2ILj256ELj16ELj64ELj137Ell21rocsparse_complex_numIfEEEv20rocsparse_direction_T4_S4_PKS4_S6_NS_24const_host_device_scalarIT5_EEPKT3_S6_PKS8_SC_S6_SE_S9_SC_S6_SE_SC_PS4_PS8_21rocsparse_index_base_SH_SH_SH_bbb,"axG",@progbits,_ZN9rocsparseL30bsrgemm_fill_block_per_row_2x2ILj256ELj16ELj64ELj137Ell21rocsparse_complex_numIfEEEv20rocsparse_direction_T4_S4_PKS4_S6_NS_24const_host_device_scalarIT5_EEPKT3_S6_PKS8_SC_S6_SE_S9_SC_S6_SE_SC_PS4_PS8_21rocsparse_index_base_SH_SH_SH_bbb,comdat
.Lfunc_end130:
	.size	_ZN9rocsparseL30bsrgemm_fill_block_per_row_2x2ILj256ELj16ELj64ELj137Ell21rocsparse_complex_numIfEEEv20rocsparse_direction_T4_S4_PKS4_S6_NS_24const_host_device_scalarIT5_EEPKT3_S6_PKS8_SC_S6_SE_S9_SC_S6_SE_SC_PS4_PS8_21rocsparse_index_base_SH_SH_SH_bbb, .Lfunc_end130-_ZN9rocsparseL30bsrgemm_fill_block_per_row_2x2ILj256ELj16ELj64ELj137Ell21rocsparse_complex_numIfEEEv20rocsparse_direction_T4_S4_PKS4_S6_NS_24const_host_device_scalarIT5_EEPKT3_S6_PKS8_SC_S6_SE_S9_SC_S6_SE_SC_PS4_PS8_21rocsparse_index_base_SH_SH_SH_bbb
                                        ; -- End function
	.section	.AMDGPU.csdata,"",@progbits
; Kernel info:
; codeLenInByte = 6444
; NumSgprs: 54
; NumVgprs: 36
; ScratchSize: 0
; MemoryBound: 0
; FloatMode: 240
; IeeeMode: 1
; LDSByteSize: 0 bytes/workgroup (compile time only)
; SGPRBlocks: 6
; VGPRBlocks: 4
; NumSGPRsForWavesPerEU: 54
; NumVGPRsForWavesPerEU: 36
; Occupancy: 16
; WaveLimiterHint : 1
; COMPUTE_PGM_RSRC2:SCRATCH_EN: 0
; COMPUTE_PGM_RSRC2:USER_SGPR: 15
; COMPUTE_PGM_RSRC2:TRAP_HANDLER: 0
; COMPUTE_PGM_RSRC2:TGID_X_EN: 1
; COMPUTE_PGM_RSRC2:TGID_Y_EN: 0
; COMPUTE_PGM_RSRC2:TGID_Z_EN: 0
; COMPUTE_PGM_RSRC2:TIDIG_COMP_CNT: 0
	.section	.text._ZN9rocsparseL30bsrgemm_fill_block_per_row_2x2ILj256ELj16ELj128ELj137Ell21rocsparse_complex_numIfEEEv20rocsparse_direction_T4_S4_PKS4_S6_NS_24const_host_device_scalarIT5_EEPKT3_S6_PKS8_SC_S6_SE_S9_SC_S6_SE_SC_PS4_PS8_21rocsparse_index_base_SH_SH_SH_bbb,"axG",@progbits,_ZN9rocsparseL30bsrgemm_fill_block_per_row_2x2ILj256ELj16ELj128ELj137Ell21rocsparse_complex_numIfEEEv20rocsparse_direction_T4_S4_PKS4_S6_NS_24const_host_device_scalarIT5_EEPKT3_S6_PKS8_SC_S6_SE_S9_SC_S6_SE_SC_PS4_PS8_21rocsparse_index_base_SH_SH_SH_bbb,comdat
	.globl	_ZN9rocsparseL30bsrgemm_fill_block_per_row_2x2ILj256ELj16ELj128ELj137Ell21rocsparse_complex_numIfEEEv20rocsparse_direction_T4_S4_PKS4_S6_NS_24const_host_device_scalarIT5_EEPKT3_S6_PKS8_SC_S6_SE_S9_SC_S6_SE_SC_PS4_PS8_21rocsparse_index_base_SH_SH_SH_bbb ; -- Begin function _ZN9rocsparseL30bsrgemm_fill_block_per_row_2x2ILj256ELj16ELj128ELj137Ell21rocsparse_complex_numIfEEEv20rocsparse_direction_T4_S4_PKS4_S6_NS_24const_host_device_scalarIT5_EEPKT3_S6_PKS8_SC_S6_SE_S9_SC_S6_SE_SC_PS4_PS8_21rocsparse_index_base_SH_SH_SH_bbb
	.p2align	8
	.type	_ZN9rocsparseL30bsrgemm_fill_block_per_row_2x2ILj256ELj16ELj128ELj137Ell21rocsparse_complex_numIfEEEv20rocsparse_direction_T4_S4_PKS4_S6_NS_24const_host_device_scalarIT5_EEPKT3_S6_PKS8_SC_S6_SE_S9_SC_S6_SE_SC_PS4_PS8_21rocsparse_index_base_SH_SH_SH_bbb,@function
_ZN9rocsparseL30bsrgemm_fill_block_per_row_2x2ILj256ELj16ELj128ELj137Ell21rocsparse_complex_numIfEEEv20rocsparse_direction_T4_S4_PKS4_S6_NS_24const_host_device_scalarIT5_EEPKT3_S6_PKS8_SC_S6_SE_S9_SC_S6_SE_SC_PS4_PS8_21rocsparse_index_base_SH_SH_SH_bbb: ; @_ZN9rocsparseL30bsrgemm_fill_block_per_row_2x2ILj256ELj16ELj128ELj137Ell21rocsparse_complex_numIfEEEv20rocsparse_direction_T4_S4_PKS4_S6_NS_24const_host_device_scalarIT5_EEPKT3_S6_PKS8_SC_S6_SE_S9_SC_S6_SE_SC_PS4_PS8_21rocsparse_index_base_SH_SH_SH_bbb
; %bb.0:
	s_mov_b32 s40, s15
	s_clause 0x6
	s_load_b32 s33, s[0:1], 0xa8
	s_load_b256 s[4:11], s[0:1], 0x70
	s_load_b256 s[12:19], s[0:1], 0x50
	s_load_b128 s[36:39], s[0:1], 0x18
	s_load_b256 s[20:27], s[0:1], 0x30
	s_load_b64 s[34:35], s[0:1], 0x90
	s_load_b128 s[28:31], s[0:1], 0x98
	s_mov_b32 s3, 0
	s_mov_b32 s44, 0
	s_waitcnt lgkmcnt(0)
	s_bitcmp1_b32 s33, 0
	s_cselect_b32 s46, -1, 0
	s_bitcmp1_b32 s33, 16
	s_cselect_b32 s2, -1, 0
	s_delay_alu instid0(SALU_CYCLE_1) | instskip(SKIP_2) | instid1(VALU_DEP_1)
	s_xor_b32 s41, s2, -1
	s_bitcmp0_b32 s33, 0
	v_cndmask_b32_e64 v1, 0, 1, s41
	v_cmp_ne_u32_e32 vcc_lo, 1, v1
	s_cbranch_scc1 .LBB131_5
; %bb.1:
	s_load_b64 s[2:3], s[0:1], 0x28
	s_and_b32 vcc_lo, exec_lo, vcc_lo
	s_waitcnt lgkmcnt(0)
	s_mov_b32 s44, s2
	s_cbranch_vccnz .LBB131_3
; %bb.2:
	s_load_b32 s44, s[2:3], 0x0
.LBB131_3:
	s_and_not1_b32 vcc_lo, exec_lo, s41
	s_cbranch_vccnz .LBB131_5
; %bb.4:
	s_load_b32 s3, s[2:3], 0x4
.LBB131_5:
	s_bitcmp1_b32 s33, 8
	s_mov_b32 s43, 0
	s_cselect_b32 s45, -1, 0
	s_bfe_u32 s2, s33, 0x10008
	s_mov_b32 s42, 0
	s_cmp_eq_u32 s2, 0
	s_cbranch_scc1 .LBB131_11
; %bb.6:
	v_cmp_ne_u32_e32 vcc_lo, 1, v1
	s_mov_b32 s42, s16
	s_cbranch_vccnz .LBB131_8
; %bb.7:
	s_load_b32 s42, s[16:17], 0x0
.LBB131_8:
	v_cmp_ne_u32_e32 vcc_lo, 1, v1
	s_cbranch_vccnz .LBB131_10
; %bb.9:
	s_load_b32 s17, s[16:17], 0x4
.LBB131_10:
	s_waitcnt lgkmcnt(0)
	s_mov_b32 s43, s17
.LBB131_11:
	s_load_b64 s[16:17], s[0:1], 0x10
	v_cmp_gt_u32_e64 s2, 0x80, v0
	v_lshl_add_u32 v22, v0, 3, 0
	s_delay_alu instid0(VALU_DEP_2)
	s_and_saveexec_b32 s33, s2
	s_cbranch_execz .LBB131_13
; %bb.12:
	s_waitcnt lgkmcnt(0)
	v_dual_mov_b32 v1, s16 :: v_dual_mov_b32 v2, s17
	ds_store_b64 v22, v[1:2]
.LBB131_13:
	s_or_b32 exec_lo, exec_lo, s33
	s_delay_alu instid0(SALU_CYCLE_1)
	s_mov_b32 s33, exec_lo
	v_cmpx_gt_u32_e32 0x200, v0
	s_cbranch_execz .LBB131_16
; %bb.14:
	v_dual_mov_b32 v3, 0 :: v_dual_lshlrev_b32 v2, 3, v0
	v_or_b32_e32 v1, 0xffffff00, v0
	s_mov_b32 s41, 0
	s_delay_alu instid0(VALU_DEP_2)
	v_add3_u32 v2, v2, 0, 0x400
.LBB131_15:                             ; =>This Inner Loop Header: Depth=1
	s_delay_alu instid0(VALU_DEP_2) | instskip(NEXT) | instid1(VALU_DEP_1)
	v_add_co_u32 v1, s47, 0x100, v1
	s_xor_b32 s47, s47, -1
	ds_store_2addr_b32 v2, v3, v3 offset1:1
	v_add_nc_u32_e32 v2, 0x800, v2
	s_and_b32 s47, exec_lo, s47
	s_delay_alu instid0(SALU_CYCLE_1) | instskip(NEXT) | instid1(SALU_CYCLE_1)
	s_or_b32 s41, s47, s41
	s_and_not1_b32 exec_lo, exec_lo, s41
	s_cbranch_execnz .LBB131_15
.LBB131_16:
	s_or_b32 exec_lo, exec_lo, s33
	s_cmp_lg_u64 s[38:39], 0
	s_mov_b32 s41, 0
	s_waitcnt lgkmcnt(0)
	s_barrier
	buffer_gl0_inv
	s_cbranch_scc0 .LBB131_18
; %bb.17:
	s_load_b64 s[36:37], s[36:37], 0x0
	s_waitcnt lgkmcnt(0)
	s_lshl_b64 s[36:37], s[36:37], 3
	s_delay_alu instid0(SALU_CYCLE_1) | instskip(SKIP_2) | instid1(SALU_CYCLE_1)
	s_add_u32 s33, s38, s36
	s_addc_u32 s38, s39, s37
	s_lshl_b64 s[36:37], s[40:41], 3
	s_add_u32 s36, s33, s36
	s_addc_u32 s37, s38, s37
	s_load_b64 s[40:41], s[36:37], 0x0
.LBB131_18:
	s_load_b32 s33, s[0:1], 0x0
	s_and_not1_b32 vcc_lo, exec_lo, s46
	s_cbranch_vccnz .LBB131_74
; %bb.19:
	s_waitcnt lgkmcnt(0)
	s_lshl_b64 s[0:1], s[40:41], 3
	v_lshrrev_b32_e32 v1, 4, v0
	s_add_u32 s0, s20, s0
	s_addc_u32 s1, s21, s1
	s_mov_b32 s21, 0
	s_load_b128 s[36:39], s[0:1], 0x0
	v_sub_co_u32 v1, s0, v1, s28
	s_delay_alu instid0(VALU_DEP_1) | instskip(SKIP_2) | instid1(VALU_DEP_2)
	v_sub_co_ci_u32_e64 v2, null, 0, 0, s0
	s_mov_b32 s20, exec_lo
	s_waitcnt lgkmcnt(0)
	v_add_co_u32 v1, vcc_lo, s36, v1
	s_delay_alu instid0(VALU_DEP_2)
	v_add_co_ci_u32_e32 v2, vcc_lo, s37, v2, vcc_lo
	s_sub_u32 s0, s38, s28
	s_subb_u32 s1, s39, 0
	s_delay_alu instid0(VALU_DEP_1) | instid1(SALU_CYCLE_1)
	v_cmpx_gt_i64_e64 s[0:1], v[1:2]
	s_cbranch_execz .LBB131_73
; %bb.20:
	v_and_b32_e32 v3, 15, v0
	s_cmp_eq_u32 s33, 0
	s_cselect_b32 s37, 1, 2
	s_delay_alu instid0(VALU_DEP_1) | instskip(NEXT) | instid1(VALU_DEP_1)
	v_sub_co_u32 v23, s36, v3, s29
	v_sub_co_ci_u32_e64 v24, null, 0, 0, s36
	s_cselect_b32 s36, 2, 1
	s_branch .LBB131_22
.LBB131_21:                             ;   in Loop: Header=BB131_22 Depth=1
	s_or_b32 exec_lo, exec_lo, s38
	v_add_co_u32 v1, vcc_lo, v1, 16
	v_add_co_ci_u32_e32 v2, vcc_lo, 0, v2, vcc_lo
	s_delay_alu instid0(VALU_DEP_1) | instskip(SKIP_1) | instid1(SALU_CYCLE_1)
	v_cmp_le_i64_e32 vcc_lo, s[0:1], v[1:2]
	s_or_b32 s21, vcc_lo, s21
	s_and_not1_b32 exec_lo, exec_lo, s21
	s_cbranch_execz .LBB131_73
.LBB131_22:                             ; =>This Loop Header: Depth=1
                                        ;     Child Loop BB131_25 Depth 2
                                        ;       Child Loop BB131_27 Depth 3
                                        ;       Child Loop BB131_39 Depth 3
	;; [unrolled: 1-line block ×4, first 2 shown]
	v_lshlrev_b64 v[3:4], 3, v[1:2]
	s_mov_b32 s38, exec_lo
	s_delay_alu instid0(VALU_DEP_1) | instskip(NEXT) | instid1(VALU_DEP_2)
	v_add_co_u32 v3, vcc_lo, s22, v3
	v_add_co_ci_u32_e32 v4, vcc_lo, s23, v4, vcc_lo
	global_load_b64 v[3:4], v[3:4], off
	s_waitcnt vmcnt(0)
	v_sub_co_u32 v3, vcc_lo, v3, s28
	v_subrev_co_ci_u32_e32 v4, vcc_lo, 0, v4, vcc_lo
	s_delay_alu instid0(VALU_DEP_1) | instskip(NEXT) | instid1(VALU_DEP_1)
	v_lshlrev_b64 v[3:4], 3, v[3:4]
	v_add_co_u32 v3, vcc_lo, s26, v3
	s_delay_alu instid0(VALU_DEP_2)
	v_add_co_ci_u32_e32 v4, vcc_lo, s27, v4, vcc_lo
	global_load_b128 v[5:8], v[3:4], off
	s_waitcnt vmcnt(0)
	v_sub_co_u32 v3, vcc_lo, v7, s29
	v_subrev_co_ci_u32_e32 v4, vcc_lo, 0, v8, vcc_lo
	v_add_co_u32 v5, vcc_lo, v5, v23
	v_add_co_ci_u32_e32 v6, vcc_lo, v6, v24, vcc_lo
	s_delay_alu instid0(VALU_DEP_1)
	v_cmpx_lt_i64_e64 v[5:6], v[3:4]
	s_cbranch_execz .LBB131_21
; %bb.23:                               ;   in Loop: Header=BB131_22 Depth=1
	v_lshlrev_b64 v[7:8], 2, v[1:2]
	v_lshlrev_b64 v[9:10], 5, v[1:2]
	s_mov_b32 s39, 0
	s_delay_alu instid0(VALU_DEP_2) | instskip(NEXT) | instid1(VALU_DEP_3)
	v_or_b32_e32 v12, 0, v8
	v_or_b32_e32 v11, s36, v7
	;; [unrolled: 1-line block ×4, first 2 shown]
	v_add_co_u32 v9, vcc_lo, s24, v9
	s_delay_alu instid0(VALU_DEP_4) | instskip(SKIP_1) | instid1(VALU_DEP_4)
	v_lshlrev_b64 v[11:12], 3, v[11:12]
	v_add_co_ci_u32_e32 v10, vcc_lo, s25, v10, vcc_lo
	v_lshlrev_b64 v[7:8], 3, v[7:8]
	global_load_b64 v[13:14], v[9:10], off
	v_add_co_u32 v11, vcc_lo, s24, v11
	v_add_co_ci_u32_e32 v12, vcc_lo, s25, v12, vcc_lo
	v_add_co_u32 v7, vcc_lo, s24, v7
	v_add_co_ci_u32_e32 v8, vcc_lo, s25, v8, vcc_lo
	s_clause 0x2
	global_load_b64 v[11:12], v[11:12], off
	global_load_b64 v[7:8], v[7:8], off
	global_load_b64 v[9:10], v[9:10], off offset:24
	s_waitcnt vmcnt(3)
	v_mul_f32_e64 v25, v14, -s3
	s_delay_alu instid0(VALU_DEP_1) | instskip(NEXT) | instid1(VALU_DEP_1)
	v_dual_mul_f32 v26, s44, v14 :: v_dual_fmac_f32 v25, s44, v13
	v_fmac_f32_e32 v26, s3, v13
	s_waitcnt vmcnt(2)
	v_mul_f32_e64 v27, v12, -s3
	s_waitcnt vmcnt(0)
	v_dual_mul_f32 v28, s44, v12 :: v_dual_mul_f32 v29, s44, v10
	v_mul_f32_e64 v30, v10, -s3
	v_mul_f32_e64 v32, v8, -s3
	v_fmac_f32_e32 v27, s44, v11
	s_delay_alu instid0(VALU_DEP_4) | instskip(NEXT) | instid1(VALU_DEP_3)
	v_dual_mul_f32 v31, s44, v8 :: v_dual_fmac_f32 v28, s3, v11
	v_dual_fmac_f32 v29, s3, v9 :: v_dual_fmac_f32 v32, s44, v7
	s_delay_alu instid0(VALU_DEP_2)
	v_dual_fmac_f32 v30, s44, v9 :: v_dual_fmac_f32 v31, s3, v7
	s_branch .LBB131_25
.LBB131_24:                             ;   in Loop: Header=BB131_25 Depth=2
	s_or_b32 exec_lo, exec_lo, s46
	v_add_co_u32 v5, vcc_lo, v5, 16
	v_add_co_ci_u32_e32 v6, vcc_lo, 0, v6, vcc_lo
	s_delay_alu instid0(VALU_DEP_1) | instskip(SKIP_1) | instid1(SALU_CYCLE_1)
	v_cmp_ge_i64_e32 vcc_lo, v[5:6], v[3:4]
	s_or_b32 s39, vcc_lo, s39
	s_and_not1_b32 exec_lo, exec_lo, s39
	s_cbranch_execz .LBB131_21
.LBB131_25:                             ;   Parent Loop BB131_22 Depth=1
                                        ; =>  This Loop Header: Depth=2
                                        ;       Child Loop BB131_27 Depth 3
                                        ;       Child Loop BB131_39 Depth 3
	;; [unrolled: 1-line block ×4, first 2 shown]
	v_lshlrev_b64 v[7:8], 2, v[5:6]
	v_lshlrev_b64 v[11:12], 3, v[5:6]
	;; [unrolled: 1-line block ×3, first 2 shown]
	s_mov_b32 s46, 0
	s_delay_alu instid0(VALU_DEP_3) | instskip(NEXT) | instid1(VALU_DEP_4)
	v_or_b32_e32 v10, 0, v8
	v_or_b32_e32 v9, s36, v7
	;; [unrolled: 1-line block ×4, first 2 shown]
	s_delay_alu instid0(VALU_DEP_3) | instskip(NEXT) | instid1(VALU_DEP_2)
	v_lshlrev_b64 v[9:10], 3, v[9:10]
	v_lshlrev_b64 v[7:8], 3, v[7:8]
	s_delay_alu instid0(VALU_DEP_2) | instskip(NEXT) | instid1(VALU_DEP_3)
	v_add_co_u32 v9, vcc_lo, s14, v9
	v_add_co_ci_u32_e32 v10, vcc_lo, s15, v10, vcc_lo
	v_add_co_u32 v11, vcc_lo, s12, v11
	v_add_co_ci_u32_e32 v12, vcc_lo, s13, v12, vcc_lo
	global_load_b64 v[16:17], v[9:10], off
	global_load_b64 v[18:19], v[11:12], off
	v_add_co_u32 v12, vcc_lo, s14, v13
	v_add_co_ci_u32_e32 v13, vcc_lo, s15, v14, vcc_lo
	v_add_co_u32 v7, vcc_lo, s14, v7
	v_add_co_ci_u32_e32 v8, vcc_lo, s15, v8, vcc_lo
	s_clause 0x2
	global_load_b64 v[14:15], v[12:13], off
	global_load_b64 v[10:11], v[7:8], off
	global_load_b64 v[12:13], v[12:13], off offset:24
	s_waitcnt vmcnt(4)
	v_mul_f32_e64 v20, v17, -v31
	s_waitcnt vmcnt(3)
	v_sub_co_u32 v7, vcc_lo, v18, s29
	s_delay_alu instid0(VALU_DEP_2) | instskip(SKIP_2) | instid1(VALU_DEP_4)
	v_fmac_f32_e32 v20, v32, v16
	v_mul_f32_e32 v33, v32, v17
	v_subrev_co_ci_u32_e32 v8, vcc_lo, 0, v19, vcc_lo
	v_lshl_add_u32 v9, v7, 3, v7
	s_waitcnt vmcnt(2)
	s_delay_alu instid0(VALU_DEP_1) | instskip(SKIP_3) | instid1(VALU_DEP_3)
	v_dual_fmac_f32 v20, v25, v14 :: v_dual_and_b32 v9, 0x7f, v9
	v_fmac_f32_e32 v33, v31, v16
	s_waitcnt vmcnt(1)
	v_mov_b32_e32 v19, v10
	v_fma_f32 v34, -v26, v15, v20
	s_delay_alu instid0(VALU_DEP_3) | instskip(NEXT) | instid1(VALU_DEP_1)
	v_dual_mov_b32 v18, v9 :: v_dual_fmac_f32 v33, v26, v14
	v_fmac_f32_e32 v33, v25, v15
	s_branch .LBB131_27
.LBB131_26:                             ;   in Loop: Header=BB131_27 Depth=3
	s_or_b32 exec_lo, exec_lo, s47
	s_xor_b32 s47, s48, -1
	s_delay_alu instid0(SALU_CYCLE_1) | instskip(NEXT) | instid1(SALU_CYCLE_1)
	s_and_b32 s47, exec_lo, s47
	s_or_b32 s46, s47, s46
	s_delay_alu instid0(SALU_CYCLE_1)
	s_and_not1_b32 exec_lo, exec_lo, s46
	s_cbranch_execz .LBB131_37
.LBB131_27:                             ;   Parent Loop BB131_22 Depth=1
                                        ;     Parent Loop BB131_25 Depth=2
                                        ; =>    This Inner Loop Header: Depth=3
	s_delay_alu instid0(VALU_DEP_2)
	v_lshl_add_u32 v19, v18, 3, 0
	s_mov_b32 s47, exec_lo
                                        ; implicit-def: $sgpr48
	ds_load_b64 v[20:21], v19
	s_waitcnt lgkmcnt(0)
	v_cmpx_ne_u64_e64 v[20:21], v[7:8]
	s_xor_b32 s47, exec_lo, s47
	s_cbranch_execz .LBB131_35
; %bb.28:                               ;   in Loop: Header=BB131_27 Depth=3
	s_mov_b32 s49, exec_lo
                                        ; implicit-def: $sgpr48
	v_cmpx_ne_u64_e64 s[16:17], v[20:21]
	s_xor_b32 s49, exec_lo, s49
; %bb.29:                               ;   in Loop: Header=BB131_27 Depth=3
	v_add_nc_u32_e32 v18, 1, v18
	s_mov_b32 s48, -1
                                        ; implicit-def: $vgpr19
	s_delay_alu instid0(VALU_DEP_1)
	v_and_b32_e32 v18, 0x7f, v18
; %bb.30:                               ;   in Loop: Header=BB131_27 Depth=3
	s_and_not1_saveexec_b32 s49, s49
	s_cbranch_execz .LBB131_34
; %bb.31:                               ;   in Loop: Header=BB131_27 Depth=3
	v_dual_mov_b32 v21, s17 :: v_dual_mov_b32 v20, s16
	s_mov_b32 s51, -1
	s_mov_b32 s50, exec_lo
	ds_cmpstore_rtn_b64 v[20:21], v19, v[7:8], v[20:21]
	s_waitcnt lgkmcnt(0)
	v_cmpx_eq_u64_e64 s[16:17], v[20:21]
	s_cbranch_execz .LBB131_33
; %bb.32:                               ;   in Loop: Header=BB131_27 Depth=3
	v_mad_u64_u32 v[20:21], null, v18, 24, v[19:20]
	s_xor_b32 s51, exec_lo, -1
	ds_add_f32 v20, v34 offset:1024
	ds_add_f32 v20, v33 offset:1028
.LBB131_33:                             ;   in Loop: Header=BB131_27 Depth=3
	s_or_b32 exec_lo, exec_lo, s50
	s_delay_alu instid0(SALU_CYCLE_1) | instskip(SKIP_1) | instid1(SALU_CYCLE_1)
	s_and_not1_b32 s48, s48, exec_lo
	s_and_b32 s50, s51, exec_lo
	s_or_b32 s48, s48, s50
.LBB131_34:                             ;   in Loop: Header=BB131_27 Depth=3
	s_or_b32 exec_lo, exec_lo, s49
	s_delay_alu instid0(SALU_CYCLE_1)
	s_and_b32 s48, s48, exec_lo
                                        ; implicit-def: $vgpr19
.LBB131_35:                             ;   in Loop: Header=BB131_27 Depth=3
	s_and_not1_saveexec_b32 s47, s47
	s_cbranch_execz .LBB131_26
; %bb.36:                               ;   in Loop: Header=BB131_27 Depth=3
	v_mad_u64_u32 v[20:21], null, v18, 24, v[19:20]
	s_and_not1_b32 s48, s48, exec_lo
	ds_add_f32 v20, v34 offset:1024
	ds_add_f32 v20, v33 offset:1028
	s_branch .LBB131_26
.LBB131_37:                             ;   in Loop: Header=BB131_25 Depth=2
	s_or_b32 exec_lo, exec_lo, s46
	s_waitcnt vmcnt(0)
	v_mul_f32_e64 v18, v13, -v31
	s_mov_b32 s46, 0
	s_delay_alu instid0(VALU_DEP_1) | instskip(NEXT) | instid1(VALU_DEP_1)
	v_fmac_f32_e32 v18, v32, v12
	v_dual_mul_f32 v33, v32, v13 :: v_dual_fmac_f32 v18, v25, v10
	s_delay_alu instid0(VALU_DEP_1) | instskip(NEXT) | instid1(VALU_DEP_2)
	v_fmac_f32_e32 v33, v31, v12
	v_fma_f32 v34, -v26, v11, v18
	v_dual_mov_b32 v19, v10 :: v_dual_mov_b32 v18, v9
	s_delay_alu instid0(VALU_DEP_3) | instskip(NEXT) | instid1(VALU_DEP_1)
	v_fmac_f32_e32 v33, v26, v10
	v_fmac_f32_e32 v33, v25, v11
	s_branch .LBB131_39
.LBB131_38:                             ;   in Loop: Header=BB131_39 Depth=3
	s_or_b32 exec_lo, exec_lo, s47
	s_xor_b32 s47, s48, -1
	s_delay_alu instid0(SALU_CYCLE_1) | instskip(NEXT) | instid1(SALU_CYCLE_1)
	s_and_b32 s47, exec_lo, s47
	s_or_b32 s46, s47, s46
	s_delay_alu instid0(SALU_CYCLE_1)
	s_and_not1_b32 exec_lo, exec_lo, s46
	s_cbranch_execz .LBB131_49
.LBB131_39:                             ;   Parent Loop BB131_22 Depth=1
                                        ;     Parent Loop BB131_25 Depth=2
                                        ; =>    This Inner Loop Header: Depth=3
	s_delay_alu instid0(VALU_DEP_3)
	v_lshl_add_u32 v19, v18, 3, 0
	s_mov_b32 s47, exec_lo
                                        ; implicit-def: $sgpr48
	ds_load_b64 v[20:21], v19
	s_waitcnt lgkmcnt(0)
	v_cmpx_ne_u64_e64 v[20:21], v[7:8]
	s_xor_b32 s47, exec_lo, s47
	s_cbranch_execz .LBB131_47
; %bb.40:                               ;   in Loop: Header=BB131_39 Depth=3
	s_mov_b32 s49, exec_lo
                                        ; implicit-def: $sgpr48
	v_cmpx_ne_u64_e64 s[16:17], v[20:21]
	s_xor_b32 s49, exec_lo, s49
; %bb.41:                               ;   in Loop: Header=BB131_39 Depth=3
	v_add_nc_u32_e32 v18, 1, v18
	s_mov_b32 s48, -1
                                        ; implicit-def: $vgpr19
	s_delay_alu instid0(VALU_DEP_1)
	v_and_b32_e32 v18, 0x7f, v18
; %bb.42:                               ;   in Loop: Header=BB131_39 Depth=3
	s_and_not1_saveexec_b32 s49, s49
	s_cbranch_execz .LBB131_46
; %bb.43:                               ;   in Loop: Header=BB131_39 Depth=3
	v_dual_mov_b32 v21, s17 :: v_dual_mov_b32 v20, s16
	s_mov_b32 s51, -1
	s_mov_b32 s50, exec_lo
	ds_cmpstore_rtn_b64 v[20:21], v19, v[7:8], v[20:21]
	s_waitcnt lgkmcnt(0)
	v_cmpx_eq_u64_e64 s[16:17], v[20:21]
	s_cbranch_execz .LBB131_45
; %bb.44:                               ;   in Loop: Header=BB131_39 Depth=3
	v_mad_u64_u32 v[20:21], null, v18, 24, v[19:20]
	s_xor_b32 s51, exec_lo, -1
	ds_add_f32 v20, v34 offset:1032
	ds_add_f32 v20, v33 offset:1036
.LBB131_45:                             ;   in Loop: Header=BB131_39 Depth=3
	s_or_b32 exec_lo, exec_lo, s50
	s_delay_alu instid0(SALU_CYCLE_1) | instskip(SKIP_1) | instid1(SALU_CYCLE_1)
	s_and_not1_b32 s48, s48, exec_lo
	s_and_b32 s50, s51, exec_lo
	s_or_b32 s48, s48, s50
.LBB131_46:                             ;   in Loop: Header=BB131_39 Depth=3
	s_or_b32 exec_lo, exec_lo, s49
	s_delay_alu instid0(SALU_CYCLE_1)
	s_and_b32 s48, s48, exec_lo
                                        ; implicit-def: $vgpr19
.LBB131_47:                             ;   in Loop: Header=BB131_39 Depth=3
	s_and_not1_saveexec_b32 s47, s47
	s_cbranch_execz .LBB131_38
; %bb.48:                               ;   in Loop: Header=BB131_39 Depth=3
	v_mad_u64_u32 v[20:21], null, v18, 24, v[19:20]
	s_and_not1_b32 s48, s48, exec_lo
	ds_add_f32 v20, v34 offset:1032
	ds_add_f32 v20, v33 offset:1036
	s_branch .LBB131_38
.LBB131_49:                             ;   in Loop: Header=BB131_25 Depth=2
	s_or_b32 exec_lo, exec_lo, s46
	v_mul_f32_e64 v19, v17, -v29
	s_mov_b32 s46, 0
	s_delay_alu instid0(VALU_DEP_1) | instskip(NEXT) | instid1(VALU_DEP_1)
	v_fmac_f32_e32 v19, v30, v16
	v_dual_mul_f32 v18, v30, v17 :: v_dual_fmac_f32 v19, v27, v14
	s_delay_alu instid0(VALU_DEP_1) | instskip(NEXT) | instid1(VALU_DEP_2)
	v_fmac_f32_e32 v18, v29, v16
	v_fma_f32 v19, -v28, v15, v19
	s_delay_alu instid0(VALU_DEP_2) | instskip(NEXT) | instid1(VALU_DEP_1)
	v_fmac_f32_e32 v18, v28, v14
	v_dual_fmac_f32 v18, v27, v15 :: v_dual_mov_b32 v15, v10
	v_mov_b32_e32 v14, v9
	s_branch .LBB131_51
.LBB131_50:                             ;   in Loop: Header=BB131_51 Depth=3
	s_or_b32 exec_lo, exec_lo, s47
	s_xor_b32 s47, s48, -1
	s_delay_alu instid0(SALU_CYCLE_1) | instskip(NEXT) | instid1(SALU_CYCLE_1)
	s_and_b32 s47, exec_lo, s47
	s_or_b32 s46, s47, s46
	s_delay_alu instid0(SALU_CYCLE_1)
	s_and_not1_b32 exec_lo, exec_lo, s46
	s_cbranch_execz .LBB131_61
.LBB131_51:                             ;   Parent Loop BB131_22 Depth=1
                                        ;     Parent Loop BB131_25 Depth=2
                                        ; =>    This Inner Loop Header: Depth=3
	s_delay_alu instid0(VALU_DEP_1)
	v_lshl_add_u32 v15, v14, 3, 0
	s_mov_b32 s47, exec_lo
                                        ; implicit-def: $sgpr48
	ds_load_b64 v[16:17], v15
	s_waitcnt lgkmcnt(0)
	v_cmpx_ne_u64_e64 v[16:17], v[7:8]
	s_xor_b32 s47, exec_lo, s47
	s_cbranch_execz .LBB131_59
; %bb.52:                               ;   in Loop: Header=BB131_51 Depth=3
	s_mov_b32 s49, exec_lo
                                        ; implicit-def: $sgpr48
	v_cmpx_ne_u64_e64 s[16:17], v[16:17]
	s_xor_b32 s49, exec_lo, s49
; %bb.53:                               ;   in Loop: Header=BB131_51 Depth=3
	v_add_nc_u32_e32 v14, 1, v14
	s_mov_b32 s48, -1
                                        ; implicit-def: $vgpr15
	s_delay_alu instid0(VALU_DEP_1)
	v_and_b32_e32 v14, 0x7f, v14
; %bb.54:                               ;   in Loop: Header=BB131_51 Depth=3
	s_and_not1_saveexec_b32 s49, s49
	s_cbranch_execz .LBB131_58
; %bb.55:                               ;   in Loop: Header=BB131_51 Depth=3
	v_dual_mov_b32 v16, s16 :: v_dual_mov_b32 v17, s17
	s_mov_b32 s51, -1
	s_mov_b32 s50, exec_lo
	ds_cmpstore_rtn_b64 v[16:17], v15, v[7:8], v[16:17]
	s_waitcnt lgkmcnt(0)
	v_cmpx_eq_u64_e64 s[16:17], v[16:17]
	s_cbranch_execz .LBB131_57
; %bb.56:                               ;   in Loop: Header=BB131_51 Depth=3
	v_mad_u64_u32 v[16:17], null, v14, 24, v[15:16]
	s_xor_b32 s51, exec_lo, -1
	ds_add_f32 v16, v19 offset:1040
	ds_add_f32 v16, v18 offset:1044
.LBB131_57:                             ;   in Loop: Header=BB131_51 Depth=3
	s_or_b32 exec_lo, exec_lo, s50
	s_delay_alu instid0(SALU_CYCLE_1) | instskip(SKIP_1) | instid1(SALU_CYCLE_1)
	s_and_not1_b32 s48, s48, exec_lo
	s_and_b32 s50, s51, exec_lo
	s_or_b32 s48, s48, s50
.LBB131_58:                             ;   in Loop: Header=BB131_51 Depth=3
	s_or_b32 exec_lo, exec_lo, s49
	s_delay_alu instid0(SALU_CYCLE_1)
	s_and_b32 s48, s48, exec_lo
                                        ; implicit-def: $vgpr15
.LBB131_59:                             ;   in Loop: Header=BB131_51 Depth=3
	s_and_not1_saveexec_b32 s47, s47
	s_cbranch_execz .LBB131_50
; %bb.60:                               ;   in Loop: Header=BB131_51 Depth=3
	v_mad_u64_u32 v[16:17], null, v14, 24, v[15:16]
	s_and_not1_b32 s48, s48, exec_lo
	ds_add_f32 v16, v19 offset:1040
	ds_add_f32 v16, v18 offset:1044
	s_branch .LBB131_50
.LBB131_61:                             ;   in Loop: Header=BB131_25 Depth=2
	s_or_b32 exec_lo, exec_lo, s46
	v_mul_f32_e64 v14, v13, -v29
	s_mov_b32 s46, 0
	s_delay_alu instid0(VALU_DEP_1) | instskip(NEXT) | instid1(VALU_DEP_1)
	v_fmac_f32_e32 v14, v30, v12
	v_dual_mul_f32 v13, v30, v13 :: v_dual_fmac_f32 v14, v27, v10
	s_delay_alu instid0(VALU_DEP_1) | instskip(NEXT) | instid1(VALU_DEP_2)
	v_fmac_f32_e32 v13, v29, v12
	v_fma_f32 v14, -v28, v11, v14
	s_delay_alu instid0(VALU_DEP_2) | instskip(NEXT) | instid1(VALU_DEP_1)
	v_fmac_f32_e32 v13, v28, v10
	v_fmac_f32_e32 v13, v27, v11
	s_branch .LBB131_63
.LBB131_62:                             ;   in Loop: Header=BB131_63 Depth=3
	s_or_b32 exec_lo, exec_lo, s47
	s_xor_b32 s47, s48, -1
	s_delay_alu instid0(SALU_CYCLE_1) | instskip(NEXT) | instid1(SALU_CYCLE_1)
	s_and_b32 s47, exec_lo, s47
	s_or_b32 s46, s47, s46
	s_delay_alu instid0(SALU_CYCLE_1)
	s_and_not1_b32 exec_lo, exec_lo, s46
	s_cbranch_execz .LBB131_24
.LBB131_63:                             ;   Parent Loop BB131_22 Depth=1
                                        ;     Parent Loop BB131_25 Depth=2
                                        ; =>    This Inner Loop Header: Depth=3
	v_lshl_add_u32 v10, v9, 3, 0
	s_mov_b32 s47, exec_lo
                                        ; implicit-def: $sgpr48
	ds_load_b64 v[11:12], v10
	s_waitcnt lgkmcnt(0)
	v_cmpx_ne_u64_e64 v[11:12], v[7:8]
	s_xor_b32 s47, exec_lo, s47
	s_cbranch_execz .LBB131_71
; %bb.64:                               ;   in Loop: Header=BB131_63 Depth=3
	s_mov_b32 s49, exec_lo
                                        ; implicit-def: $sgpr48
	v_cmpx_ne_u64_e64 s[16:17], v[11:12]
	s_xor_b32 s49, exec_lo, s49
; %bb.65:                               ;   in Loop: Header=BB131_63 Depth=3
	v_add_nc_u32_e32 v9, 1, v9
	s_mov_b32 s48, -1
                                        ; implicit-def: $vgpr10
	s_delay_alu instid0(VALU_DEP_1)
	v_and_b32_e32 v9, 0x7f, v9
; %bb.66:                               ;   in Loop: Header=BB131_63 Depth=3
	s_and_not1_saveexec_b32 s49, s49
	s_cbranch_execz .LBB131_70
; %bb.67:                               ;   in Loop: Header=BB131_63 Depth=3
	v_dual_mov_b32 v11, s16 :: v_dual_mov_b32 v12, s17
	s_mov_b32 s51, -1
	s_mov_b32 s50, exec_lo
	ds_cmpstore_rtn_b64 v[11:12], v10, v[7:8], v[11:12]
	s_waitcnt lgkmcnt(0)
	v_cmpx_eq_u64_e64 s[16:17], v[11:12]
	s_cbranch_execz .LBB131_69
; %bb.68:                               ;   in Loop: Header=BB131_63 Depth=3
	v_mad_u64_u32 v[11:12], null, v9, 24, v[10:11]
	s_xor_b32 s51, exec_lo, -1
	ds_add_f32 v11, v14 offset:1048
	ds_add_f32 v11, v13 offset:1052
.LBB131_69:                             ;   in Loop: Header=BB131_63 Depth=3
	s_or_b32 exec_lo, exec_lo, s50
	s_delay_alu instid0(SALU_CYCLE_1) | instskip(SKIP_1) | instid1(SALU_CYCLE_1)
	s_and_not1_b32 s48, s48, exec_lo
	s_and_b32 s50, s51, exec_lo
	s_or_b32 s48, s48, s50
.LBB131_70:                             ;   in Loop: Header=BB131_63 Depth=3
	s_or_b32 exec_lo, exec_lo, s49
	s_delay_alu instid0(SALU_CYCLE_1)
	s_and_b32 s48, s48, exec_lo
                                        ; implicit-def: $vgpr10
.LBB131_71:                             ;   in Loop: Header=BB131_63 Depth=3
	s_and_not1_saveexec_b32 s47, s47
	s_cbranch_execz .LBB131_62
; %bb.72:                               ;   in Loop: Header=BB131_63 Depth=3
	v_mad_u64_u32 v[11:12], null, v9, 24, v[10:11]
	s_and_not1_b32 s48, s48, exec_lo
	ds_add_f32 v11, v14 offset:1048
	ds_add_f32 v11, v13 offset:1052
	s_branch .LBB131_62
.LBB131_73:
	s_or_b32 exec_lo, exec_lo, s20
.LBB131_74:
	s_delay_alu instid0(SALU_CYCLE_1)
	s_and_not1_b32 vcc_lo, exec_lo, s45
	s_waitcnt lgkmcnt(0)
	s_barrier
	buffer_gl0_inv
	s_cbranch_vccnz .LBB131_127
; %bb.75:
	s_lshl_b64 s[0:1], s[40:41], 3
	s_mov_b32 s3, 0
	s_add_u32 s0, s18, s0
	s_addc_u32 s1, s19, s1
	s_load_b128 s[12:15], s[0:1], 0x0
	v_sub_co_u32 v1, s0, v0, s31
	s_delay_alu instid0(VALU_DEP_1) | instskip(SKIP_1) | instid1(VALU_DEP_2)
	v_sub_co_ci_u32_e64 v2, null, 0, 0, s0
	s_waitcnt lgkmcnt(0)
	v_add_co_u32 v1, vcc_lo, s12, v1
	s_delay_alu instid0(VALU_DEP_2) | instskip(SKIP_3) | instid1(VALU_DEP_1)
	v_add_co_ci_u32_e32 v2, vcc_lo, s13, v2, vcc_lo
	s_sub_u32 s0, s14, s31
	s_subb_u32 s1, s15, 0
	s_mov_b32 s12, exec_lo
	v_cmpx_gt_i64_e64 s[0:1], v[1:2]
	s_cbranch_execz .LBB131_126
; %bb.76:
	s_cmp_eq_u32 s33, 0
	s_mov_b32 s13, s31
	s_cselect_b32 s14, 1, 2
	s_cselect_b32 s15, 2, 1
	s_branch .LBB131_78
.LBB131_77:                             ;   in Loop: Header=BB131_78 Depth=1
	s_or_b32 exec_lo, exec_lo, s18
	v_add_co_u32 v1, vcc_lo, 0x100, v1
	v_add_co_ci_u32_e32 v2, vcc_lo, 0, v2, vcc_lo
	s_delay_alu instid0(VALU_DEP_1) | instskip(SKIP_1) | instid1(SALU_CYCLE_1)
	v_cmp_le_i64_e32 vcc_lo, s[0:1], v[1:2]
	s_or_b32 s3, vcc_lo, s3
	s_and_not1_b32 exec_lo, exec_lo, s3
	s_cbranch_execz .LBB131_126
.LBB131_78:                             ; =>This Loop Header: Depth=1
                                        ;     Child Loop BB131_80 Depth 2
                                        ;     Child Loop BB131_92 Depth 2
	;; [unrolled: 1-line block ×4, first 2 shown]
	v_lshlrev_b64 v[5:6], 3, v[1:2]
	v_lshlrev_b64 v[3:4], 2, v[1:2]
	;; [unrolled: 1-line block ×3, first 2 shown]
	s_mov_b32 s18, 0
	s_delay_alu instid0(VALU_DEP_3) | instskip(NEXT) | instid1(VALU_DEP_4)
	v_add_co_u32 v5, vcc_lo, s4, v5
	v_add_co_ci_u32_e32 v6, vcc_lo, s5, v6, vcc_lo
	s_delay_alu instid0(VALU_DEP_4)
	v_or_b32_e32 v10, 0, v4
	v_or_b32_e32 v9, s14, v3
	;; [unrolled: 1-line block ×3, first 2 shown]
	global_load_b64 v[12:13], v[5:6], off
	v_or_b32_e32 v3, s15, v3
	v_add_co_u32 v7, vcc_lo, s6, v7
	v_lshlrev_b64 v[5:6], 3, v[9:10]
	v_add_co_ci_u32_e32 v8, vcc_lo, s7, v8, vcc_lo
	s_delay_alu instid0(VALU_DEP_4) | instskip(NEXT) | instid1(VALU_DEP_3)
	v_lshlrev_b64 v[3:4], 3, v[3:4]
	v_add_co_u32 v9, vcc_lo, s6, v5
	global_load_b64 v[14:15], v[7:8], off
	v_add_co_ci_u32_e32 v10, vcc_lo, s7, v6, vcc_lo
	v_add_co_u32 v3, vcc_lo, s6, v3
	v_add_co_ci_u32_e32 v4, vcc_lo, s7, v4, vcc_lo
	s_clause 0x2
	global_load_b64 v[6:7], v[7:8], off offset:24
	global_load_b64 v[10:11], v[9:10], off
	global_load_b64 v[8:9], v[3:4], off
	s_waitcnt vmcnt(4)
	v_sub_co_u32 v3, vcc_lo, v12, s13
	v_subrev_co_ci_u32_e32 v4, vcc_lo, 0, v13, vcc_lo
	s_delay_alu instid0(VALU_DEP_2) | instskip(NEXT) | instid1(VALU_DEP_1)
	v_lshl_add_u32 v5, v3, 3, v3
	v_and_b32_e32 v5, 0x7f, v5
	s_waitcnt vmcnt(3)
	v_mul_f32_e64 v16, v15, -s43
	s_delay_alu instid0(VALU_DEP_1) | instskip(SKIP_2) | instid1(VALU_DEP_2)
	v_dual_mul_f32 v17, s42, v15 :: v_dual_fmac_f32 v16, s42, v14
	s_waitcnt vmcnt(2)
	v_mov_b32_e32 v13, v6
	v_dual_fmac_f32 v17, s43, v14 :: v_dual_mov_b32 v12, v5
	s_branch .LBB131_80
.LBB131_79:                             ;   in Loop: Header=BB131_80 Depth=2
	s_or_b32 exec_lo, exec_lo, s19
	s_xor_b32 s19, s20, -1
	s_delay_alu instid0(SALU_CYCLE_1) | instskip(NEXT) | instid1(SALU_CYCLE_1)
	s_and_b32 s19, exec_lo, s19
	s_or_b32 s18, s19, s18
	s_delay_alu instid0(SALU_CYCLE_1)
	s_and_not1_b32 exec_lo, exec_lo, s18
	s_cbranch_execz .LBB131_90
.LBB131_80:                             ;   Parent Loop BB131_78 Depth=1
                                        ; =>  This Inner Loop Header: Depth=2
	s_delay_alu instid0(VALU_DEP_1)
	v_lshl_add_u32 v13, v12, 3, 0
	s_mov_b32 s19, exec_lo
                                        ; implicit-def: $sgpr20
	ds_load_b64 v[14:15], v13
	s_waitcnt lgkmcnt(0)
	v_cmpx_ne_u64_e64 v[14:15], v[3:4]
	s_xor_b32 s19, exec_lo, s19
	s_cbranch_execz .LBB131_88
; %bb.81:                               ;   in Loop: Header=BB131_80 Depth=2
	s_mov_b32 s21, exec_lo
                                        ; implicit-def: $sgpr20
	v_cmpx_ne_u64_e64 s[16:17], v[14:15]
	s_xor_b32 s21, exec_lo, s21
; %bb.82:                               ;   in Loop: Header=BB131_80 Depth=2
	v_add_nc_u32_e32 v12, 1, v12
	s_mov_b32 s20, -1
                                        ; implicit-def: $vgpr13
	s_delay_alu instid0(VALU_DEP_1)
	v_and_b32_e32 v12, 0x7f, v12
; %bb.83:                               ;   in Loop: Header=BB131_80 Depth=2
	s_and_not1_saveexec_b32 s21, s21
	s_cbranch_execz .LBB131_87
; %bb.84:                               ;   in Loop: Header=BB131_80 Depth=2
	v_dual_mov_b32 v14, s16 :: v_dual_mov_b32 v15, s17
	s_mov_b32 s23, -1
	s_mov_b32 s22, exec_lo
	ds_cmpstore_rtn_b64 v[14:15], v13, v[3:4], v[14:15]
	s_waitcnt lgkmcnt(0)
	v_cmpx_eq_u64_e64 s[16:17], v[14:15]
	s_cbranch_execz .LBB131_86
; %bb.85:                               ;   in Loop: Header=BB131_80 Depth=2
	v_mad_u64_u32 v[14:15], null, v12, 24, v[13:14]
	s_xor_b32 s23, exec_lo, -1
	ds_add_f32 v14, v16 offset:1024
	ds_add_f32 v14, v17 offset:1028
.LBB131_86:                             ;   in Loop: Header=BB131_80 Depth=2
	s_or_b32 exec_lo, exec_lo, s22
	s_delay_alu instid0(SALU_CYCLE_1) | instskip(SKIP_1) | instid1(SALU_CYCLE_1)
	s_and_not1_b32 s20, s20, exec_lo
	s_and_b32 s22, s23, exec_lo
	s_or_b32 s20, s20, s22
.LBB131_87:                             ;   in Loop: Header=BB131_80 Depth=2
	s_or_b32 exec_lo, exec_lo, s21
	s_delay_alu instid0(SALU_CYCLE_1)
	s_and_b32 s20, s20, exec_lo
                                        ; implicit-def: $vgpr13
.LBB131_88:                             ;   in Loop: Header=BB131_80 Depth=2
	s_and_not1_saveexec_b32 s19, s19
	s_cbranch_execz .LBB131_79
; %bb.89:                               ;   in Loop: Header=BB131_80 Depth=2
	v_mad_u64_u32 v[14:15], null, v12, 24, v[13:14]
	s_and_not1_b32 s20, s20, exec_lo
	ds_add_f32 v14, v16 offset:1024
	ds_add_f32 v14, v17 offset:1028
	s_branch .LBB131_79
.LBB131_90:                             ;   in Loop: Header=BB131_78 Depth=1
	s_or_b32 exec_lo, exec_lo, s18
	s_waitcnt vmcnt(1)
	v_mul_f32_e64 v14, v11, -s43
	v_mul_f32_e32 v15, s42, v11
	s_mov_b32 s18, 0
	s_delay_alu instid0(VALU_DEP_2) | instskip(NEXT) | instid1(VALU_DEP_2)
	v_fmac_f32_e32 v14, s42, v10
	v_fmac_f32_e32 v15, s43, v10
	v_dual_mov_b32 v11, v6 :: v_dual_mov_b32 v10, v5
	s_branch .LBB131_92
.LBB131_91:                             ;   in Loop: Header=BB131_92 Depth=2
	s_or_b32 exec_lo, exec_lo, s19
	s_xor_b32 s19, s20, -1
	s_delay_alu instid0(SALU_CYCLE_1) | instskip(NEXT) | instid1(SALU_CYCLE_1)
	s_and_b32 s19, exec_lo, s19
	s_or_b32 s18, s19, s18
	s_delay_alu instid0(SALU_CYCLE_1)
	s_and_not1_b32 exec_lo, exec_lo, s18
	s_cbranch_execz .LBB131_102
.LBB131_92:                             ;   Parent Loop BB131_78 Depth=1
                                        ; =>  This Inner Loop Header: Depth=2
	s_delay_alu instid0(VALU_DEP_1)
	v_lshl_add_u32 v11, v10, 3, 0
	s_mov_b32 s19, exec_lo
                                        ; implicit-def: $sgpr20
	ds_load_b64 v[12:13], v11
	s_waitcnt lgkmcnt(0)
	v_cmpx_ne_u64_e64 v[12:13], v[3:4]
	s_xor_b32 s19, exec_lo, s19
	s_cbranch_execz .LBB131_100
; %bb.93:                               ;   in Loop: Header=BB131_92 Depth=2
	s_mov_b32 s21, exec_lo
                                        ; implicit-def: $sgpr20
	v_cmpx_ne_u64_e64 s[16:17], v[12:13]
	s_xor_b32 s21, exec_lo, s21
; %bb.94:                               ;   in Loop: Header=BB131_92 Depth=2
	v_add_nc_u32_e32 v10, 1, v10
	s_mov_b32 s20, -1
                                        ; implicit-def: $vgpr11
	s_delay_alu instid0(VALU_DEP_1)
	v_and_b32_e32 v10, 0x7f, v10
; %bb.95:                               ;   in Loop: Header=BB131_92 Depth=2
	s_and_not1_saveexec_b32 s21, s21
	s_cbranch_execz .LBB131_99
; %bb.96:                               ;   in Loop: Header=BB131_92 Depth=2
	v_dual_mov_b32 v12, s16 :: v_dual_mov_b32 v13, s17
	s_mov_b32 s23, -1
	s_mov_b32 s22, exec_lo
	ds_cmpstore_rtn_b64 v[12:13], v11, v[3:4], v[12:13]
	s_waitcnt lgkmcnt(0)
	v_cmpx_eq_u64_e64 s[16:17], v[12:13]
	s_cbranch_execz .LBB131_98
; %bb.97:                               ;   in Loop: Header=BB131_92 Depth=2
	v_mad_u64_u32 v[12:13], null, v10, 24, v[11:12]
	s_xor_b32 s23, exec_lo, -1
	ds_add_f32 v12, v14 offset:1032
	ds_add_f32 v12, v15 offset:1036
.LBB131_98:                             ;   in Loop: Header=BB131_92 Depth=2
	s_or_b32 exec_lo, exec_lo, s22
	s_delay_alu instid0(SALU_CYCLE_1) | instskip(SKIP_1) | instid1(SALU_CYCLE_1)
	s_and_not1_b32 s20, s20, exec_lo
	s_and_b32 s22, s23, exec_lo
	s_or_b32 s20, s20, s22
.LBB131_99:                             ;   in Loop: Header=BB131_92 Depth=2
	s_or_b32 exec_lo, exec_lo, s21
	s_delay_alu instid0(SALU_CYCLE_1)
	s_and_b32 s20, s20, exec_lo
                                        ; implicit-def: $vgpr11
.LBB131_100:                            ;   in Loop: Header=BB131_92 Depth=2
	s_and_not1_saveexec_b32 s19, s19
	s_cbranch_execz .LBB131_91
; %bb.101:                              ;   in Loop: Header=BB131_92 Depth=2
	v_mad_u64_u32 v[12:13], null, v10, 24, v[11:12]
	s_and_not1_b32 s20, s20, exec_lo
	ds_add_f32 v12, v14 offset:1032
	ds_add_f32 v12, v15 offset:1036
	s_branch .LBB131_91
.LBB131_102:                            ;   in Loop: Header=BB131_78 Depth=1
	s_or_b32 exec_lo, exec_lo, s18
	s_waitcnt vmcnt(0)
	v_mul_f32_e64 v12, v9, -s43
	v_mul_f32_e32 v13, s42, v9
	s_mov_b32 s18, 0
	s_delay_alu instid0(VALU_DEP_2) | instskip(NEXT) | instid1(VALU_DEP_2)
	v_fmac_f32_e32 v12, s42, v8
	v_fmac_f32_e32 v13, s43, v8
	v_dual_mov_b32 v9, v6 :: v_dual_mov_b32 v8, v5
	s_branch .LBB131_104
.LBB131_103:                            ;   in Loop: Header=BB131_104 Depth=2
	s_or_b32 exec_lo, exec_lo, s19
	s_xor_b32 s19, s20, -1
	s_delay_alu instid0(SALU_CYCLE_1) | instskip(NEXT) | instid1(SALU_CYCLE_1)
	s_and_b32 s19, exec_lo, s19
	s_or_b32 s18, s19, s18
	s_delay_alu instid0(SALU_CYCLE_1)
	s_and_not1_b32 exec_lo, exec_lo, s18
	s_cbranch_execz .LBB131_114
.LBB131_104:                            ;   Parent Loop BB131_78 Depth=1
                                        ; =>  This Inner Loop Header: Depth=2
	s_delay_alu instid0(VALU_DEP_1)
	v_lshl_add_u32 v9, v8, 3, 0
	s_mov_b32 s19, exec_lo
                                        ; implicit-def: $sgpr20
	ds_load_b64 v[10:11], v9
	s_waitcnt lgkmcnt(0)
	v_cmpx_ne_u64_e64 v[10:11], v[3:4]
	s_xor_b32 s19, exec_lo, s19
	s_cbranch_execz .LBB131_112
; %bb.105:                              ;   in Loop: Header=BB131_104 Depth=2
	s_mov_b32 s21, exec_lo
                                        ; implicit-def: $sgpr20
	v_cmpx_ne_u64_e64 s[16:17], v[10:11]
	s_xor_b32 s21, exec_lo, s21
; %bb.106:                              ;   in Loop: Header=BB131_104 Depth=2
	v_add_nc_u32_e32 v8, 1, v8
	s_mov_b32 s20, -1
                                        ; implicit-def: $vgpr9
	s_delay_alu instid0(VALU_DEP_1)
	v_and_b32_e32 v8, 0x7f, v8
; %bb.107:                              ;   in Loop: Header=BB131_104 Depth=2
	s_and_not1_saveexec_b32 s21, s21
	s_cbranch_execz .LBB131_111
; %bb.108:                              ;   in Loop: Header=BB131_104 Depth=2
	v_dual_mov_b32 v10, s16 :: v_dual_mov_b32 v11, s17
	s_mov_b32 s23, -1
	s_mov_b32 s22, exec_lo
	ds_cmpstore_rtn_b64 v[10:11], v9, v[3:4], v[10:11]
	s_waitcnt lgkmcnt(0)
	v_cmpx_eq_u64_e64 s[16:17], v[10:11]
	s_cbranch_execz .LBB131_110
; %bb.109:                              ;   in Loop: Header=BB131_104 Depth=2
	v_mad_u64_u32 v[10:11], null, v8, 24, v[9:10]
	s_xor_b32 s23, exec_lo, -1
	ds_add_f32 v10, v12 offset:1040
	ds_add_f32 v10, v13 offset:1044
.LBB131_110:                            ;   in Loop: Header=BB131_104 Depth=2
	s_or_b32 exec_lo, exec_lo, s22
	s_delay_alu instid0(SALU_CYCLE_1) | instskip(SKIP_1) | instid1(SALU_CYCLE_1)
	s_and_not1_b32 s20, s20, exec_lo
	s_and_b32 s22, s23, exec_lo
	s_or_b32 s20, s20, s22
.LBB131_111:                            ;   in Loop: Header=BB131_104 Depth=2
	s_or_b32 exec_lo, exec_lo, s21
	s_delay_alu instid0(SALU_CYCLE_1)
	s_and_b32 s20, s20, exec_lo
                                        ; implicit-def: $vgpr9
.LBB131_112:                            ;   in Loop: Header=BB131_104 Depth=2
	s_and_not1_saveexec_b32 s19, s19
	s_cbranch_execz .LBB131_103
; %bb.113:                              ;   in Loop: Header=BB131_104 Depth=2
	v_mad_u64_u32 v[10:11], null, v8, 24, v[9:10]
	s_and_not1_b32 s20, s20, exec_lo
	ds_add_f32 v10, v12 offset:1040
	ds_add_f32 v10, v13 offset:1044
	s_branch .LBB131_103
.LBB131_114:                            ;   in Loop: Header=BB131_78 Depth=1
	s_or_b32 exec_lo, exec_lo, s18
	v_mul_f32_e64 v9, v7, -s43
	v_mul_f32_e32 v10, s42, v7
	s_mov_b32 s18, 0
	s_delay_alu instid0(VALU_DEP_2) | instskip(NEXT) | instid1(VALU_DEP_2)
	v_fmac_f32_e32 v9, s42, v6
	v_fmac_f32_e32 v10, s43, v6
	s_branch .LBB131_116
.LBB131_115:                            ;   in Loop: Header=BB131_116 Depth=2
	s_or_b32 exec_lo, exec_lo, s19
	s_xor_b32 s19, s20, -1
	s_delay_alu instid0(SALU_CYCLE_1) | instskip(NEXT) | instid1(SALU_CYCLE_1)
	s_and_b32 s19, exec_lo, s19
	s_or_b32 s18, s19, s18
	s_delay_alu instid0(SALU_CYCLE_1)
	s_and_not1_b32 exec_lo, exec_lo, s18
	s_cbranch_execz .LBB131_77
.LBB131_116:                            ;   Parent Loop BB131_78 Depth=1
                                        ; =>  This Inner Loop Header: Depth=2
	v_lshl_add_u32 v6, v5, 3, 0
	s_mov_b32 s19, exec_lo
                                        ; implicit-def: $sgpr20
	ds_load_b64 v[7:8], v6
	s_waitcnt lgkmcnt(0)
	v_cmpx_ne_u64_e64 v[7:8], v[3:4]
	s_xor_b32 s19, exec_lo, s19
	s_cbranch_execz .LBB131_124
; %bb.117:                              ;   in Loop: Header=BB131_116 Depth=2
	s_mov_b32 s21, exec_lo
                                        ; implicit-def: $sgpr20
	v_cmpx_ne_u64_e64 s[16:17], v[7:8]
	s_xor_b32 s21, exec_lo, s21
; %bb.118:                              ;   in Loop: Header=BB131_116 Depth=2
	v_add_nc_u32_e32 v5, 1, v5
	s_mov_b32 s20, -1
                                        ; implicit-def: $vgpr6
	s_delay_alu instid0(VALU_DEP_1)
	v_and_b32_e32 v5, 0x7f, v5
; %bb.119:                              ;   in Loop: Header=BB131_116 Depth=2
	s_and_not1_saveexec_b32 s21, s21
	s_cbranch_execz .LBB131_123
; %bb.120:                              ;   in Loop: Header=BB131_116 Depth=2
	v_dual_mov_b32 v7, s16 :: v_dual_mov_b32 v8, s17
	s_mov_b32 s23, -1
	s_mov_b32 s22, exec_lo
	ds_cmpstore_rtn_b64 v[7:8], v6, v[3:4], v[7:8]
	s_waitcnt lgkmcnt(0)
	v_cmpx_eq_u64_e64 s[16:17], v[7:8]
	s_cbranch_execz .LBB131_122
; %bb.121:                              ;   in Loop: Header=BB131_116 Depth=2
	v_mad_u64_u32 v[7:8], null, v5, 24, v[6:7]
	s_xor_b32 s23, exec_lo, -1
	ds_add_f32 v7, v9 offset:1048
	ds_add_f32 v7, v10 offset:1052
.LBB131_122:                            ;   in Loop: Header=BB131_116 Depth=2
	s_or_b32 exec_lo, exec_lo, s22
	s_delay_alu instid0(SALU_CYCLE_1) | instskip(SKIP_1) | instid1(SALU_CYCLE_1)
	s_and_not1_b32 s20, s20, exec_lo
	s_and_b32 s22, s23, exec_lo
	s_or_b32 s20, s20, s22
.LBB131_123:                            ;   in Loop: Header=BB131_116 Depth=2
	s_or_b32 exec_lo, exec_lo, s21
	s_delay_alu instid0(SALU_CYCLE_1)
	s_and_b32 s20, s20, exec_lo
                                        ; implicit-def: $vgpr6
.LBB131_124:                            ;   in Loop: Header=BB131_116 Depth=2
	s_and_not1_saveexec_b32 s19, s19
	s_cbranch_execz .LBB131_115
; %bb.125:                              ;   in Loop: Header=BB131_116 Depth=2
	v_mad_u64_u32 v[7:8], null, v5, 24, v[6:7]
	s_and_not1_b32 s20, s20, exec_lo
	ds_add_f32 v7, v9 offset:1048
	ds_add_f32 v7, v10 offset:1052
	s_branch .LBB131_115
.LBB131_126:
	s_or_b32 exec_lo, exec_lo, s12
.LBB131_127:
	s_waitcnt lgkmcnt(0)
	s_barrier
	buffer_gl0_inv
	s_and_saveexec_b32 s0, s2
	s_cbranch_execz .LBB131_132
; %bb.128:
	ds_load_b64 v[1:2], v22
	s_mov_b32 s1, 0
	s_waitcnt lgkmcnt(0)
	v_cmp_gt_i64_e32 vcc_lo, s[16:17], v[1:2]
	s_and_b32 exec_lo, exec_lo, vcc_lo
	s_cbranch_execz .LBB131_132
; %bb.129:
	s_lshl_b64 s[2:3], s[40:41], 3
	s_delay_alu instid0(SALU_CYCLE_1)
	s_add_u32 s2, s8, s2
	s_addc_u32 s3, s9, s3
	s_load_b64 s[2:3], s[2:3], 0x0
	s_waitcnt lgkmcnt(0)
	s_sub_u32 s2, s2, s30
	s_subb_u32 s3, s3, 0
	s_delay_alu instid0(SALU_CYCLE_1)
	v_dual_mov_b32 v4, s3 :: v_dual_mov_b32 v3, s2
.LBB131_130:                            ; =>This Inner Loop Header: Depth=1
	s_add_i32 s0, s1, 0
	s_addk_i32 s1, 0x80
	v_mov_b32_e32 v33, s0
	s_cmpk_lg_i32 s1, 0x400
	ds_load_2addr_b64 v[5:8], v33 offset1:1
	ds_load_2addr_b64 v[9:12], v33 offset0:2 offset1:3
	ds_load_2addr_b64 v[13:16], v33 offset0:4 offset1:5
	;; [unrolled: 1-line block ×7, first 2 shown]
	s_waitcnt lgkmcnt(7)
	v_cmp_gt_i64_e32 vcc_lo, v[1:2], v[5:6]
	v_cndmask_b32_e64 v5, 0, 1, vcc_lo
	v_cmp_gt_i64_e32 vcc_lo, v[1:2], v[7:8]
	v_cndmask_b32_e64 v6, 0, 1, vcc_lo
	s_waitcnt lgkmcnt(6)
	v_cmp_gt_i64_e32 vcc_lo, v[1:2], v[9:10]
	v_cndmask_b32_e64 v7, 0, 1, vcc_lo
	v_cmp_gt_i64_e32 vcc_lo, v[1:2], v[11:12]
	v_cndmask_b32_e64 v8, 0, 1, vcc_lo
	s_waitcnt lgkmcnt(5)
	v_cmp_gt_i64_e32 vcc_lo, v[1:2], v[13:14]
	v_cndmask_b32_e64 v9, 0, 1, vcc_lo
	v_cmp_gt_i64_e32 vcc_lo, v[1:2], v[15:16]
	v_cndmask_b32_e64 v10, 0, 1, vcc_lo
	s_waitcnt lgkmcnt(4)
	v_cmp_gt_i64_e32 vcc_lo, v[1:2], v[17:18]
	v_cndmask_b32_e64 v11, 0, 1, vcc_lo
	v_cmp_gt_i64_e32 vcc_lo, v[1:2], v[19:20]
	v_cndmask_b32_e64 v12, 0, 1, vcc_lo
	s_waitcnt lgkmcnt(3)
	v_cmp_gt_i64_e32 vcc_lo, v[1:2], v[21:22]
	v_cndmask_b32_e64 v13, 0, 1, vcc_lo
	v_add_co_u32 v3, vcc_lo, v3, v5
	v_add_co_ci_u32_e32 v4, vcc_lo, 0, v4, vcc_lo
	v_cmp_gt_i64_e32 vcc_lo, v[1:2], v[23:24]
	s_delay_alu instid0(VALU_DEP_3) | instskip(NEXT) | instid1(VALU_DEP_1)
	v_add_co_u32 v3, s0, v3, v6
	v_add_co_ci_u32_e64 v4, s0, 0, v4, s0
	v_cndmask_b32_e64 v5, 0, 1, vcc_lo
	s_delay_alu instid0(VALU_DEP_3) | instskip(NEXT) | instid1(VALU_DEP_3)
	v_add_co_u32 v3, vcc_lo, v3, v7
	v_add_co_ci_u32_e32 v4, vcc_lo, 0, v4, vcc_lo
	s_waitcnt lgkmcnt(2)
	v_cmp_gt_i64_e32 vcc_lo, v[1:2], v[25:26]
	s_delay_alu instid0(VALU_DEP_3) | instskip(NEXT) | instid1(VALU_DEP_1)
	v_add_co_u32 v3, s0, v3, v8
	v_add_co_ci_u32_e64 v4, s0, 0, v4, s0
	v_cndmask_b32_e64 v6, 0, 1, vcc_lo
	s_delay_alu instid0(VALU_DEP_3) | instskip(NEXT) | instid1(VALU_DEP_3)
	v_add_co_u32 v3, vcc_lo, v3, v9
	v_add_co_ci_u32_e32 v4, vcc_lo, 0, v4, vcc_lo
	v_cmp_gt_i64_e32 vcc_lo, v[1:2], v[27:28]
	s_delay_alu instid0(VALU_DEP_3) | instskip(NEXT) | instid1(VALU_DEP_1)
	v_add_co_u32 v3, s0, v3, v10
	v_add_co_ci_u32_e64 v4, s0, 0, v4, s0
	v_cndmask_b32_e64 v7, 0, 1, vcc_lo
	s_delay_alu instid0(VALU_DEP_3) | instskip(NEXT) | instid1(VALU_DEP_3)
	v_add_co_u32 v3, vcc_lo, v3, v11
	v_add_co_ci_u32_e32 v4, vcc_lo, 0, v4, vcc_lo
	s_waitcnt lgkmcnt(1)
	v_cmp_gt_i64_e32 vcc_lo, v[1:2], v[29:30]
	s_delay_alu instid0(VALU_DEP_3) | instskip(NEXT) | instid1(VALU_DEP_1)
	v_add_co_u32 v3, s0, v3, v12
	v_add_co_ci_u32_e64 v4, s0, 0, v4, s0
	v_cndmask_b32_e64 v8, 0, 1, vcc_lo
	s_delay_alu instid0(VALU_DEP_3) | instskip(NEXT) | instid1(VALU_DEP_3)
	;; [unrolled: 17-line block ×3, first 2 shown]
	v_add_co_u32 v3, vcc_lo, v3, v8
	v_add_co_ci_u32_e32 v4, vcc_lo, 0, v4, vcc_lo
	v_cmp_gt_i64_e32 vcc_lo, v[1:2], v[35:36]
	s_delay_alu instid0(VALU_DEP_3) | instskip(NEXT) | instid1(VALU_DEP_1)
	v_add_co_u32 v3, s0, v3, v5
	v_add_co_ci_u32_e64 v4, s0, 0, v4, s0
	v_cndmask_b32_e64 v5, 0, 1, vcc_lo
	s_delay_alu instid0(VALU_DEP_3) | instskip(NEXT) | instid1(VALU_DEP_3)
	v_add_co_u32 v3, vcc_lo, v3, v6
	v_add_co_ci_u32_e32 v4, vcc_lo, 0, v4, vcc_lo
	s_delay_alu instid0(VALU_DEP_2) | instskip(NEXT) | instid1(VALU_DEP_2)
	v_add_co_u32 v3, vcc_lo, v3, v5
	v_add_co_ci_u32_e32 v4, vcc_lo, 0, v4, vcc_lo
	s_cbranch_scc1 .LBB131_130
; %bb.131:
	v_lshlrev_b32_e32 v5, 2, v0
	s_cmp_eq_u32 s33, 0
	v_lshlrev_b32_e32 v0, 5, v0
	s_cselect_b32 s0, 2, 1
	s_cselect_b32 s1, 1, 2
	v_or_b32_e32 v6, s0, v5
	v_or_b32_e32 v5, s1, v5
	v_add3_u32 v7, 0, v0, 0x400
	v_add3_u32 v0, 0, 0x400, v0
	v_lshlrev_b64 v[13:14], 3, v[3:4]
	v_lshlrev_b32_e32 v6, 3, v6
	v_lshlrev_b32_e32 v5, 3, v5
	s_delay_alu instid0(VALU_DEP_2) | instskip(NEXT) | instid1(VALU_DEP_2)
	v_add3_u32 v8, 0, v6, 0x400
	v_add3_u32 v11, 0, v5, 0x400
	ds_load_2addr_b32 v[5:6], v7 offset1:1
	ds_load_2addr_b32 v[9:10], v8 offset1:1
	;; [unrolled: 1-line block ×3, first 2 shown]
	ds_load_2addr_b32 v[11:12], v0 offset0:6 offset1:7
	v_add_co_u32 v0, vcc_lo, v1, s30
	v_add_co_ci_u32_e32 v1, vcc_lo, 0, v2, vcc_lo
	v_lshlrev_b64 v[2:3], 5, v[3:4]
	v_add_co_u32 v13, vcc_lo, s10, v13
	v_add_co_ci_u32_e32 v14, vcc_lo, s11, v14, vcc_lo
	s_delay_alu instid0(VALU_DEP_3) | instskip(NEXT) | instid1(VALU_DEP_4)
	v_add_co_u32 v2, vcc_lo, s34, v2
	v_add_co_ci_u32_e32 v3, vcc_lo, s35, v3, vcc_lo
	global_store_b64 v[13:14], v[0:1], off
	s_waitcnt lgkmcnt(1)
	global_store_b128 v[2:3], v[5:8], off
	s_waitcnt lgkmcnt(0)
	global_store_b128 v[2:3], v[9:12], off offset:16
.LBB131_132:
	s_nop 0
	s_sendmsg sendmsg(MSG_DEALLOC_VGPRS)
	s_endpgm
	.section	.rodata,"a",@progbits
	.p2align	6, 0x0
	.amdhsa_kernel _ZN9rocsparseL30bsrgemm_fill_block_per_row_2x2ILj256ELj16ELj128ELj137Ell21rocsparse_complex_numIfEEEv20rocsparse_direction_T4_S4_PKS4_S6_NS_24const_host_device_scalarIT5_EEPKT3_S6_PKS8_SC_S6_SE_S9_SC_S6_SE_SC_PS4_PS8_21rocsparse_index_base_SH_SH_SH_bbb
		.amdhsa_group_segment_fixed_size 0
		.amdhsa_private_segment_fixed_size 0
		.amdhsa_kernarg_size 172
		.amdhsa_user_sgpr_count 15
		.amdhsa_user_sgpr_dispatch_ptr 0
		.amdhsa_user_sgpr_queue_ptr 0
		.amdhsa_user_sgpr_kernarg_segment_ptr 1
		.amdhsa_user_sgpr_dispatch_id 0
		.amdhsa_user_sgpr_private_segment_size 0
		.amdhsa_wavefront_size32 1
		.amdhsa_uses_dynamic_stack 0
		.amdhsa_enable_private_segment 0
		.amdhsa_system_sgpr_workgroup_id_x 1
		.amdhsa_system_sgpr_workgroup_id_y 0
		.amdhsa_system_sgpr_workgroup_id_z 0
		.amdhsa_system_sgpr_workgroup_info 0
		.amdhsa_system_vgpr_workitem_id 0
		.amdhsa_next_free_vgpr 37
		.amdhsa_next_free_sgpr 52
		.amdhsa_reserve_vcc 1
		.amdhsa_float_round_mode_32 0
		.amdhsa_float_round_mode_16_64 0
		.amdhsa_float_denorm_mode_32 3
		.amdhsa_float_denorm_mode_16_64 3
		.amdhsa_dx10_clamp 1
		.amdhsa_ieee_mode 1
		.amdhsa_fp16_overflow 0
		.amdhsa_workgroup_processor_mode 1
		.amdhsa_memory_ordered 1
		.amdhsa_forward_progress 0
		.amdhsa_shared_vgpr_count 0
		.amdhsa_exception_fp_ieee_invalid_op 0
		.amdhsa_exception_fp_denorm_src 0
		.amdhsa_exception_fp_ieee_div_zero 0
		.amdhsa_exception_fp_ieee_overflow 0
		.amdhsa_exception_fp_ieee_underflow 0
		.amdhsa_exception_fp_ieee_inexact 0
		.amdhsa_exception_int_div_zero 0
	.end_amdhsa_kernel
	.section	.text._ZN9rocsparseL30bsrgemm_fill_block_per_row_2x2ILj256ELj16ELj128ELj137Ell21rocsparse_complex_numIfEEEv20rocsparse_direction_T4_S4_PKS4_S6_NS_24const_host_device_scalarIT5_EEPKT3_S6_PKS8_SC_S6_SE_S9_SC_S6_SE_SC_PS4_PS8_21rocsparse_index_base_SH_SH_SH_bbb,"axG",@progbits,_ZN9rocsparseL30bsrgemm_fill_block_per_row_2x2ILj256ELj16ELj128ELj137Ell21rocsparse_complex_numIfEEEv20rocsparse_direction_T4_S4_PKS4_S6_NS_24const_host_device_scalarIT5_EEPKT3_S6_PKS8_SC_S6_SE_S9_SC_S6_SE_SC_PS4_PS8_21rocsparse_index_base_SH_SH_SH_bbb,comdat
.Lfunc_end131:
	.size	_ZN9rocsparseL30bsrgemm_fill_block_per_row_2x2ILj256ELj16ELj128ELj137Ell21rocsparse_complex_numIfEEEv20rocsparse_direction_T4_S4_PKS4_S6_NS_24const_host_device_scalarIT5_EEPKT3_S6_PKS8_SC_S6_SE_S9_SC_S6_SE_SC_PS4_PS8_21rocsparse_index_base_SH_SH_SH_bbb, .Lfunc_end131-_ZN9rocsparseL30bsrgemm_fill_block_per_row_2x2ILj256ELj16ELj128ELj137Ell21rocsparse_complex_numIfEEEv20rocsparse_direction_T4_S4_PKS4_S6_NS_24const_host_device_scalarIT5_EEPKT3_S6_PKS8_SC_S6_SE_S9_SC_S6_SE_SC_PS4_PS8_21rocsparse_index_base_SH_SH_SH_bbb
                                        ; -- End function
	.section	.AMDGPU.csdata,"",@progbits
; Kernel info:
; codeLenInByte = 5124
; NumSgprs: 54
; NumVgprs: 37
; ScratchSize: 0
; MemoryBound: 0
; FloatMode: 240
; IeeeMode: 1
; LDSByteSize: 0 bytes/workgroup (compile time only)
; SGPRBlocks: 6
; VGPRBlocks: 4
; NumSGPRsForWavesPerEU: 54
; NumVGPRsForWavesPerEU: 37
; Occupancy: 16
; WaveLimiterHint : 1
; COMPUTE_PGM_RSRC2:SCRATCH_EN: 0
; COMPUTE_PGM_RSRC2:USER_SGPR: 15
; COMPUTE_PGM_RSRC2:TRAP_HANDLER: 0
; COMPUTE_PGM_RSRC2:TGID_X_EN: 1
; COMPUTE_PGM_RSRC2:TGID_Y_EN: 0
; COMPUTE_PGM_RSRC2:TGID_Z_EN: 0
; COMPUTE_PGM_RSRC2:TIDIG_COMP_CNT: 0
	.section	.text._ZN9rocsparseL30bsrgemm_fill_block_per_row_2x2ILj256ELj16ELj256ELj137Ell21rocsparse_complex_numIfEEEv20rocsparse_direction_T4_S4_PKS4_S6_NS_24const_host_device_scalarIT5_EEPKT3_S6_PKS8_SC_S6_SE_S9_SC_S6_SE_SC_PS4_PS8_21rocsparse_index_base_SH_SH_SH_bbb,"axG",@progbits,_ZN9rocsparseL30bsrgemm_fill_block_per_row_2x2ILj256ELj16ELj256ELj137Ell21rocsparse_complex_numIfEEEv20rocsparse_direction_T4_S4_PKS4_S6_NS_24const_host_device_scalarIT5_EEPKT3_S6_PKS8_SC_S6_SE_S9_SC_S6_SE_SC_PS4_PS8_21rocsparse_index_base_SH_SH_SH_bbb,comdat
	.globl	_ZN9rocsparseL30bsrgemm_fill_block_per_row_2x2ILj256ELj16ELj256ELj137Ell21rocsparse_complex_numIfEEEv20rocsparse_direction_T4_S4_PKS4_S6_NS_24const_host_device_scalarIT5_EEPKT3_S6_PKS8_SC_S6_SE_S9_SC_S6_SE_SC_PS4_PS8_21rocsparse_index_base_SH_SH_SH_bbb ; -- Begin function _ZN9rocsparseL30bsrgemm_fill_block_per_row_2x2ILj256ELj16ELj256ELj137Ell21rocsparse_complex_numIfEEEv20rocsparse_direction_T4_S4_PKS4_S6_NS_24const_host_device_scalarIT5_EEPKT3_S6_PKS8_SC_S6_SE_S9_SC_S6_SE_SC_PS4_PS8_21rocsparse_index_base_SH_SH_SH_bbb
	.p2align	8
	.type	_ZN9rocsparseL30bsrgemm_fill_block_per_row_2x2ILj256ELj16ELj256ELj137Ell21rocsparse_complex_numIfEEEv20rocsparse_direction_T4_S4_PKS4_S6_NS_24const_host_device_scalarIT5_EEPKT3_S6_PKS8_SC_S6_SE_S9_SC_S6_SE_SC_PS4_PS8_21rocsparse_index_base_SH_SH_SH_bbb,@function
_ZN9rocsparseL30bsrgemm_fill_block_per_row_2x2ILj256ELj16ELj256ELj137Ell21rocsparse_complex_numIfEEEv20rocsparse_direction_T4_S4_PKS4_S6_NS_24const_host_device_scalarIT5_EEPKT3_S6_PKS8_SC_S6_SE_S9_SC_S6_SE_SC_PS4_PS8_21rocsparse_index_base_SH_SH_SH_bbb: ; @_ZN9rocsparseL30bsrgemm_fill_block_per_row_2x2ILj256ELj16ELj256ELj137Ell21rocsparse_complex_numIfEEEv20rocsparse_direction_T4_S4_PKS4_S6_NS_24const_host_device_scalarIT5_EEPKT3_S6_PKS8_SC_S6_SE_S9_SC_S6_SE_SC_PS4_PS8_21rocsparse_index_base_SH_SH_SH_bbb
; %bb.0:
	s_mov_b32 s40, s15
	s_clause 0x6
	s_load_b32 s33, s[0:1], 0xa8
	s_load_b256 s[4:11], s[0:1], 0x70
	s_load_b256 s[12:19], s[0:1], 0x50
	s_load_b128 s[36:39], s[0:1], 0x18
	s_load_b256 s[20:27], s[0:1], 0x30
	s_load_b64 s[34:35], s[0:1], 0x90
	s_load_b128 s[28:31], s[0:1], 0x98
	s_mov_b32 s3, 0
	s_mov_b32 s44, 0
	s_waitcnt lgkmcnt(0)
	s_bitcmp1_b32 s33, 0
	s_cselect_b32 s46, -1, 0
	s_bitcmp1_b32 s33, 16
	s_cselect_b32 s2, -1, 0
	s_delay_alu instid0(SALU_CYCLE_1) | instskip(SKIP_2) | instid1(VALU_DEP_1)
	s_xor_b32 s41, s2, -1
	s_bitcmp0_b32 s33, 0
	v_cndmask_b32_e64 v1, 0, 1, s41
	v_cmp_ne_u32_e32 vcc_lo, 1, v1
	s_cbranch_scc1 .LBB132_5
; %bb.1:
	s_load_b64 s[2:3], s[0:1], 0x28
	s_and_b32 vcc_lo, exec_lo, vcc_lo
	s_waitcnt lgkmcnt(0)
	s_mov_b32 s44, s2
	s_cbranch_vccnz .LBB132_3
; %bb.2:
	s_load_b32 s44, s[2:3], 0x0
.LBB132_3:
	s_and_not1_b32 vcc_lo, exec_lo, s41
	s_cbranch_vccnz .LBB132_5
; %bb.4:
	s_load_b32 s3, s[2:3], 0x4
.LBB132_5:
	s_bitcmp1_b32 s33, 8
	s_mov_b32 s43, 0
	s_cselect_b32 s45, -1, 0
	s_bfe_u32 s2, s33, 0x10008
	s_mov_b32 s42, 0
	s_cmp_eq_u32 s2, 0
	s_cbranch_scc1 .LBB132_11
; %bb.6:
	v_cmp_ne_u32_e32 vcc_lo, 1, v1
	s_mov_b32 s42, s16
	s_cbranch_vccnz .LBB132_8
; %bb.7:
	s_load_b32 s42, s[16:17], 0x0
.LBB132_8:
	v_cmp_ne_u32_e32 vcc_lo, 1, v1
	s_cbranch_vccnz .LBB132_10
; %bb.9:
	s_load_b32 s17, s[16:17], 0x4
.LBB132_10:
	s_waitcnt lgkmcnt(0)
	s_mov_b32 s43, s17
.LBB132_11:
	s_load_b64 s[16:17], s[0:1], 0x10
	v_cmp_gt_u32_e64 s2, 0x100, v0
	v_lshl_add_u32 v22, v0, 3, 0
	s_delay_alu instid0(VALU_DEP_2)
	s_and_saveexec_b32 s33, s2
	s_cbranch_execz .LBB132_13
; %bb.12:
	s_waitcnt lgkmcnt(0)
	v_dual_mov_b32 v1, s16 :: v_dual_mov_b32 v2, s17
	ds_store_b64 v22, v[1:2]
.LBB132_13:
	s_or_b32 exec_lo, exec_lo, s33
	v_dual_mov_b32 v3, 0 :: v_dual_lshlrev_b32 v2, 3, v0
	v_or_b32_e32 v1, 0xffffff00, v0
	s_mov_b32 s33, 0
	s_delay_alu instid0(VALU_DEP_2)
	v_add3_u32 v2, v2, 0, 0x800
.LBB132_14:                             ; =>This Inner Loop Header: Depth=1
	s_delay_alu instid0(VALU_DEP_2) | instskip(SKIP_4) | instid1(SALU_CYCLE_1)
	v_add_nc_u32_e32 v1, 0x100, v1
	ds_store_2addr_b32 v2, v3, v3 offset1:1
	v_add_nc_u32_e32 v2, 0x800, v2
	v_cmp_lt_u32_e32 vcc_lo, 0x2ff, v1
	s_or_b32 s33, vcc_lo, s33
	s_and_not1_b32 exec_lo, exec_lo, s33
	s_cbranch_execnz .LBB132_14
; %bb.15:
	s_or_b32 exec_lo, exec_lo, s33
	s_cmp_lg_u64 s[38:39], 0
	s_mov_b32 s41, 0
	s_waitcnt lgkmcnt(0)
	s_barrier
	buffer_gl0_inv
	s_cbranch_scc0 .LBB132_17
; %bb.16:
	s_load_b64 s[36:37], s[36:37], 0x0
	s_waitcnt lgkmcnt(0)
	s_lshl_b64 s[36:37], s[36:37], 3
	s_delay_alu instid0(SALU_CYCLE_1) | instskip(SKIP_2) | instid1(SALU_CYCLE_1)
	s_add_u32 s33, s38, s36
	s_addc_u32 s38, s39, s37
	s_lshl_b64 s[36:37], s[40:41], 3
	s_add_u32 s36, s33, s36
	s_addc_u32 s37, s38, s37
	s_load_b64 s[40:41], s[36:37], 0x0
.LBB132_17:
	s_load_b32 s33, s[0:1], 0x0
	s_and_not1_b32 vcc_lo, exec_lo, s46
	s_cbranch_vccnz .LBB132_73
; %bb.18:
	s_waitcnt lgkmcnt(0)
	s_lshl_b64 s[0:1], s[40:41], 3
	v_lshrrev_b32_e32 v1, 4, v0
	s_add_u32 s0, s20, s0
	s_addc_u32 s1, s21, s1
	s_mov_b32 s21, 0
	s_load_b128 s[36:39], s[0:1], 0x0
	v_sub_co_u32 v1, s0, v1, s28
	s_delay_alu instid0(VALU_DEP_1) | instskip(SKIP_2) | instid1(VALU_DEP_2)
	v_sub_co_ci_u32_e64 v2, null, 0, 0, s0
	s_mov_b32 s20, exec_lo
	s_waitcnt lgkmcnt(0)
	v_add_co_u32 v1, vcc_lo, s36, v1
	s_delay_alu instid0(VALU_DEP_2)
	v_add_co_ci_u32_e32 v2, vcc_lo, s37, v2, vcc_lo
	s_sub_u32 s0, s38, s28
	s_subb_u32 s1, s39, 0
	s_delay_alu instid0(VALU_DEP_1) | instid1(SALU_CYCLE_1)
	v_cmpx_gt_i64_e64 s[0:1], v[1:2]
	s_cbranch_execz .LBB132_72
; %bb.19:
	v_and_b32_e32 v3, 15, v0
	s_cmp_eq_u32 s33, 0
	s_cselect_b32 s37, 1, 2
	s_delay_alu instid0(VALU_DEP_1) | instskip(NEXT) | instid1(VALU_DEP_1)
	v_sub_co_u32 v23, s36, v3, s29
	v_sub_co_ci_u32_e64 v24, null, 0, 0, s36
	s_cselect_b32 s36, 2, 1
	s_branch .LBB132_21
.LBB132_20:                             ;   in Loop: Header=BB132_21 Depth=1
	s_or_b32 exec_lo, exec_lo, s38
	v_add_co_u32 v1, vcc_lo, v1, 16
	v_add_co_ci_u32_e32 v2, vcc_lo, 0, v2, vcc_lo
	s_delay_alu instid0(VALU_DEP_1) | instskip(SKIP_1) | instid1(SALU_CYCLE_1)
	v_cmp_le_i64_e32 vcc_lo, s[0:1], v[1:2]
	s_or_b32 s21, vcc_lo, s21
	s_and_not1_b32 exec_lo, exec_lo, s21
	s_cbranch_execz .LBB132_72
.LBB132_21:                             ; =>This Loop Header: Depth=1
                                        ;     Child Loop BB132_24 Depth 2
                                        ;       Child Loop BB132_26 Depth 3
                                        ;       Child Loop BB132_38 Depth 3
	;; [unrolled: 1-line block ×4, first 2 shown]
	v_lshlrev_b64 v[3:4], 3, v[1:2]
	s_mov_b32 s38, exec_lo
	s_delay_alu instid0(VALU_DEP_1) | instskip(NEXT) | instid1(VALU_DEP_2)
	v_add_co_u32 v3, vcc_lo, s22, v3
	v_add_co_ci_u32_e32 v4, vcc_lo, s23, v4, vcc_lo
	global_load_b64 v[3:4], v[3:4], off
	s_waitcnt vmcnt(0)
	v_sub_co_u32 v3, vcc_lo, v3, s28
	v_subrev_co_ci_u32_e32 v4, vcc_lo, 0, v4, vcc_lo
	s_delay_alu instid0(VALU_DEP_1) | instskip(NEXT) | instid1(VALU_DEP_1)
	v_lshlrev_b64 v[3:4], 3, v[3:4]
	v_add_co_u32 v3, vcc_lo, s26, v3
	s_delay_alu instid0(VALU_DEP_2)
	v_add_co_ci_u32_e32 v4, vcc_lo, s27, v4, vcc_lo
	global_load_b128 v[5:8], v[3:4], off
	s_waitcnt vmcnt(0)
	v_sub_co_u32 v3, vcc_lo, v7, s29
	v_subrev_co_ci_u32_e32 v4, vcc_lo, 0, v8, vcc_lo
	v_add_co_u32 v5, vcc_lo, v5, v23
	v_add_co_ci_u32_e32 v6, vcc_lo, v6, v24, vcc_lo
	s_delay_alu instid0(VALU_DEP_1)
	v_cmpx_lt_i64_e64 v[5:6], v[3:4]
	s_cbranch_execz .LBB132_20
; %bb.22:                               ;   in Loop: Header=BB132_21 Depth=1
	v_lshlrev_b64 v[7:8], 2, v[1:2]
	v_lshlrev_b64 v[9:10], 5, v[1:2]
	s_mov_b32 s39, 0
	s_delay_alu instid0(VALU_DEP_2) | instskip(NEXT) | instid1(VALU_DEP_3)
	v_or_b32_e32 v12, 0, v8
	v_or_b32_e32 v11, s36, v7
	;; [unrolled: 1-line block ×4, first 2 shown]
	v_add_co_u32 v9, vcc_lo, s24, v9
	s_delay_alu instid0(VALU_DEP_4) | instskip(SKIP_1) | instid1(VALU_DEP_4)
	v_lshlrev_b64 v[11:12], 3, v[11:12]
	v_add_co_ci_u32_e32 v10, vcc_lo, s25, v10, vcc_lo
	v_lshlrev_b64 v[7:8], 3, v[7:8]
	global_load_b64 v[13:14], v[9:10], off
	v_add_co_u32 v11, vcc_lo, s24, v11
	v_add_co_ci_u32_e32 v12, vcc_lo, s25, v12, vcc_lo
	v_add_co_u32 v7, vcc_lo, s24, v7
	v_add_co_ci_u32_e32 v8, vcc_lo, s25, v8, vcc_lo
	s_clause 0x2
	global_load_b64 v[11:12], v[11:12], off
	global_load_b64 v[7:8], v[7:8], off
	global_load_b64 v[9:10], v[9:10], off offset:24
	s_waitcnt vmcnt(3)
	v_mul_f32_e64 v25, v14, -s3
	s_delay_alu instid0(VALU_DEP_1) | instskip(NEXT) | instid1(VALU_DEP_1)
	v_dual_mul_f32 v26, s44, v14 :: v_dual_fmac_f32 v25, s44, v13
	v_fmac_f32_e32 v26, s3, v13
	s_waitcnt vmcnt(2)
	v_mul_f32_e64 v27, v12, -s3
	s_waitcnt vmcnt(0)
	v_dual_mul_f32 v28, s44, v12 :: v_dual_mul_f32 v29, s44, v10
	v_mul_f32_e64 v30, v10, -s3
	v_mul_f32_e64 v32, v8, -s3
	v_fmac_f32_e32 v27, s44, v11
	s_delay_alu instid0(VALU_DEP_4) | instskip(NEXT) | instid1(VALU_DEP_3)
	v_dual_mul_f32 v31, s44, v8 :: v_dual_fmac_f32 v28, s3, v11
	v_dual_fmac_f32 v29, s3, v9 :: v_dual_fmac_f32 v32, s44, v7
	s_delay_alu instid0(VALU_DEP_2)
	v_dual_fmac_f32 v30, s44, v9 :: v_dual_fmac_f32 v31, s3, v7
	s_branch .LBB132_24
.LBB132_23:                             ;   in Loop: Header=BB132_24 Depth=2
	s_or_b32 exec_lo, exec_lo, s46
	v_add_co_u32 v5, vcc_lo, v5, 16
	v_add_co_ci_u32_e32 v6, vcc_lo, 0, v6, vcc_lo
	s_delay_alu instid0(VALU_DEP_1) | instskip(SKIP_1) | instid1(SALU_CYCLE_1)
	v_cmp_ge_i64_e32 vcc_lo, v[5:6], v[3:4]
	s_or_b32 s39, vcc_lo, s39
	s_and_not1_b32 exec_lo, exec_lo, s39
	s_cbranch_execz .LBB132_20
.LBB132_24:                             ;   Parent Loop BB132_21 Depth=1
                                        ; =>  This Loop Header: Depth=2
                                        ;       Child Loop BB132_26 Depth 3
                                        ;       Child Loop BB132_38 Depth 3
	;; [unrolled: 1-line block ×4, first 2 shown]
	v_lshlrev_b64 v[7:8], 2, v[5:6]
	v_lshlrev_b64 v[11:12], 3, v[5:6]
	;; [unrolled: 1-line block ×3, first 2 shown]
	s_mov_b32 s46, 0
	s_delay_alu instid0(VALU_DEP_3) | instskip(NEXT) | instid1(VALU_DEP_4)
	v_or_b32_e32 v10, 0, v8
	v_or_b32_e32 v9, s36, v7
	s_delay_alu instid0(VALU_DEP_4) | instskip(SKIP_1) | instid1(VALU_DEP_3)
	v_add_co_u32 v11, vcc_lo, s12, v11
	v_add_co_ci_u32_e32 v12, vcc_lo, s13, v12, vcc_lo
	v_lshlrev_b64 v[9:10], 3, v[9:10]
	v_or_b32_e32 v8, 0, v8
	v_or_b32_e32 v7, s37, v7
	s_delay_alu instid0(VALU_DEP_3) | instskip(NEXT) | instid1(VALU_DEP_4)
	v_add_co_u32 v9, vcc_lo, s14, v9
	v_add_co_ci_u32_e32 v10, vcc_lo, s15, v10, vcc_lo
	s_delay_alu instid0(VALU_DEP_3)
	v_lshlrev_b64 v[7:8], 3, v[7:8]
	global_load_b64 v[18:19], v[11:12], off
	global_load_b64 v[16:17], v[9:10], off
	v_add_co_u32 v12, vcc_lo, s14, v13
	v_add_co_ci_u32_e32 v13, vcc_lo, s15, v14, vcc_lo
	v_add_co_u32 v7, vcc_lo, s14, v7
	v_add_co_ci_u32_e32 v8, vcc_lo, s15, v8, vcc_lo
	s_clause 0x2
	global_load_b64 v[14:15], v[12:13], off
	global_load_b64 v[10:11], v[7:8], off
	global_load_b64 v[12:13], v[12:13], off offset:24
	s_waitcnt vmcnt(4)
	v_sub_co_u32 v7, vcc_lo, v18, s29
	s_waitcnt vmcnt(3)
	v_mul_f32_e64 v18, v17, -v31
	v_subrev_co_ci_u32_e32 v8, vcc_lo, 0, v19, vcc_lo
	s_delay_alu instid0(VALU_DEP_3) | instskip(NEXT) | instid1(VALU_DEP_3)
	v_mul_lo_u32 v9, 0x89, v7
	v_fmac_f32_e32 v18, v32, v16
	s_waitcnt vmcnt(2)
	s_delay_alu instid0(VALU_DEP_1) | instskip(NEXT) | instid1(VALU_DEP_3)
	v_dual_mul_f32 v33, v32, v17 :: v_dual_fmac_f32 v18, v25, v14
	v_and_b32_e32 v9, 0xff, v9
	s_delay_alu instid0(VALU_DEP_2) | instskip(NEXT) | instid1(VALU_DEP_3)
	v_fmac_f32_e32 v33, v31, v16
	v_fma_f32 v34, -v26, v15, v18
	s_waitcnt vmcnt(1)
	s_delay_alu instid0(VALU_DEP_3) | instskip(NEXT) | instid1(VALU_DEP_3)
	v_dual_mov_b32 v19, v10 :: v_dual_mov_b32 v18, v9
	v_fmac_f32_e32 v33, v26, v14
	s_delay_alu instid0(VALU_DEP_1)
	v_fmac_f32_e32 v33, v25, v15
	s_branch .LBB132_26
.LBB132_25:                             ;   in Loop: Header=BB132_26 Depth=3
	s_or_b32 exec_lo, exec_lo, s47
	s_xor_b32 s47, s48, -1
	s_delay_alu instid0(SALU_CYCLE_1) | instskip(NEXT) | instid1(SALU_CYCLE_1)
	s_and_b32 s47, exec_lo, s47
	s_or_b32 s46, s47, s46
	s_delay_alu instid0(SALU_CYCLE_1)
	s_and_not1_b32 exec_lo, exec_lo, s46
	s_cbranch_execz .LBB132_36
.LBB132_26:                             ;   Parent Loop BB132_21 Depth=1
                                        ;     Parent Loop BB132_24 Depth=2
                                        ; =>    This Inner Loop Header: Depth=3
	s_delay_alu instid0(VALU_DEP_3)
	v_lshl_add_u32 v19, v18, 3, 0
	s_mov_b32 s47, exec_lo
                                        ; implicit-def: $sgpr48
	ds_load_b64 v[20:21], v19
	s_waitcnt lgkmcnt(0)
	v_cmpx_ne_u64_e64 v[20:21], v[7:8]
	s_xor_b32 s47, exec_lo, s47
	s_cbranch_execz .LBB132_34
; %bb.27:                               ;   in Loop: Header=BB132_26 Depth=3
	s_mov_b32 s49, exec_lo
                                        ; implicit-def: $sgpr48
	v_cmpx_ne_u64_e64 s[16:17], v[20:21]
	s_xor_b32 s49, exec_lo, s49
; %bb.28:                               ;   in Loop: Header=BB132_26 Depth=3
	v_add_nc_u32_e32 v18, 1, v18
	s_mov_b32 s48, -1
                                        ; implicit-def: $vgpr19
	s_delay_alu instid0(VALU_DEP_1)
	v_and_b32_e32 v18, 0xff, v18
; %bb.29:                               ;   in Loop: Header=BB132_26 Depth=3
	s_and_not1_saveexec_b32 s49, s49
	s_cbranch_execz .LBB132_33
; %bb.30:                               ;   in Loop: Header=BB132_26 Depth=3
	v_dual_mov_b32 v21, s17 :: v_dual_mov_b32 v20, s16
	s_mov_b32 s51, -1
	s_mov_b32 s50, exec_lo
	ds_cmpstore_rtn_b64 v[20:21], v19, v[7:8], v[20:21]
	s_waitcnt lgkmcnt(0)
	v_cmpx_eq_u64_e64 s[16:17], v[20:21]
	s_cbranch_execz .LBB132_32
; %bb.31:                               ;   in Loop: Header=BB132_26 Depth=3
	v_mad_u64_u32 v[20:21], null, v18, 24, v[19:20]
	s_xor_b32 s51, exec_lo, -1
	ds_add_f32 v20, v34 offset:2048
	ds_add_f32 v20, v33 offset:2052
.LBB132_32:                             ;   in Loop: Header=BB132_26 Depth=3
	s_or_b32 exec_lo, exec_lo, s50
	s_delay_alu instid0(SALU_CYCLE_1) | instskip(SKIP_1) | instid1(SALU_CYCLE_1)
	s_and_not1_b32 s48, s48, exec_lo
	s_and_b32 s50, s51, exec_lo
	s_or_b32 s48, s48, s50
.LBB132_33:                             ;   in Loop: Header=BB132_26 Depth=3
	s_or_b32 exec_lo, exec_lo, s49
	s_delay_alu instid0(SALU_CYCLE_1)
	s_and_b32 s48, s48, exec_lo
                                        ; implicit-def: $vgpr19
.LBB132_34:                             ;   in Loop: Header=BB132_26 Depth=3
	s_and_not1_saveexec_b32 s47, s47
	s_cbranch_execz .LBB132_25
; %bb.35:                               ;   in Loop: Header=BB132_26 Depth=3
	v_mad_u64_u32 v[20:21], null, v18, 24, v[19:20]
	s_and_not1_b32 s48, s48, exec_lo
	ds_add_f32 v20, v34 offset:2048
	ds_add_f32 v20, v33 offset:2052
	s_branch .LBB132_25
.LBB132_36:                             ;   in Loop: Header=BB132_24 Depth=2
	s_or_b32 exec_lo, exec_lo, s46
	s_waitcnt vmcnt(0)
	v_mul_f32_e64 v18, v13, -v31
	s_mov_b32 s46, 0
	s_delay_alu instid0(VALU_DEP_1) | instskip(NEXT) | instid1(VALU_DEP_1)
	v_fmac_f32_e32 v18, v32, v12
	v_dual_mul_f32 v33, v32, v13 :: v_dual_fmac_f32 v18, v25, v10
	s_delay_alu instid0(VALU_DEP_1) | instskip(NEXT) | instid1(VALU_DEP_2)
	v_fmac_f32_e32 v33, v31, v12
	v_fma_f32 v34, -v26, v11, v18
	v_dual_mov_b32 v19, v10 :: v_dual_mov_b32 v18, v9
	s_delay_alu instid0(VALU_DEP_3) | instskip(NEXT) | instid1(VALU_DEP_1)
	v_fmac_f32_e32 v33, v26, v10
	v_fmac_f32_e32 v33, v25, v11
	s_branch .LBB132_38
.LBB132_37:                             ;   in Loop: Header=BB132_38 Depth=3
	s_or_b32 exec_lo, exec_lo, s47
	s_xor_b32 s47, s48, -1
	s_delay_alu instid0(SALU_CYCLE_1) | instskip(NEXT) | instid1(SALU_CYCLE_1)
	s_and_b32 s47, exec_lo, s47
	s_or_b32 s46, s47, s46
	s_delay_alu instid0(SALU_CYCLE_1)
	s_and_not1_b32 exec_lo, exec_lo, s46
	s_cbranch_execz .LBB132_48
.LBB132_38:                             ;   Parent Loop BB132_21 Depth=1
                                        ;     Parent Loop BB132_24 Depth=2
                                        ; =>    This Inner Loop Header: Depth=3
	s_delay_alu instid0(VALU_DEP_3)
	v_lshl_add_u32 v19, v18, 3, 0
	s_mov_b32 s47, exec_lo
                                        ; implicit-def: $sgpr48
	ds_load_b64 v[20:21], v19
	s_waitcnt lgkmcnt(0)
	v_cmpx_ne_u64_e64 v[20:21], v[7:8]
	s_xor_b32 s47, exec_lo, s47
	s_cbranch_execz .LBB132_46
; %bb.39:                               ;   in Loop: Header=BB132_38 Depth=3
	s_mov_b32 s49, exec_lo
                                        ; implicit-def: $sgpr48
	v_cmpx_ne_u64_e64 s[16:17], v[20:21]
	s_xor_b32 s49, exec_lo, s49
; %bb.40:                               ;   in Loop: Header=BB132_38 Depth=3
	v_add_nc_u32_e32 v18, 1, v18
	s_mov_b32 s48, -1
                                        ; implicit-def: $vgpr19
	s_delay_alu instid0(VALU_DEP_1)
	v_and_b32_e32 v18, 0xff, v18
; %bb.41:                               ;   in Loop: Header=BB132_38 Depth=3
	s_and_not1_saveexec_b32 s49, s49
	s_cbranch_execz .LBB132_45
; %bb.42:                               ;   in Loop: Header=BB132_38 Depth=3
	v_dual_mov_b32 v21, s17 :: v_dual_mov_b32 v20, s16
	s_mov_b32 s51, -1
	s_mov_b32 s50, exec_lo
	ds_cmpstore_rtn_b64 v[20:21], v19, v[7:8], v[20:21]
	s_waitcnt lgkmcnt(0)
	v_cmpx_eq_u64_e64 s[16:17], v[20:21]
	s_cbranch_execz .LBB132_44
; %bb.43:                               ;   in Loop: Header=BB132_38 Depth=3
	v_mad_u64_u32 v[20:21], null, v18, 24, v[19:20]
	s_xor_b32 s51, exec_lo, -1
	ds_add_f32 v20, v34 offset:2056
	ds_add_f32 v20, v33 offset:2060
.LBB132_44:                             ;   in Loop: Header=BB132_38 Depth=3
	s_or_b32 exec_lo, exec_lo, s50
	s_delay_alu instid0(SALU_CYCLE_1) | instskip(SKIP_1) | instid1(SALU_CYCLE_1)
	s_and_not1_b32 s48, s48, exec_lo
	s_and_b32 s50, s51, exec_lo
	s_or_b32 s48, s48, s50
.LBB132_45:                             ;   in Loop: Header=BB132_38 Depth=3
	s_or_b32 exec_lo, exec_lo, s49
	s_delay_alu instid0(SALU_CYCLE_1)
	s_and_b32 s48, s48, exec_lo
                                        ; implicit-def: $vgpr19
.LBB132_46:                             ;   in Loop: Header=BB132_38 Depth=3
	s_and_not1_saveexec_b32 s47, s47
	s_cbranch_execz .LBB132_37
; %bb.47:                               ;   in Loop: Header=BB132_38 Depth=3
	v_mad_u64_u32 v[20:21], null, v18, 24, v[19:20]
	s_and_not1_b32 s48, s48, exec_lo
	ds_add_f32 v20, v34 offset:2056
	ds_add_f32 v20, v33 offset:2060
	s_branch .LBB132_37
.LBB132_48:                             ;   in Loop: Header=BB132_24 Depth=2
	s_or_b32 exec_lo, exec_lo, s46
	v_mul_f32_e64 v19, v17, -v29
	s_mov_b32 s46, 0
	s_delay_alu instid0(VALU_DEP_1) | instskip(NEXT) | instid1(VALU_DEP_1)
	v_fmac_f32_e32 v19, v30, v16
	v_dual_mul_f32 v18, v30, v17 :: v_dual_fmac_f32 v19, v27, v14
	s_delay_alu instid0(VALU_DEP_1) | instskip(NEXT) | instid1(VALU_DEP_2)
	v_fmac_f32_e32 v18, v29, v16
	v_fma_f32 v19, -v28, v15, v19
	s_delay_alu instid0(VALU_DEP_2) | instskip(NEXT) | instid1(VALU_DEP_1)
	v_fmac_f32_e32 v18, v28, v14
	v_dual_fmac_f32 v18, v27, v15 :: v_dual_mov_b32 v15, v10
	v_mov_b32_e32 v14, v9
	s_branch .LBB132_50
.LBB132_49:                             ;   in Loop: Header=BB132_50 Depth=3
	s_or_b32 exec_lo, exec_lo, s47
	s_xor_b32 s47, s48, -1
	s_delay_alu instid0(SALU_CYCLE_1) | instskip(NEXT) | instid1(SALU_CYCLE_1)
	s_and_b32 s47, exec_lo, s47
	s_or_b32 s46, s47, s46
	s_delay_alu instid0(SALU_CYCLE_1)
	s_and_not1_b32 exec_lo, exec_lo, s46
	s_cbranch_execz .LBB132_60
.LBB132_50:                             ;   Parent Loop BB132_21 Depth=1
                                        ;     Parent Loop BB132_24 Depth=2
                                        ; =>    This Inner Loop Header: Depth=3
	s_delay_alu instid0(VALU_DEP_1)
	v_lshl_add_u32 v15, v14, 3, 0
	s_mov_b32 s47, exec_lo
                                        ; implicit-def: $sgpr48
	ds_load_b64 v[16:17], v15
	s_waitcnt lgkmcnt(0)
	v_cmpx_ne_u64_e64 v[16:17], v[7:8]
	s_xor_b32 s47, exec_lo, s47
	s_cbranch_execz .LBB132_58
; %bb.51:                               ;   in Loop: Header=BB132_50 Depth=3
	s_mov_b32 s49, exec_lo
                                        ; implicit-def: $sgpr48
	v_cmpx_ne_u64_e64 s[16:17], v[16:17]
	s_xor_b32 s49, exec_lo, s49
; %bb.52:                               ;   in Loop: Header=BB132_50 Depth=3
	v_add_nc_u32_e32 v14, 1, v14
	s_mov_b32 s48, -1
                                        ; implicit-def: $vgpr15
	s_delay_alu instid0(VALU_DEP_1)
	v_and_b32_e32 v14, 0xff, v14
; %bb.53:                               ;   in Loop: Header=BB132_50 Depth=3
	s_and_not1_saveexec_b32 s49, s49
	s_cbranch_execz .LBB132_57
; %bb.54:                               ;   in Loop: Header=BB132_50 Depth=3
	v_dual_mov_b32 v16, s16 :: v_dual_mov_b32 v17, s17
	s_mov_b32 s51, -1
	s_mov_b32 s50, exec_lo
	ds_cmpstore_rtn_b64 v[16:17], v15, v[7:8], v[16:17]
	s_waitcnt lgkmcnt(0)
	v_cmpx_eq_u64_e64 s[16:17], v[16:17]
	s_cbranch_execz .LBB132_56
; %bb.55:                               ;   in Loop: Header=BB132_50 Depth=3
	v_mad_u64_u32 v[16:17], null, v14, 24, v[15:16]
	s_xor_b32 s51, exec_lo, -1
	ds_add_f32 v16, v19 offset:2064
	ds_add_f32 v16, v18 offset:2068
.LBB132_56:                             ;   in Loop: Header=BB132_50 Depth=3
	s_or_b32 exec_lo, exec_lo, s50
	s_delay_alu instid0(SALU_CYCLE_1) | instskip(SKIP_1) | instid1(SALU_CYCLE_1)
	s_and_not1_b32 s48, s48, exec_lo
	s_and_b32 s50, s51, exec_lo
	s_or_b32 s48, s48, s50
.LBB132_57:                             ;   in Loop: Header=BB132_50 Depth=3
	s_or_b32 exec_lo, exec_lo, s49
	s_delay_alu instid0(SALU_CYCLE_1)
	s_and_b32 s48, s48, exec_lo
                                        ; implicit-def: $vgpr15
.LBB132_58:                             ;   in Loop: Header=BB132_50 Depth=3
	s_and_not1_saveexec_b32 s47, s47
	s_cbranch_execz .LBB132_49
; %bb.59:                               ;   in Loop: Header=BB132_50 Depth=3
	v_mad_u64_u32 v[16:17], null, v14, 24, v[15:16]
	s_and_not1_b32 s48, s48, exec_lo
	ds_add_f32 v16, v19 offset:2064
	ds_add_f32 v16, v18 offset:2068
	s_branch .LBB132_49
.LBB132_60:                             ;   in Loop: Header=BB132_24 Depth=2
	s_or_b32 exec_lo, exec_lo, s46
	v_mul_f32_e64 v14, v13, -v29
	s_mov_b32 s46, 0
	s_delay_alu instid0(VALU_DEP_1) | instskip(NEXT) | instid1(VALU_DEP_1)
	v_fmac_f32_e32 v14, v30, v12
	v_dual_mul_f32 v13, v30, v13 :: v_dual_fmac_f32 v14, v27, v10
	s_delay_alu instid0(VALU_DEP_1) | instskip(NEXT) | instid1(VALU_DEP_2)
	v_fmac_f32_e32 v13, v29, v12
	v_fma_f32 v14, -v28, v11, v14
	s_delay_alu instid0(VALU_DEP_2) | instskip(NEXT) | instid1(VALU_DEP_1)
	v_fmac_f32_e32 v13, v28, v10
	v_fmac_f32_e32 v13, v27, v11
	s_branch .LBB132_62
.LBB132_61:                             ;   in Loop: Header=BB132_62 Depth=3
	s_or_b32 exec_lo, exec_lo, s47
	s_xor_b32 s47, s48, -1
	s_delay_alu instid0(SALU_CYCLE_1) | instskip(NEXT) | instid1(SALU_CYCLE_1)
	s_and_b32 s47, exec_lo, s47
	s_or_b32 s46, s47, s46
	s_delay_alu instid0(SALU_CYCLE_1)
	s_and_not1_b32 exec_lo, exec_lo, s46
	s_cbranch_execz .LBB132_23
.LBB132_62:                             ;   Parent Loop BB132_21 Depth=1
                                        ;     Parent Loop BB132_24 Depth=2
                                        ; =>    This Inner Loop Header: Depth=3
	v_lshl_add_u32 v10, v9, 3, 0
	s_mov_b32 s47, exec_lo
                                        ; implicit-def: $sgpr48
	ds_load_b64 v[11:12], v10
	s_waitcnt lgkmcnt(0)
	v_cmpx_ne_u64_e64 v[11:12], v[7:8]
	s_xor_b32 s47, exec_lo, s47
	s_cbranch_execz .LBB132_70
; %bb.63:                               ;   in Loop: Header=BB132_62 Depth=3
	s_mov_b32 s49, exec_lo
                                        ; implicit-def: $sgpr48
	v_cmpx_ne_u64_e64 s[16:17], v[11:12]
	s_xor_b32 s49, exec_lo, s49
; %bb.64:                               ;   in Loop: Header=BB132_62 Depth=3
	v_add_nc_u32_e32 v9, 1, v9
	s_mov_b32 s48, -1
                                        ; implicit-def: $vgpr10
	s_delay_alu instid0(VALU_DEP_1)
	v_and_b32_e32 v9, 0xff, v9
; %bb.65:                               ;   in Loop: Header=BB132_62 Depth=3
	s_and_not1_saveexec_b32 s49, s49
	s_cbranch_execz .LBB132_69
; %bb.66:                               ;   in Loop: Header=BB132_62 Depth=3
	v_dual_mov_b32 v11, s16 :: v_dual_mov_b32 v12, s17
	s_mov_b32 s51, -1
	s_mov_b32 s50, exec_lo
	ds_cmpstore_rtn_b64 v[11:12], v10, v[7:8], v[11:12]
	s_waitcnt lgkmcnt(0)
	v_cmpx_eq_u64_e64 s[16:17], v[11:12]
	s_cbranch_execz .LBB132_68
; %bb.67:                               ;   in Loop: Header=BB132_62 Depth=3
	v_mad_u64_u32 v[11:12], null, v9, 24, v[10:11]
	s_xor_b32 s51, exec_lo, -1
	ds_add_f32 v11, v14 offset:2072
	ds_add_f32 v11, v13 offset:2076
.LBB132_68:                             ;   in Loop: Header=BB132_62 Depth=3
	s_or_b32 exec_lo, exec_lo, s50
	s_delay_alu instid0(SALU_CYCLE_1) | instskip(SKIP_1) | instid1(SALU_CYCLE_1)
	s_and_not1_b32 s48, s48, exec_lo
	s_and_b32 s50, s51, exec_lo
	s_or_b32 s48, s48, s50
.LBB132_69:                             ;   in Loop: Header=BB132_62 Depth=3
	s_or_b32 exec_lo, exec_lo, s49
	s_delay_alu instid0(SALU_CYCLE_1)
	s_and_b32 s48, s48, exec_lo
                                        ; implicit-def: $vgpr10
.LBB132_70:                             ;   in Loop: Header=BB132_62 Depth=3
	s_and_not1_saveexec_b32 s47, s47
	s_cbranch_execz .LBB132_61
; %bb.71:                               ;   in Loop: Header=BB132_62 Depth=3
	v_mad_u64_u32 v[11:12], null, v9, 24, v[10:11]
	s_and_not1_b32 s48, s48, exec_lo
	ds_add_f32 v11, v14 offset:2072
	ds_add_f32 v11, v13 offset:2076
	s_branch .LBB132_61
.LBB132_72:
	s_or_b32 exec_lo, exec_lo, s20
.LBB132_73:
	s_delay_alu instid0(SALU_CYCLE_1)
	s_and_not1_b32 vcc_lo, exec_lo, s45
	s_waitcnt lgkmcnt(0)
	s_barrier
	buffer_gl0_inv
	s_cbranch_vccnz .LBB132_126
; %bb.74:
	s_lshl_b64 s[0:1], s[40:41], 3
	s_mov_b32 s3, 0
	s_add_u32 s0, s18, s0
	s_addc_u32 s1, s19, s1
	s_load_b128 s[12:15], s[0:1], 0x0
	v_sub_co_u32 v1, s0, v0, s31
	s_delay_alu instid0(VALU_DEP_1) | instskip(SKIP_1) | instid1(VALU_DEP_2)
	v_sub_co_ci_u32_e64 v2, null, 0, 0, s0
	s_waitcnt lgkmcnt(0)
	v_add_co_u32 v1, vcc_lo, s12, v1
	s_delay_alu instid0(VALU_DEP_2) | instskip(SKIP_3) | instid1(VALU_DEP_1)
	v_add_co_ci_u32_e32 v2, vcc_lo, s13, v2, vcc_lo
	s_sub_u32 s0, s14, s31
	s_subb_u32 s1, s15, 0
	s_mov_b32 s12, exec_lo
	v_cmpx_gt_i64_e64 s[0:1], v[1:2]
	s_cbranch_execz .LBB132_125
; %bb.75:
	s_cmp_eq_u32 s33, 0
	s_mov_b32 s13, s31
	s_cselect_b32 s14, 1, 2
	s_cselect_b32 s15, 2, 1
	s_branch .LBB132_77
.LBB132_76:                             ;   in Loop: Header=BB132_77 Depth=1
	s_or_b32 exec_lo, exec_lo, s18
	v_add_co_u32 v1, vcc_lo, 0x100, v1
	v_add_co_ci_u32_e32 v2, vcc_lo, 0, v2, vcc_lo
	s_delay_alu instid0(VALU_DEP_1) | instskip(SKIP_1) | instid1(SALU_CYCLE_1)
	v_cmp_le_i64_e32 vcc_lo, s[0:1], v[1:2]
	s_or_b32 s3, vcc_lo, s3
	s_and_not1_b32 exec_lo, exec_lo, s3
	s_cbranch_execz .LBB132_125
.LBB132_77:                             ; =>This Loop Header: Depth=1
                                        ;     Child Loop BB132_79 Depth 2
                                        ;     Child Loop BB132_91 Depth 2
	;; [unrolled: 1-line block ×4, first 2 shown]
	v_lshlrev_b64 v[3:4], 3, v[1:2]
	v_lshlrev_b64 v[5:6], 2, v[1:2]
	;; [unrolled: 1-line block ×3, first 2 shown]
	s_mov_b32 s18, 0
	s_delay_alu instid0(VALU_DEP_3) | instskip(NEXT) | instid1(VALU_DEP_4)
	v_add_co_u32 v3, vcc_lo, s4, v3
	v_add_co_ci_u32_e32 v4, vcc_lo, s5, v4, vcc_lo
	s_delay_alu instid0(VALU_DEP_4)
	v_or_b32_e32 v10, 0, v6
	v_or_b32_e32 v9, s14, v5
	;; [unrolled: 1-line block ×3, first 2 shown]
	global_load_b64 v[3:4], v[3:4], off
	v_or_b32_e32 v5, s15, v5
	v_add_co_u32 v7, vcc_lo, s6, v7
	v_lshlrev_b64 v[9:10], 3, v[9:10]
	v_add_co_ci_u32_e32 v8, vcc_lo, s7, v8, vcc_lo
	s_delay_alu instid0(VALU_DEP_4) | instskip(NEXT) | instid1(VALU_DEP_3)
	v_lshlrev_b64 v[5:6], 3, v[5:6]
	v_add_co_u32 v9, vcc_lo, s6, v9
	global_load_b64 v[12:13], v[7:8], off
	v_add_co_ci_u32_e32 v10, vcc_lo, s7, v10, vcc_lo
	v_add_co_u32 v14, vcc_lo, s6, v5
	v_add_co_ci_u32_e32 v15, vcc_lo, s7, v6, vcc_lo
	s_clause 0x2
	global_load_b64 v[6:7], v[7:8], off offset:24
	global_load_b64 v[10:11], v[9:10], off
	global_load_b64 v[8:9], v[14:15], off
	s_waitcnt vmcnt(4)
	v_sub_co_u32 v3, vcc_lo, v3, s13
	v_subrev_co_ci_u32_e32 v4, vcc_lo, 0, v4, vcc_lo
	s_delay_alu instid0(VALU_DEP_2) | instskip(SKIP_3) | instid1(VALU_DEP_2)
	v_mul_lo_u32 v5, 0x89, v3
	s_waitcnt vmcnt(3)
	v_mul_f32_e64 v16, v13, -s43
	v_mul_f32_e32 v17, s42, v13
	v_dual_fmac_f32 v16, s42, v12 :: v_dual_and_b32 v5, 0xff, v5
	s_delay_alu instid0(VALU_DEP_2) | instskip(SKIP_1) | instid1(VALU_DEP_2)
	v_fmac_f32_e32 v17, s43, v12
	s_waitcnt vmcnt(2)
	v_dual_mov_b32 v13, v6 :: v_dual_mov_b32 v12, v5
	s_branch .LBB132_79
.LBB132_78:                             ;   in Loop: Header=BB132_79 Depth=2
	s_or_b32 exec_lo, exec_lo, s19
	s_xor_b32 s19, s20, -1
	s_delay_alu instid0(SALU_CYCLE_1) | instskip(NEXT) | instid1(SALU_CYCLE_1)
	s_and_b32 s19, exec_lo, s19
	s_or_b32 s18, s19, s18
	s_delay_alu instid0(SALU_CYCLE_1)
	s_and_not1_b32 exec_lo, exec_lo, s18
	s_cbranch_execz .LBB132_89
.LBB132_79:                             ;   Parent Loop BB132_77 Depth=1
                                        ; =>  This Inner Loop Header: Depth=2
	s_delay_alu instid0(VALU_DEP_1)
	v_lshl_add_u32 v13, v12, 3, 0
	s_mov_b32 s19, exec_lo
                                        ; implicit-def: $sgpr20
	ds_load_b64 v[14:15], v13
	s_waitcnt lgkmcnt(0)
	v_cmpx_ne_u64_e64 v[14:15], v[3:4]
	s_xor_b32 s19, exec_lo, s19
	s_cbranch_execz .LBB132_87
; %bb.80:                               ;   in Loop: Header=BB132_79 Depth=2
	s_mov_b32 s21, exec_lo
                                        ; implicit-def: $sgpr20
	v_cmpx_ne_u64_e64 s[16:17], v[14:15]
	s_xor_b32 s21, exec_lo, s21
; %bb.81:                               ;   in Loop: Header=BB132_79 Depth=2
	v_add_nc_u32_e32 v12, 1, v12
	s_mov_b32 s20, -1
                                        ; implicit-def: $vgpr13
	s_delay_alu instid0(VALU_DEP_1)
	v_and_b32_e32 v12, 0xff, v12
; %bb.82:                               ;   in Loop: Header=BB132_79 Depth=2
	s_and_not1_saveexec_b32 s21, s21
	s_cbranch_execz .LBB132_86
; %bb.83:                               ;   in Loop: Header=BB132_79 Depth=2
	v_dual_mov_b32 v14, s16 :: v_dual_mov_b32 v15, s17
	s_mov_b32 s23, -1
	s_mov_b32 s22, exec_lo
	ds_cmpstore_rtn_b64 v[14:15], v13, v[3:4], v[14:15]
	s_waitcnt lgkmcnt(0)
	v_cmpx_eq_u64_e64 s[16:17], v[14:15]
	s_cbranch_execz .LBB132_85
; %bb.84:                               ;   in Loop: Header=BB132_79 Depth=2
	v_mad_u64_u32 v[14:15], null, v12, 24, v[13:14]
	s_xor_b32 s23, exec_lo, -1
	ds_add_f32 v14, v16 offset:2048
	ds_add_f32 v14, v17 offset:2052
.LBB132_85:                             ;   in Loop: Header=BB132_79 Depth=2
	s_or_b32 exec_lo, exec_lo, s22
	s_delay_alu instid0(SALU_CYCLE_1) | instskip(SKIP_1) | instid1(SALU_CYCLE_1)
	s_and_not1_b32 s20, s20, exec_lo
	s_and_b32 s22, s23, exec_lo
	s_or_b32 s20, s20, s22
.LBB132_86:                             ;   in Loop: Header=BB132_79 Depth=2
	s_or_b32 exec_lo, exec_lo, s21
	s_delay_alu instid0(SALU_CYCLE_1)
	s_and_b32 s20, s20, exec_lo
                                        ; implicit-def: $vgpr13
.LBB132_87:                             ;   in Loop: Header=BB132_79 Depth=2
	s_and_not1_saveexec_b32 s19, s19
	s_cbranch_execz .LBB132_78
; %bb.88:                               ;   in Loop: Header=BB132_79 Depth=2
	v_mad_u64_u32 v[14:15], null, v12, 24, v[13:14]
	s_and_not1_b32 s20, s20, exec_lo
	ds_add_f32 v14, v16 offset:2048
	ds_add_f32 v14, v17 offset:2052
	s_branch .LBB132_78
.LBB132_89:                             ;   in Loop: Header=BB132_77 Depth=1
	s_or_b32 exec_lo, exec_lo, s18
	s_waitcnt vmcnt(1)
	v_mul_f32_e64 v14, v11, -s43
	v_mul_f32_e32 v15, s42, v11
	s_mov_b32 s18, 0
	s_delay_alu instid0(VALU_DEP_2) | instskip(NEXT) | instid1(VALU_DEP_2)
	v_fmac_f32_e32 v14, s42, v10
	v_fmac_f32_e32 v15, s43, v10
	v_dual_mov_b32 v11, v6 :: v_dual_mov_b32 v10, v5
	s_branch .LBB132_91
.LBB132_90:                             ;   in Loop: Header=BB132_91 Depth=2
	s_or_b32 exec_lo, exec_lo, s19
	s_xor_b32 s19, s20, -1
	s_delay_alu instid0(SALU_CYCLE_1) | instskip(NEXT) | instid1(SALU_CYCLE_1)
	s_and_b32 s19, exec_lo, s19
	s_or_b32 s18, s19, s18
	s_delay_alu instid0(SALU_CYCLE_1)
	s_and_not1_b32 exec_lo, exec_lo, s18
	s_cbranch_execz .LBB132_101
.LBB132_91:                             ;   Parent Loop BB132_77 Depth=1
                                        ; =>  This Inner Loop Header: Depth=2
	s_delay_alu instid0(VALU_DEP_1)
	v_lshl_add_u32 v11, v10, 3, 0
	s_mov_b32 s19, exec_lo
                                        ; implicit-def: $sgpr20
	ds_load_b64 v[12:13], v11
	s_waitcnt lgkmcnt(0)
	v_cmpx_ne_u64_e64 v[12:13], v[3:4]
	s_xor_b32 s19, exec_lo, s19
	s_cbranch_execz .LBB132_99
; %bb.92:                               ;   in Loop: Header=BB132_91 Depth=2
	s_mov_b32 s21, exec_lo
                                        ; implicit-def: $sgpr20
	v_cmpx_ne_u64_e64 s[16:17], v[12:13]
	s_xor_b32 s21, exec_lo, s21
; %bb.93:                               ;   in Loop: Header=BB132_91 Depth=2
	v_add_nc_u32_e32 v10, 1, v10
	s_mov_b32 s20, -1
                                        ; implicit-def: $vgpr11
	s_delay_alu instid0(VALU_DEP_1)
	v_and_b32_e32 v10, 0xff, v10
; %bb.94:                               ;   in Loop: Header=BB132_91 Depth=2
	s_and_not1_saveexec_b32 s21, s21
	s_cbranch_execz .LBB132_98
; %bb.95:                               ;   in Loop: Header=BB132_91 Depth=2
	v_dual_mov_b32 v12, s16 :: v_dual_mov_b32 v13, s17
	s_mov_b32 s23, -1
	s_mov_b32 s22, exec_lo
	ds_cmpstore_rtn_b64 v[12:13], v11, v[3:4], v[12:13]
	s_waitcnt lgkmcnt(0)
	v_cmpx_eq_u64_e64 s[16:17], v[12:13]
	s_cbranch_execz .LBB132_97
; %bb.96:                               ;   in Loop: Header=BB132_91 Depth=2
	v_mad_u64_u32 v[12:13], null, v10, 24, v[11:12]
	s_xor_b32 s23, exec_lo, -1
	ds_add_f32 v12, v14 offset:2056
	ds_add_f32 v12, v15 offset:2060
.LBB132_97:                             ;   in Loop: Header=BB132_91 Depth=2
	s_or_b32 exec_lo, exec_lo, s22
	s_delay_alu instid0(SALU_CYCLE_1) | instskip(SKIP_1) | instid1(SALU_CYCLE_1)
	s_and_not1_b32 s20, s20, exec_lo
	s_and_b32 s22, s23, exec_lo
	s_or_b32 s20, s20, s22
.LBB132_98:                             ;   in Loop: Header=BB132_91 Depth=2
	s_or_b32 exec_lo, exec_lo, s21
	s_delay_alu instid0(SALU_CYCLE_1)
	s_and_b32 s20, s20, exec_lo
                                        ; implicit-def: $vgpr11
.LBB132_99:                             ;   in Loop: Header=BB132_91 Depth=2
	s_and_not1_saveexec_b32 s19, s19
	s_cbranch_execz .LBB132_90
; %bb.100:                              ;   in Loop: Header=BB132_91 Depth=2
	v_mad_u64_u32 v[12:13], null, v10, 24, v[11:12]
	s_and_not1_b32 s20, s20, exec_lo
	ds_add_f32 v12, v14 offset:2056
	ds_add_f32 v12, v15 offset:2060
	s_branch .LBB132_90
.LBB132_101:                            ;   in Loop: Header=BB132_77 Depth=1
	s_or_b32 exec_lo, exec_lo, s18
	s_waitcnt vmcnt(0)
	v_mul_f32_e64 v12, v9, -s43
	v_mul_f32_e32 v13, s42, v9
	s_mov_b32 s18, 0
	s_delay_alu instid0(VALU_DEP_2) | instskip(NEXT) | instid1(VALU_DEP_2)
	v_fmac_f32_e32 v12, s42, v8
	v_fmac_f32_e32 v13, s43, v8
	v_dual_mov_b32 v9, v6 :: v_dual_mov_b32 v8, v5
	s_branch .LBB132_103
.LBB132_102:                            ;   in Loop: Header=BB132_103 Depth=2
	s_or_b32 exec_lo, exec_lo, s19
	s_xor_b32 s19, s20, -1
	s_delay_alu instid0(SALU_CYCLE_1) | instskip(NEXT) | instid1(SALU_CYCLE_1)
	s_and_b32 s19, exec_lo, s19
	s_or_b32 s18, s19, s18
	s_delay_alu instid0(SALU_CYCLE_1)
	s_and_not1_b32 exec_lo, exec_lo, s18
	s_cbranch_execz .LBB132_113
.LBB132_103:                            ;   Parent Loop BB132_77 Depth=1
                                        ; =>  This Inner Loop Header: Depth=2
	s_delay_alu instid0(VALU_DEP_1)
	v_lshl_add_u32 v9, v8, 3, 0
	s_mov_b32 s19, exec_lo
                                        ; implicit-def: $sgpr20
	ds_load_b64 v[10:11], v9
	s_waitcnt lgkmcnt(0)
	v_cmpx_ne_u64_e64 v[10:11], v[3:4]
	s_xor_b32 s19, exec_lo, s19
	s_cbranch_execz .LBB132_111
; %bb.104:                              ;   in Loop: Header=BB132_103 Depth=2
	s_mov_b32 s21, exec_lo
                                        ; implicit-def: $sgpr20
	v_cmpx_ne_u64_e64 s[16:17], v[10:11]
	s_xor_b32 s21, exec_lo, s21
; %bb.105:                              ;   in Loop: Header=BB132_103 Depth=2
	v_add_nc_u32_e32 v8, 1, v8
	s_mov_b32 s20, -1
                                        ; implicit-def: $vgpr9
	s_delay_alu instid0(VALU_DEP_1)
	v_and_b32_e32 v8, 0xff, v8
; %bb.106:                              ;   in Loop: Header=BB132_103 Depth=2
	s_and_not1_saveexec_b32 s21, s21
	s_cbranch_execz .LBB132_110
; %bb.107:                              ;   in Loop: Header=BB132_103 Depth=2
	v_dual_mov_b32 v10, s16 :: v_dual_mov_b32 v11, s17
	s_mov_b32 s23, -1
	s_mov_b32 s22, exec_lo
	ds_cmpstore_rtn_b64 v[10:11], v9, v[3:4], v[10:11]
	s_waitcnt lgkmcnt(0)
	v_cmpx_eq_u64_e64 s[16:17], v[10:11]
	s_cbranch_execz .LBB132_109
; %bb.108:                              ;   in Loop: Header=BB132_103 Depth=2
	v_mad_u64_u32 v[10:11], null, v8, 24, v[9:10]
	s_xor_b32 s23, exec_lo, -1
	ds_add_f32 v10, v12 offset:2064
	ds_add_f32 v10, v13 offset:2068
.LBB132_109:                            ;   in Loop: Header=BB132_103 Depth=2
	s_or_b32 exec_lo, exec_lo, s22
	s_delay_alu instid0(SALU_CYCLE_1) | instskip(SKIP_1) | instid1(SALU_CYCLE_1)
	s_and_not1_b32 s20, s20, exec_lo
	s_and_b32 s22, s23, exec_lo
	s_or_b32 s20, s20, s22
.LBB132_110:                            ;   in Loop: Header=BB132_103 Depth=2
	s_or_b32 exec_lo, exec_lo, s21
	s_delay_alu instid0(SALU_CYCLE_1)
	s_and_b32 s20, s20, exec_lo
                                        ; implicit-def: $vgpr9
.LBB132_111:                            ;   in Loop: Header=BB132_103 Depth=2
	s_and_not1_saveexec_b32 s19, s19
	s_cbranch_execz .LBB132_102
; %bb.112:                              ;   in Loop: Header=BB132_103 Depth=2
	v_mad_u64_u32 v[10:11], null, v8, 24, v[9:10]
	s_and_not1_b32 s20, s20, exec_lo
	ds_add_f32 v10, v12 offset:2064
	ds_add_f32 v10, v13 offset:2068
	s_branch .LBB132_102
.LBB132_113:                            ;   in Loop: Header=BB132_77 Depth=1
	s_or_b32 exec_lo, exec_lo, s18
	v_mul_f32_e64 v9, v7, -s43
	v_mul_f32_e32 v10, s42, v7
	s_mov_b32 s18, 0
	s_delay_alu instid0(VALU_DEP_2) | instskip(NEXT) | instid1(VALU_DEP_2)
	v_fmac_f32_e32 v9, s42, v6
	v_fmac_f32_e32 v10, s43, v6
	s_branch .LBB132_115
.LBB132_114:                            ;   in Loop: Header=BB132_115 Depth=2
	s_or_b32 exec_lo, exec_lo, s19
	s_xor_b32 s19, s20, -1
	s_delay_alu instid0(SALU_CYCLE_1) | instskip(NEXT) | instid1(SALU_CYCLE_1)
	s_and_b32 s19, exec_lo, s19
	s_or_b32 s18, s19, s18
	s_delay_alu instid0(SALU_CYCLE_1)
	s_and_not1_b32 exec_lo, exec_lo, s18
	s_cbranch_execz .LBB132_76
.LBB132_115:                            ;   Parent Loop BB132_77 Depth=1
                                        ; =>  This Inner Loop Header: Depth=2
	v_lshl_add_u32 v6, v5, 3, 0
	s_mov_b32 s19, exec_lo
                                        ; implicit-def: $sgpr20
	ds_load_b64 v[7:8], v6
	s_waitcnt lgkmcnt(0)
	v_cmpx_ne_u64_e64 v[7:8], v[3:4]
	s_xor_b32 s19, exec_lo, s19
	s_cbranch_execz .LBB132_123
; %bb.116:                              ;   in Loop: Header=BB132_115 Depth=2
	s_mov_b32 s21, exec_lo
                                        ; implicit-def: $sgpr20
	v_cmpx_ne_u64_e64 s[16:17], v[7:8]
	s_xor_b32 s21, exec_lo, s21
; %bb.117:                              ;   in Loop: Header=BB132_115 Depth=2
	v_add_nc_u32_e32 v5, 1, v5
	s_mov_b32 s20, -1
                                        ; implicit-def: $vgpr6
	s_delay_alu instid0(VALU_DEP_1)
	v_and_b32_e32 v5, 0xff, v5
; %bb.118:                              ;   in Loop: Header=BB132_115 Depth=2
	s_and_not1_saveexec_b32 s21, s21
	s_cbranch_execz .LBB132_122
; %bb.119:                              ;   in Loop: Header=BB132_115 Depth=2
	v_dual_mov_b32 v7, s16 :: v_dual_mov_b32 v8, s17
	s_mov_b32 s23, -1
	s_mov_b32 s22, exec_lo
	ds_cmpstore_rtn_b64 v[7:8], v6, v[3:4], v[7:8]
	s_waitcnt lgkmcnt(0)
	v_cmpx_eq_u64_e64 s[16:17], v[7:8]
	s_cbranch_execz .LBB132_121
; %bb.120:                              ;   in Loop: Header=BB132_115 Depth=2
	v_mad_u64_u32 v[7:8], null, v5, 24, v[6:7]
	s_xor_b32 s23, exec_lo, -1
	ds_add_f32 v7, v9 offset:2072
	ds_add_f32 v7, v10 offset:2076
.LBB132_121:                            ;   in Loop: Header=BB132_115 Depth=2
	s_or_b32 exec_lo, exec_lo, s22
	s_delay_alu instid0(SALU_CYCLE_1) | instskip(SKIP_1) | instid1(SALU_CYCLE_1)
	s_and_not1_b32 s20, s20, exec_lo
	s_and_b32 s22, s23, exec_lo
	s_or_b32 s20, s20, s22
.LBB132_122:                            ;   in Loop: Header=BB132_115 Depth=2
	s_or_b32 exec_lo, exec_lo, s21
	s_delay_alu instid0(SALU_CYCLE_1)
	s_and_b32 s20, s20, exec_lo
                                        ; implicit-def: $vgpr6
.LBB132_123:                            ;   in Loop: Header=BB132_115 Depth=2
	s_and_not1_saveexec_b32 s19, s19
	s_cbranch_execz .LBB132_114
; %bb.124:                              ;   in Loop: Header=BB132_115 Depth=2
	v_mad_u64_u32 v[7:8], null, v5, 24, v[6:7]
	s_and_not1_b32 s20, s20, exec_lo
	ds_add_f32 v7, v9 offset:2072
	ds_add_f32 v7, v10 offset:2076
	s_branch .LBB132_114
.LBB132_125:
	s_or_b32 exec_lo, exec_lo, s12
.LBB132_126:
	s_waitcnt lgkmcnt(0)
	s_barrier
	buffer_gl0_inv
	s_and_saveexec_b32 s0, s2
	s_cbranch_execz .LBB132_131
; %bb.127:
	ds_load_b64 v[1:2], v22
	s_mov_b32 s1, 0
	s_waitcnt lgkmcnt(0)
	v_cmp_gt_i64_e32 vcc_lo, s[16:17], v[1:2]
	s_and_b32 exec_lo, exec_lo, vcc_lo
	s_cbranch_execz .LBB132_131
; %bb.128:
	s_lshl_b64 s[2:3], s[40:41], 3
	s_delay_alu instid0(SALU_CYCLE_1)
	s_add_u32 s2, s8, s2
	s_addc_u32 s3, s9, s3
	s_load_b64 s[2:3], s[2:3], 0x0
	s_waitcnt lgkmcnt(0)
	s_sub_u32 s2, s2, s30
	s_subb_u32 s3, s3, 0
	s_delay_alu instid0(SALU_CYCLE_1)
	v_dual_mov_b32 v4, s3 :: v_dual_mov_b32 v3, s2
.LBB132_129:                            ; =>This Inner Loop Header: Depth=1
	s_add_i32 s0, s1, 0
	s_addk_i32 s1, 0x80
	v_mov_b32_e32 v33, s0
	s_cmpk_lg_i32 s1, 0x800
	ds_load_2addr_b64 v[5:8], v33 offset1:1
	ds_load_2addr_b64 v[9:12], v33 offset0:2 offset1:3
	ds_load_2addr_b64 v[13:16], v33 offset0:4 offset1:5
	;; [unrolled: 1-line block ×7, first 2 shown]
	s_waitcnt lgkmcnt(7)
	v_cmp_gt_i64_e32 vcc_lo, v[1:2], v[5:6]
	v_cndmask_b32_e64 v5, 0, 1, vcc_lo
	v_cmp_gt_i64_e32 vcc_lo, v[1:2], v[7:8]
	v_cndmask_b32_e64 v6, 0, 1, vcc_lo
	s_waitcnt lgkmcnt(6)
	v_cmp_gt_i64_e32 vcc_lo, v[1:2], v[9:10]
	v_cndmask_b32_e64 v7, 0, 1, vcc_lo
	v_cmp_gt_i64_e32 vcc_lo, v[1:2], v[11:12]
	v_cndmask_b32_e64 v8, 0, 1, vcc_lo
	;; [unrolled: 5-line block ×4, first 2 shown]
	s_waitcnt lgkmcnt(3)
	v_cmp_gt_i64_e32 vcc_lo, v[1:2], v[21:22]
	v_cndmask_b32_e64 v13, 0, 1, vcc_lo
	v_add_co_u32 v3, vcc_lo, v3, v5
	v_add_co_ci_u32_e32 v4, vcc_lo, 0, v4, vcc_lo
	v_cmp_gt_i64_e32 vcc_lo, v[1:2], v[23:24]
	s_delay_alu instid0(VALU_DEP_3) | instskip(NEXT) | instid1(VALU_DEP_1)
	v_add_co_u32 v3, s0, v3, v6
	v_add_co_ci_u32_e64 v4, s0, 0, v4, s0
	v_cndmask_b32_e64 v5, 0, 1, vcc_lo
	s_delay_alu instid0(VALU_DEP_3) | instskip(NEXT) | instid1(VALU_DEP_3)
	v_add_co_u32 v3, vcc_lo, v3, v7
	v_add_co_ci_u32_e32 v4, vcc_lo, 0, v4, vcc_lo
	s_waitcnt lgkmcnt(2)
	v_cmp_gt_i64_e32 vcc_lo, v[1:2], v[25:26]
	s_delay_alu instid0(VALU_DEP_3) | instskip(NEXT) | instid1(VALU_DEP_1)
	v_add_co_u32 v3, s0, v3, v8
	v_add_co_ci_u32_e64 v4, s0, 0, v4, s0
	v_cndmask_b32_e64 v6, 0, 1, vcc_lo
	s_delay_alu instid0(VALU_DEP_3) | instskip(NEXT) | instid1(VALU_DEP_3)
	v_add_co_u32 v3, vcc_lo, v3, v9
	v_add_co_ci_u32_e32 v4, vcc_lo, 0, v4, vcc_lo
	v_cmp_gt_i64_e32 vcc_lo, v[1:2], v[27:28]
	s_delay_alu instid0(VALU_DEP_3) | instskip(NEXT) | instid1(VALU_DEP_1)
	v_add_co_u32 v3, s0, v3, v10
	v_add_co_ci_u32_e64 v4, s0, 0, v4, s0
	v_cndmask_b32_e64 v7, 0, 1, vcc_lo
	s_delay_alu instid0(VALU_DEP_3) | instskip(NEXT) | instid1(VALU_DEP_3)
	v_add_co_u32 v3, vcc_lo, v3, v11
	v_add_co_ci_u32_e32 v4, vcc_lo, 0, v4, vcc_lo
	s_waitcnt lgkmcnt(1)
	v_cmp_gt_i64_e32 vcc_lo, v[1:2], v[29:30]
	s_delay_alu instid0(VALU_DEP_3) | instskip(NEXT) | instid1(VALU_DEP_1)
	v_add_co_u32 v3, s0, v3, v12
	v_add_co_ci_u32_e64 v4, s0, 0, v4, s0
	v_cndmask_b32_e64 v8, 0, 1, vcc_lo
	s_delay_alu instid0(VALU_DEP_3) | instskip(NEXT) | instid1(VALU_DEP_3)
	;; [unrolled: 17-line block ×3, first 2 shown]
	v_add_co_u32 v3, vcc_lo, v3, v8
	v_add_co_ci_u32_e32 v4, vcc_lo, 0, v4, vcc_lo
	v_cmp_gt_i64_e32 vcc_lo, v[1:2], v[35:36]
	s_delay_alu instid0(VALU_DEP_3) | instskip(NEXT) | instid1(VALU_DEP_1)
	v_add_co_u32 v3, s0, v3, v5
	v_add_co_ci_u32_e64 v4, s0, 0, v4, s0
	v_cndmask_b32_e64 v5, 0, 1, vcc_lo
	s_delay_alu instid0(VALU_DEP_3) | instskip(NEXT) | instid1(VALU_DEP_3)
	v_add_co_u32 v3, vcc_lo, v3, v6
	v_add_co_ci_u32_e32 v4, vcc_lo, 0, v4, vcc_lo
	s_delay_alu instid0(VALU_DEP_2) | instskip(NEXT) | instid1(VALU_DEP_2)
	v_add_co_u32 v3, vcc_lo, v3, v5
	v_add_co_ci_u32_e32 v4, vcc_lo, 0, v4, vcc_lo
	s_cbranch_scc1 .LBB132_129
; %bb.130:
	v_lshlrev_b32_e32 v5, 2, v0
	s_cmp_eq_u32 s33, 0
	v_lshlrev_b32_e32 v0, 5, v0
	s_cselect_b32 s0, 2, 1
	s_cselect_b32 s1, 1, 2
	v_or_b32_e32 v6, s0, v5
	v_or_b32_e32 v5, s1, v5
	v_add3_u32 v7, 0, v0, 0x800
	v_add3_u32 v0, 0, 0x800, v0
	v_lshlrev_b64 v[13:14], 3, v[3:4]
	v_lshlrev_b32_e32 v6, 3, v6
	v_lshlrev_b32_e32 v5, 3, v5
	s_delay_alu instid0(VALU_DEP_2) | instskip(NEXT) | instid1(VALU_DEP_2)
	v_add3_u32 v8, 0, v6, 0x800
	v_add3_u32 v11, 0, v5, 0x800
	ds_load_2addr_b32 v[5:6], v7 offset1:1
	ds_load_2addr_b32 v[9:10], v8 offset1:1
	;; [unrolled: 1-line block ×3, first 2 shown]
	ds_load_2addr_b32 v[11:12], v0 offset0:6 offset1:7
	v_add_co_u32 v0, vcc_lo, v1, s30
	v_add_co_ci_u32_e32 v1, vcc_lo, 0, v2, vcc_lo
	v_lshlrev_b64 v[2:3], 5, v[3:4]
	v_add_co_u32 v13, vcc_lo, s10, v13
	v_add_co_ci_u32_e32 v14, vcc_lo, s11, v14, vcc_lo
	s_delay_alu instid0(VALU_DEP_3) | instskip(NEXT) | instid1(VALU_DEP_4)
	v_add_co_u32 v2, vcc_lo, s34, v2
	v_add_co_ci_u32_e32 v3, vcc_lo, s35, v3, vcc_lo
	global_store_b64 v[13:14], v[0:1], off
	s_waitcnt lgkmcnt(1)
	global_store_b128 v[2:3], v[5:8], off
	s_waitcnt lgkmcnt(0)
	global_store_b128 v[2:3], v[9:12], off offset:16
.LBB132_131:
	s_nop 0
	s_sendmsg sendmsg(MSG_DEALLOC_VGPRS)
	s_endpgm
	.section	.rodata,"a",@progbits
	.p2align	6, 0x0
	.amdhsa_kernel _ZN9rocsparseL30bsrgemm_fill_block_per_row_2x2ILj256ELj16ELj256ELj137Ell21rocsparse_complex_numIfEEEv20rocsparse_direction_T4_S4_PKS4_S6_NS_24const_host_device_scalarIT5_EEPKT3_S6_PKS8_SC_S6_SE_S9_SC_S6_SE_SC_PS4_PS8_21rocsparse_index_base_SH_SH_SH_bbb
		.amdhsa_group_segment_fixed_size 0
		.amdhsa_private_segment_fixed_size 0
		.amdhsa_kernarg_size 172
		.amdhsa_user_sgpr_count 15
		.amdhsa_user_sgpr_dispatch_ptr 0
		.amdhsa_user_sgpr_queue_ptr 0
		.amdhsa_user_sgpr_kernarg_segment_ptr 1
		.amdhsa_user_sgpr_dispatch_id 0
		.amdhsa_user_sgpr_private_segment_size 0
		.amdhsa_wavefront_size32 1
		.amdhsa_uses_dynamic_stack 0
		.amdhsa_enable_private_segment 0
		.amdhsa_system_sgpr_workgroup_id_x 1
		.amdhsa_system_sgpr_workgroup_id_y 0
		.amdhsa_system_sgpr_workgroup_id_z 0
		.amdhsa_system_sgpr_workgroup_info 0
		.amdhsa_system_vgpr_workitem_id 0
		.amdhsa_next_free_vgpr 37
		.amdhsa_next_free_sgpr 52
		.amdhsa_reserve_vcc 1
		.amdhsa_float_round_mode_32 0
		.amdhsa_float_round_mode_16_64 0
		.amdhsa_float_denorm_mode_32 3
		.amdhsa_float_denorm_mode_16_64 3
		.amdhsa_dx10_clamp 1
		.amdhsa_ieee_mode 1
		.amdhsa_fp16_overflow 0
		.amdhsa_workgroup_processor_mode 1
		.amdhsa_memory_ordered 1
		.amdhsa_forward_progress 0
		.amdhsa_shared_vgpr_count 0
		.amdhsa_exception_fp_ieee_invalid_op 0
		.amdhsa_exception_fp_denorm_src 0
		.amdhsa_exception_fp_ieee_div_zero 0
		.amdhsa_exception_fp_ieee_overflow 0
		.amdhsa_exception_fp_ieee_underflow 0
		.amdhsa_exception_fp_ieee_inexact 0
		.amdhsa_exception_int_div_zero 0
	.end_amdhsa_kernel
	.section	.text._ZN9rocsparseL30bsrgemm_fill_block_per_row_2x2ILj256ELj16ELj256ELj137Ell21rocsparse_complex_numIfEEEv20rocsparse_direction_T4_S4_PKS4_S6_NS_24const_host_device_scalarIT5_EEPKT3_S6_PKS8_SC_S6_SE_S9_SC_S6_SE_SC_PS4_PS8_21rocsparse_index_base_SH_SH_SH_bbb,"axG",@progbits,_ZN9rocsparseL30bsrgemm_fill_block_per_row_2x2ILj256ELj16ELj256ELj137Ell21rocsparse_complex_numIfEEEv20rocsparse_direction_T4_S4_PKS4_S6_NS_24const_host_device_scalarIT5_EEPKT3_S6_PKS8_SC_S6_SE_S9_SC_S6_SE_SC_PS4_PS8_21rocsparse_index_base_SH_SH_SH_bbb,comdat
.Lfunc_end132:
	.size	_ZN9rocsparseL30bsrgemm_fill_block_per_row_2x2ILj256ELj16ELj256ELj137Ell21rocsparse_complex_numIfEEEv20rocsparse_direction_T4_S4_PKS4_S6_NS_24const_host_device_scalarIT5_EEPKT3_S6_PKS8_SC_S6_SE_S9_SC_S6_SE_SC_PS4_PS8_21rocsparse_index_base_SH_SH_SH_bbb, .Lfunc_end132-_ZN9rocsparseL30bsrgemm_fill_block_per_row_2x2ILj256ELj16ELj256ELj137Ell21rocsparse_complex_numIfEEEv20rocsparse_direction_T4_S4_PKS4_S6_NS_24const_host_device_scalarIT5_EEPKT3_S6_PKS8_SC_S6_SE_S9_SC_S6_SE_SC_PS4_PS8_21rocsparse_index_base_SH_SH_SH_bbb
                                        ; -- End function
	.section	.AMDGPU.csdata,"",@progbits
; Kernel info:
; codeLenInByte = 5116
; NumSgprs: 54
; NumVgprs: 37
; ScratchSize: 0
; MemoryBound: 0
; FloatMode: 240
; IeeeMode: 1
; LDSByteSize: 0 bytes/workgroup (compile time only)
; SGPRBlocks: 6
; VGPRBlocks: 4
; NumSGPRsForWavesPerEU: 54
; NumVGPRsForWavesPerEU: 37
; Occupancy: 16
; WaveLimiterHint : 1
; COMPUTE_PGM_RSRC2:SCRATCH_EN: 0
; COMPUTE_PGM_RSRC2:USER_SGPR: 15
; COMPUTE_PGM_RSRC2:TRAP_HANDLER: 0
; COMPUTE_PGM_RSRC2:TGID_X_EN: 1
; COMPUTE_PGM_RSRC2:TGID_Y_EN: 0
; COMPUTE_PGM_RSRC2:TGID_Z_EN: 0
; COMPUTE_PGM_RSRC2:TIDIG_COMP_CNT: 0
	.section	.text._ZN9rocsparseL30bsrgemm_fill_block_per_row_2x2ILj256ELj16ELj512ELj137Ell21rocsparse_complex_numIfEEEv20rocsparse_direction_T4_S4_PKS4_S6_NS_24const_host_device_scalarIT5_EEPKT3_S6_PKS8_SC_S6_SE_S9_SC_S6_SE_SC_PS4_PS8_21rocsparse_index_base_SH_SH_SH_bbb,"axG",@progbits,_ZN9rocsparseL30bsrgemm_fill_block_per_row_2x2ILj256ELj16ELj512ELj137Ell21rocsparse_complex_numIfEEEv20rocsparse_direction_T4_S4_PKS4_S6_NS_24const_host_device_scalarIT5_EEPKT3_S6_PKS8_SC_S6_SE_S9_SC_S6_SE_SC_PS4_PS8_21rocsparse_index_base_SH_SH_SH_bbb,comdat
	.globl	_ZN9rocsparseL30bsrgemm_fill_block_per_row_2x2ILj256ELj16ELj512ELj137Ell21rocsparse_complex_numIfEEEv20rocsparse_direction_T4_S4_PKS4_S6_NS_24const_host_device_scalarIT5_EEPKT3_S6_PKS8_SC_S6_SE_S9_SC_S6_SE_SC_PS4_PS8_21rocsparse_index_base_SH_SH_SH_bbb ; -- Begin function _ZN9rocsparseL30bsrgemm_fill_block_per_row_2x2ILj256ELj16ELj512ELj137Ell21rocsparse_complex_numIfEEEv20rocsparse_direction_T4_S4_PKS4_S6_NS_24const_host_device_scalarIT5_EEPKT3_S6_PKS8_SC_S6_SE_S9_SC_S6_SE_SC_PS4_PS8_21rocsparse_index_base_SH_SH_SH_bbb
	.p2align	8
	.type	_ZN9rocsparseL30bsrgemm_fill_block_per_row_2x2ILj256ELj16ELj512ELj137Ell21rocsparse_complex_numIfEEEv20rocsparse_direction_T4_S4_PKS4_S6_NS_24const_host_device_scalarIT5_EEPKT3_S6_PKS8_SC_S6_SE_S9_SC_S6_SE_SC_PS4_PS8_21rocsparse_index_base_SH_SH_SH_bbb,@function
_ZN9rocsparseL30bsrgemm_fill_block_per_row_2x2ILj256ELj16ELj512ELj137Ell21rocsparse_complex_numIfEEEv20rocsparse_direction_T4_S4_PKS4_S6_NS_24const_host_device_scalarIT5_EEPKT3_S6_PKS8_SC_S6_SE_S9_SC_S6_SE_SC_PS4_PS8_21rocsparse_index_base_SH_SH_SH_bbb: ; @_ZN9rocsparseL30bsrgemm_fill_block_per_row_2x2ILj256ELj16ELj512ELj137Ell21rocsparse_complex_numIfEEEv20rocsparse_direction_T4_S4_PKS4_S6_NS_24const_host_device_scalarIT5_EEPKT3_S6_PKS8_SC_S6_SE_S9_SC_S6_SE_SC_PS4_PS8_21rocsparse_index_base_SH_SH_SH_bbb
; %bb.0:
	s_mov_b32 s40, s15
	s_clause 0x6
	s_load_b32 s33, s[0:1], 0xa8
	s_load_b256 s[4:11], s[0:1], 0x70
	s_load_b256 s[12:19], s[0:1], 0x50
	s_load_b128 s[36:39], s[0:1], 0x18
	s_load_b256 s[20:27], s[0:1], 0x30
	s_load_b64 s[34:35], s[0:1], 0x90
	s_load_b128 s[28:31], s[0:1], 0x98
	s_mov_b32 s3, 0
	s_mov_b32 s43, 0
	s_waitcnt lgkmcnt(0)
	s_bitcmp1_b32 s33, 0
	s_cselect_b32 s45, -1, 0
	s_bitcmp1_b32 s33, 16
	s_cselect_b32 s2, -1, 0
	s_delay_alu instid0(SALU_CYCLE_1) | instskip(SKIP_2) | instid1(VALU_DEP_1)
	s_xor_b32 s41, s2, -1
	s_bitcmp0_b32 s33, 0
	v_cndmask_b32_e64 v1, 0, 1, s41
	v_cmp_ne_u32_e32 vcc_lo, 1, v1
	s_cbranch_scc1 .LBB133_5
; %bb.1:
	s_load_b64 s[2:3], s[0:1], 0x28
	s_and_b32 vcc_lo, exec_lo, vcc_lo
	s_waitcnt lgkmcnt(0)
	s_mov_b32 s43, s2
	s_cbranch_vccnz .LBB133_3
; %bb.2:
	s_load_b32 s43, s[2:3], 0x0
.LBB133_3:
	s_and_not1_b32 vcc_lo, exec_lo, s41
	s_cbranch_vccnz .LBB133_5
; %bb.4:
	s_load_b32 s3, s[2:3], 0x4
.LBB133_5:
	s_bitcmp1_b32 s33, 8
	s_mov_b32 s42, 0
	s_cselect_b32 s44, -1, 0
	s_bfe_u32 s2, s33, 0x10008
	s_mov_b32 s33, 0
	s_cmp_eq_u32 s2, 0
	s_cbranch_scc1 .LBB133_11
; %bb.6:
	v_cmp_ne_u32_e32 vcc_lo, 1, v1
	s_mov_b32 s33, s16
	s_cbranch_vccnz .LBB133_8
; %bb.7:
	s_load_b32 s33, s[16:17], 0x0
.LBB133_8:
	v_cmp_ne_u32_e32 vcc_lo, 1, v1
	s_cbranch_vccnz .LBB133_10
; %bb.9:
	s_load_b32 s17, s[16:17], 0x4
.LBB133_10:
	s_waitcnt lgkmcnt(0)
	s_mov_b32 s42, s17
.LBB133_11:
	s_load_b64 s[16:17], s[0:1], 0x10
	v_cmp_gt_u32_e64 s2, 0x200, v0
	v_lshlrev_b32_e32 v4, 3, v0
	v_or_b32_e32 v3, 0xffffff00, v0
	s_mov_b32 s41, exec_lo
	v_cmpx_lt_u32_e32 0x1ff, v0
	s_xor_b32 s41, exec_lo, s41
; %bb.12:
	v_lshlrev_b32_e32 v4, 3, v0
	v_or_b32_e32 v3, 0xffffff00, v0
; %bb.13:
	s_and_not1_saveexec_b32 s41, s41
	s_cbranch_execz .LBB133_17
; %bb.14:
	s_waitcnt lgkmcnt(0)
	s_delay_alu instid0(VALU_DEP_1)
	v_dual_mov_b32 v1, s16 :: v_dual_mov_b32 v6, v3
	v_dual_mov_b32 v2, s17 :: v_dual_add_nc_u32 v5, 0, v4
	s_mov_b32 s46, 0
.LBB133_15:                             ; =>This Inner Loop Header: Depth=1
	s_delay_alu instid0(VALU_DEP_2) | instskip(NEXT) | instid1(VALU_DEP_1)
	v_add_co_u32 v6, s47, 0x100, v6
	s_xor_b32 s47, s47, -1
	ds_store_b64 v5, v[1:2]
	v_add_nc_u32_e32 v5, 0x800, v5
	s_and_b32 s47, exec_lo, s47
	s_delay_alu instid0(SALU_CYCLE_1) | instskip(NEXT) | instid1(SALU_CYCLE_1)
	s_or_b32 s46, s47, s46
	s_and_not1_b32 exec_lo, exec_lo, s46
	s_cbranch_execnz .LBB133_15
; %bb.16:
	s_or_b32 exec_lo, exec_lo, s46
.LBB133_17:
	s_delay_alu instid0(SALU_CYCLE_1)
	s_or_b32 exec_lo, exec_lo, s41
	v_add3_u32 v1, v4, 0, 0x1000
	v_mov_b32_e32 v2, 0
	s_mov_b32 s41, 0
.LBB133_18:                             ; =>This Inner Loop Header: Depth=1
	v_add_nc_u32_e32 v3, 0x100, v3
	ds_store_2addr_b32 v1, v2, v2 offset1:1
	v_add_nc_u32_e32 v1, 0x800, v1
	v_cmp_lt_u32_e32 vcc_lo, 0x6ff, v3
	s_or_b32 s41, vcc_lo, s41
	s_delay_alu instid0(SALU_CYCLE_1)
	s_and_not1_b32 exec_lo, exec_lo, s41
	s_cbranch_execnz .LBB133_18
; %bb.19:
	s_or_b32 exec_lo, exec_lo, s41
	s_cmp_lg_u64 s[38:39], 0
	s_mov_b32 s41, 0
	s_waitcnt lgkmcnt(0)
	s_barrier
	buffer_gl0_inv
	s_cbranch_scc0 .LBB133_21
; %bb.20:
	s_load_b64 s[36:37], s[36:37], 0x0
	s_waitcnt lgkmcnt(0)
	s_lshl_b64 s[36:37], s[36:37], 3
	s_delay_alu instid0(SALU_CYCLE_1) | instskip(SKIP_2) | instid1(SALU_CYCLE_1)
	s_add_u32 s38, s38, s36
	s_addc_u32 s39, s39, s37
	s_lshl_b64 s[36:37], s[40:41], 3
	s_add_u32 s36, s38, s36
	s_addc_u32 s37, s39, s37
	s_load_b64 s[40:41], s[36:37], 0x0
.LBB133_21:
	s_load_b32 s36, s[0:1], 0x0
	s_and_not1_b32 vcc_lo, exec_lo, s45
	s_cbranch_vccnz .LBB133_77
; %bb.22:
	s_waitcnt lgkmcnt(0)
	s_lshl_b64 s[0:1], s[40:41], 3
	v_lshrrev_b32_e32 v1, 4, v0
	s_add_u32 s0, s20, s0
	s_addc_u32 s1, s21, s1
	s_mov_b32 s21, 0
	s_load_b128 s[48:51], s[0:1], 0x0
	v_sub_co_u32 v1, s0, v1, s28
	s_delay_alu instid0(VALU_DEP_1) | instskip(SKIP_2) | instid1(VALU_DEP_2)
	v_sub_co_ci_u32_e64 v2, null, 0, 0, s0
	s_mov_b32 s20, exec_lo
	s_waitcnt lgkmcnt(0)
	v_add_co_u32 v1, vcc_lo, s48, v1
	s_delay_alu instid0(VALU_DEP_2)
	v_add_co_ci_u32_e32 v2, vcc_lo, s49, v2, vcc_lo
	s_sub_u32 s0, s50, s28
	s_subb_u32 s1, s51, 0
	s_delay_alu instid0(VALU_DEP_1) | instid1(SALU_CYCLE_1)
	v_cmpx_gt_i64_e64 s[0:1], v[1:2]
	s_cbranch_execz .LBB133_76
; %bb.23:
	v_and_b32_e32 v3, 15, v0
	s_cmp_eq_u32 s36, 0
	s_cselect_b32 s38, 1, 2
	s_delay_alu instid0(VALU_DEP_1) | instskip(NEXT) | instid1(VALU_DEP_1)
	v_sub_co_u32 v22, s37, v3, s29
	v_sub_co_ci_u32_e64 v23, null, 0, 0, s37
	s_cselect_b32 s37, 2, 1
	s_branch .LBB133_25
.LBB133_24:                             ;   in Loop: Header=BB133_25 Depth=1
	s_or_b32 exec_lo, exec_lo, s39
	v_add_co_u32 v1, vcc_lo, v1, 16
	v_add_co_ci_u32_e32 v2, vcc_lo, 0, v2, vcc_lo
	s_delay_alu instid0(VALU_DEP_1) | instskip(SKIP_1) | instid1(SALU_CYCLE_1)
	v_cmp_le_i64_e32 vcc_lo, s[0:1], v[1:2]
	s_or_b32 s21, vcc_lo, s21
	s_and_not1_b32 exec_lo, exec_lo, s21
	s_cbranch_execz .LBB133_76
.LBB133_25:                             ; =>This Loop Header: Depth=1
                                        ;     Child Loop BB133_28 Depth 2
                                        ;       Child Loop BB133_30 Depth 3
                                        ;       Child Loop BB133_42 Depth 3
                                        ;       Child Loop BB133_54 Depth 3
                                        ;       Child Loop BB133_66 Depth 3
	v_lshlrev_b64 v[3:4], 3, v[1:2]
	s_mov_b32 s39, exec_lo
	s_delay_alu instid0(VALU_DEP_1) | instskip(NEXT) | instid1(VALU_DEP_2)
	v_add_co_u32 v3, vcc_lo, s22, v3
	v_add_co_ci_u32_e32 v4, vcc_lo, s23, v4, vcc_lo
	global_load_b64 v[3:4], v[3:4], off
	s_waitcnt vmcnt(0)
	v_sub_co_u32 v3, vcc_lo, v3, s28
	v_subrev_co_ci_u32_e32 v4, vcc_lo, 0, v4, vcc_lo
	s_delay_alu instid0(VALU_DEP_1) | instskip(NEXT) | instid1(VALU_DEP_1)
	v_lshlrev_b64 v[3:4], 3, v[3:4]
	v_add_co_u32 v3, vcc_lo, s26, v3
	s_delay_alu instid0(VALU_DEP_2)
	v_add_co_ci_u32_e32 v4, vcc_lo, s27, v4, vcc_lo
	global_load_b128 v[5:8], v[3:4], off
	s_waitcnt vmcnt(0)
	v_sub_co_u32 v3, vcc_lo, v7, s29
	v_subrev_co_ci_u32_e32 v4, vcc_lo, 0, v8, vcc_lo
	v_add_co_u32 v5, vcc_lo, v5, v22
	v_add_co_ci_u32_e32 v6, vcc_lo, v6, v23, vcc_lo
	s_delay_alu instid0(VALU_DEP_1)
	v_cmpx_lt_i64_e64 v[5:6], v[3:4]
	s_cbranch_execz .LBB133_24
; %bb.26:                               ;   in Loop: Header=BB133_25 Depth=1
	v_lshlrev_b64 v[7:8], 2, v[1:2]
	v_lshlrev_b64 v[9:10], 5, v[1:2]
	s_mov_b32 s45, 0
	s_delay_alu instid0(VALU_DEP_2) | instskip(NEXT) | instid1(VALU_DEP_3)
	v_or_b32_e32 v12, 0, v8
	v_or_b32_e32 v11, s37, v7
	;; [unrolled: 1-line block ×4, first 2 shown]
	v_add_co_u32 v9, vcc_lo, s24, v9
	s_delay_alu instid0(VALU_DEP_4) | instskip(SKIP_1) | instid1(VALU_DEP_4)
	v_lshlrev_b64 v[11:12], 3, v[11:12]
	v_add_co_ci_u32_e32 v10, vcc_lo, s25, v10, vcc_lo
	v_lshlrev_b64 v[7:8], 3, v[7:8]
	global_load_b64 v[13:14], v[9:10], off
	v_add_co_u32 v11, vcc_lo, s24, v11
	v_add_co_ci_u32_e32 v12, vcc_lo, s25, v12, vcc_lo
	v_add_co_u32 v7, vcc_lo, s24, v7
	v_add_co_ci_u32_e32 v8, vcc_lo, s25, v8, vcc_lo
	s_clause 0x2
	global_load_b64 v[11:12], v[11:12], off
	global_load_b64 v[7:8], v[7:8], off
	global_load_b64 v[9:10], v[9:10], off offset:24
	s_waitcnt vmcnt(3)
	v_mul_f32_e64 v24, v14, -s3
	s_delay_alu instid0(VALU_DEP_1) | instskip(NEXT) | instid1(VALU_DEP_1)
	v_dual_mul_f32 v25, s43, v14 :: v_dual_fmac_f32 v24, s43, v13
	v_fmac_f32_e32 v25, s3, v13
	s_waitcnt vmcnt(2)
	v_mul_f32_e64 v26, v12, -s3
	s_waitcnt vmcnt(0)
	v_dual_mul_f32 v27, s43, v12 :: v_dual_mul_f32 v28, s43, v10
	v_mul_f32_e64 v29, v10, -s3
	v_mul_f32_e64 v31, v8, -s3
	v_fmac_f32_e32 v26, s43, v11
	s_delay_alu instid0(VALU_DEP_4) | instskip(NEXT) | instid1(VALU_DEP_3)
	v_dual_mul_f32 v30, s43, v8 :: v_dual_fmac_f32 v27, s3, v11
	v_dual_fmac_f32 v28, s3, v9 :: v_dual_fmac_f32 v31, s43, v7
	s_delay_alu instid0(VALU_DEP_2)
	v_dual_fmac_f32 v29, s43, v9 :: v_dual_fmac_f32 v30, s3, v7
	s_branch .LBB133_28
.LBB133_27:                             ;   in Loop: Header=BB133_28 Depth=2
	s_or_b32 exec_lo, exec_lo, s46
	v_add_co_u32 v5, vcc_lo, v5, 16
	v_add_co_ci_u32_e32 v6, vcc_lo, 0, v6, vcc_lo
	s_delay_alu instid0(VALU_DEP_1) | instskip(SKIP_1) | instid1(SALU_CYCLE_1)
	v_cmp_ge_i64_e32 vcc_lo, v[5:6], v[3:4]
	s_or_b32 s45, vcc_lo, s45
	s_and_not1_b32 exec_lo, exec_lo, s45
	s_cbranch_execz .LBB133_24
.LBB133_28:                             ;   Parent Loop BB133_25 Depth=1
                                        ; =>  This Loop Header: Depth=2
                                        ;       Child Loop BB133_30 Depth 3
                                        ;       Child Loop BB133_42 Depth 3
	;; [unrolled: 1-line block ×4, first 2 shown]
	v_lshlrev_b64 v[7:8], 2, v[5:6]
	v_lshlrev_b64 v[11:12], 3, v[5:6]
	;; [unrolled: 1-line block ×3, first 2 shown]
	s_mov_b32 s46, 0
	s_delay_alu instid0(VALU_DEP_3) | instskip(NEXT) | instid1(VALU_DEP_4)
	v_or_b32_e32 v10, 0, v8
	v_or_b32_e32 v9, s37, v7
	s_delay_alu instid0(VALU_DEP_4) | instskip(SKIP_1) | instid1(VALU_DEP_3)
	v_add_co_u32 v11, vcc_lo, s12, v11
	v_add_co_ci_u32_e32 v12, vcc_lo, s13, v12, vcc_lo
	v_lshlrev_b64 v[9:10], 3, v[9:10]
	v_or_b32_e32 v8, 0, v8
	v_or_b32_e32 v7, s38, v7
	s_delay_alu instid0(VALU_DEP_3) | instskip(NEXT) | instid1(VALU_DEP_4)
	v_add_co_u32 v9, vcc_lo, s14, v9
	v_add_co_ci_u32_e32 v10, vcc_lo, s15, v10, vcc_lo
	s_delay_alu instid0(VALU_DEP_3)
	v_lshlrev_b64 v[7:8], 3, v[7:8]
	global_load_b64 v[18:19], v[11:12], off
	global_load_b64 v[16:17], v[9:10], off
	v_add_co_u32 v12, vcc_lo, s14, v13
	v_add_co_ci_u32_e32 v13, vcc_lo, s15, v14, vcc_lo
	v_add_co_u32 v7, vcc_lo, s14, v7
	v_add_co_ci_u32_e32 v8, vcc_lo, s15, v8, vcc_lo
	s_clause 0x2
	global_load_b64 v[14:15], v[12:13], off
	global_load_b64 v[10:11], v[7:8], off
	global_load_b64 v[12:13], v[12:13], off offset:24
	s_waitcnt vmcnt(4)
	v_sub_co_u32 v7, vcc_lo, v18, s29
	s_waitcnt vmcnt(3)
	v_mul_f32_e64 v18, v17, -v30
	v_subrev_co_ci_u32_e32 v8, vcc_lo, 0, v19, vcc_lo
	s_delay_alu instid0(VALU_DEP_3) | instskip(NEXT) | instid1(VALU_DEP_1)
	v_mul_lo_u32 v9, 0x89, v7
	v_dual_fmac_f32 v18, v31, v16 :: v_dual_and_b32 v9, 0x1ff, v9
	v_mul_f32_e32 v32, v31, v17
	s_waitcnt vmcnt(2)
	s_delay_alu instid0(VALU_DEP_2) | instskip(NEXT) | instid1(VALU_DEP_1)
	v_fmac_f32_e32 v18, v24, v14
	v_fma_f32 v33, -v25, v15, v18
	s_waitcnt vmcnt(1)
	v_mov_b32_e32 v19, v10
	v_fmac_f32_e32 v32, v30, v16
	v_mov_b32_e32 v18, v9
	s_delay_alu instid0(VALU_DEP_2) | instskip(NEXT) | instid1(VALU_DEP_1)
	v_fmac_f32_e32 v32, v25, v14
	v_fmac_f32_e32 v32, v24, v15
	s_branch .LBB133_30
.LBB133_29:                             ;   in Loop: Header=BB133_30 Depth=3
	s_or_b32 exec_lo, exec_lo, s47
	s_xor_b32 s47, s48, -1
	s_delay_alu instid0(SALU_CYCLE_1) | instskip(NEXT) | instid1(SALU_CYCLE_1)
	s_and_b32 s47, exec_lo, s47
	s_or_b32 s46, s47, s46
	s_delay_alu instid0(SALU_CYCLE_1)
	s_and_not1_b32 exec_lo, exec_lo, s46
	s_cbranch_execz .LBB133_40
.LBB133_30:                             ;   Parent Loop BB133_25 Depth=1
                                        ;     Parent Loop BB133_28 Depth=2
                                        ; =>    This Inner Loop Header: Depth=3
	s_delay_alu instid0(VALU_DEP_3)
	v_lshl_add_u32 v19, v18, 3, 0
	s_mov_b32 s47, exec_lo
                                        ; implicit-def: $sgpr48
	ds_load_b64 v[20:21], v19
	s_waitcnt lgkmcnt(0)
	v_cmpx_ne_u64_e64 v[20:21], v[7:8]
	s_xor_b32 s47, exec_lo, s47
	s_cbranch_execz .LBB133_38
; %bb.31:                               ;   in Loop: Header=BB133_30 Depth=3
	s_mov_b32 s49, exec_lo
                                        ; implicit-def: $sgpr48
	v_cmpx_ne_u64_e64 s[16:17], v[20:21]
	s_xor_b32 s49, exec_lo, s49
; %bb.32:                               ;   in Loop: Header=BB133_30 Depth=3
	v_add_nc_u32_e32 v18, 1, v18
	s_mov_b32 s48, -1
                                        ; implicit-def: $vgpr19
	s_delay_alu instid0(VALU_DEP_1)
	v_and_b32_e32 v18, 0x1ff, v18
; %bb.33:                               ;   in Loop: Header=BB133_30 Depth=3
	s_and_not1_saveexec_b32 s49, s49
	s_cbranch_execz .LBB133_37
; %bb.34:                               ;   in Loop: Header=BB133_30 Depth=3
	v_dual_mov_b32 v21, s17 :: v_dual_mov_b32 v20, s16
	s_mov_b32 s51, -1
	s_mov_b32 s50, exec_lo
	ds_cmpstore_rtn_b64 v[20:21], v19, v[7:8], v[20:21]
	s_waitcnt lgkmcnt(0)
	v_cmpx_eq_u64_e64 s[16:17], v[20:21]
	s_cbranch_execz .LBB133_36
; %bb.35:                               ;   in Loop: Header=BB133_30 Depth=3
	v_mad_u64_u32 v[20:21], null, v18, 24, v[19:20]
	s_xor_b32 s51, exec_lo, -1
	ds_add_f32 v20, v33 offset:4096
	ds_add_f32 v20, v32 offset:4100
.LBB133_36:                             ;   in Loop: Header=BB133_30 Depth=3
	s_or_b32 exec_lo, exec_lo, s50
	s_delay_alu instid0(SALU_CYCLE_1) | instskip(SKIP_1) | instid1(SALU_CYCLE_1)
	s_and_not1_b32 s48, s48, exec_lo
	s_and_b32 s50, s51, exec_lo
	s_or_b32 s48, s48, s50
.LBB133_37:                             ;   in Loop: Header=BB133_30 Depth=3
	s_or_b32 exec_lo, exec_lo, s49
	s_delay_alu instid0(SALU_CYCLE_1)
	s_and_b32 s48, s48, exec_lo
                                        ; implicit-def: $vgpr19
.LBB133_38:                             ;   in Loop: Header=BB133_30 Depth=3
	s_and_not1_saveexec_b32 s47, s47
	s_cbranch_execz .LBB133_29
; %bb.39:                               ;   in Loop: Header=BB133_30 Depth=3
	v_mad_u64_u32 v[20:21], null, v18, 24, v[19:20]
	s_and_not1_b32 s48, s48, exec_lo
	ds_add_f32 v20, v33 offset:4096
	ds_add_f32 v20, v32 offset:4100
	s_branch .LBB133_29
.LBB133_40:                             ;   in Loop: Header=BB133_28 Depth=2
	s_or_b32 exec_lo, exec_lo, s46
	s_waitcnt vmcnt(0)
	v_mul_f32_e64 v18, v13, -v30
	v_mul_f32_e32 v32, v31, v13
	s_mov_b32 s46, 0
	s_delay_alu instid0(VALU_DEP_2) | instskip(NEXT) | instid1(VALU_DEP_1)
	v_fmac_f32_e32 v18, v31, v12
	v_fmac_f32_e32 v18, v24, v10
	s_delay_alu instid0(VALU_DEP_1) | instskip(SKIP_3) | instid1(VALU_DEP_2)
	v_fma_f32 v33, -v25, v11, v18
	v_mov_b32_e32 v19, v10
	v_fmac_f32_e32 v32, v30, v12
	v_mov_b32_e32 v18, v9
	v_fmac_f32_e32 v32, v25, v10
	s_delay_alu instid0(VALU_DEP_1)
	v_fmac_f32_e32 v32, v24, v11
	s_branch .LBB133_42
.LBB133_41:                             ;   in Loop: Header=BB133_42 Depth=3
	s_or_b32 exec_lo, exec_lo, s47
	s_xor_b32 s47, s48, -1
	s_delay_alu instid0(SALU_CYCLE_1) | instskip(NEXT) | instid1(SALU_CYCLE_1)
	s_and_b32 s47, exec_lo, s47
	s_or_b32 s46, s47, s46
	s_delay_alu instid0(SALU_CYCLE_1)
	s_and_not1_b32 exec_lo, exec_lo, s46
	s_cbranch_execz .LBB133_52
.LBB133_42:                             ;   Parent Loop BB133_25 Depth=1
                                        ;     Parent Loop BB133_28 Depth=2
                                        ; =>    This Inner Loop Header: Depth=3
	s_delay_alu instid0(VALU_DEP_3)
	v_lshl_add_u32 v19, v18, 3, 0
	s_mov_b32 s47, exec_lo
                                        ; implicit-def: $sgpr48
	ds_load_b64 v[20:21], v19
	s_waitcnt lgkmcnt(0)
	v_cmpx_ne_u64_e64 v[20:21], v[7:8]
	s_xor_b32 s47, exec_lo, s47
	s_cbranch_execz .LBB133_50
; %bb.43:                               ;   in Loop: Header=BB133_42 Depth=3
	s_mov_b32 s49, exec_lo
                                        ; implicit-def: $sgpr48
	v_cmpx_ne_u64_e64 s[16:17], v[20:21]
	s_xor_b32 s49, exec_lo, s49
; %bb.44:                               ;   in Loop: Header=BB133_42 Depth=3
	v_add_nc_u32_e32 v18, 1, v18
	s_mov_b32 s48, -1
                                        ; implicit-def: $vgpr19
	s_delay_alu instid0(VALU_DEP_1)
	v_and_b32_e32 v18, 0x1ff, v18
; %bb.45:                               ;   in Loop: Header=BB133_42 Depth=3
	s_and_not1_saveexec_b32 s49, s49
	s_cbranch_execz .LBB133_49
; %bb.46:                               ;   in Loop: Header=BB133_42 Depth=3
	v_dual_mov_b32 v21, s17 :: v_dual_mov_b32 v20, s16
	s_mov_b32 s51, -1
	s_mov_b32 s50, exec_lo
	ds_cmpstore_rtn_b64 v[20:21], v19, v[7:8], v[20:21]
	s_waitcnt lgkmcnt(0)
	v_cmpx_eq_u64_e64 s[16:17], v[20:21]
	s_cbranch_execz .LBB133_48
; %bb.47:                               ;   in Loop: Header=BB133_42 Depth=3
	v_mad_u64_u32 v[20:21], null, v18, 24, v[19:20]
	s_xor_b32 s51, exec_lo, -1
	ds_add_f32 v20, v33 offset:4104
	ds_add_f32 v20, v32 offset:4108
.LBB133_48:                             ;   in Loop: Header=BB133_42 Depth=3
	s_or_b32 exec_lo, exec_lo, s50
	s_delay_alu instid0(SALU_CYCLE_1) | instskip(SKIP_1) | instid1(SALU_CYCLE_1)
	s_and_not1_b32 s48, s48, exec_lo
	s_and_b32 s50, s51, exec_lo
	s_or_b32 s48, s48, s50
.LBB133_49:                             ;   in Loop: Header=BB133_42 Depth=3
	s_or_b32 exec_lo, exec_lo, s49
	s_delay_alu instid0(SALU_CYCLE_1)
	s_and_b32 s48, s48, exec_lo
                                        ; implicit-def: $vgpr19
.LBB133_50:                             ;   in Loop: Header=BB133_42 Depth=3
	s_and_not1_saveexec_b32 s47, s47
	s_cbranch_execz .LBB133_41
; %bb.51:                               ;   in Loop: Header=BB133_42 Depth=3
	v_mad_u64_u32 v[20:21], null, v18, 24, v[19:20]
	s_and_not1_b32 s48, s48, exec_lo
	ds_add_f32 v20, v33 offset:4104
	ds_add_f32 v20, v32 offset:4108
	s_branch .LBB133_41
.LBB133_52:                             ;   in Loop: Header=BB133_28 Depth=2
	s_or_b32 exec_lo, exec_lo, s46
	v_mul_f32_e64 v19, v17, -v28
	s_mov_b32 s46, 0
	s_delay_alu instid0(VALU_DEP_1) | instskip(NEXT) | instid1(VALU_DEP_1)
	v_fmac_f32_e32 v19, v29, v16
	v_dual_mul_f32 v18, v29, v17 :: v_dual_fmac_f32 v19, v26, v14
	s_delay_alu instid0(VALU_DEP_1) | instskip(NEXT) | instid1(VALU_DEP_2)
	v_fmac_f32_e32 v18, v28, v16
	v_fma_f32 v19, -v27, v15, v19
	s_delay_alu instid0(VALU_DEP_2) | instskip(NEXT) | instid1(VALU_DEP_1)
	v_fmac_f32_e32 v18, v27, v14
	v_fmac_f32_e32 v18, v26, v15
	v_dual_mov_b32 v15, v10 :: v_dual_mov_b32 v14, v9
	s_branch .LBB133_54
.LBB133_53:                             ;   in Loop: Header=BB133_54 Depth=3
	s_or_b32 exec_lo, exec_lo, s47
	s_xor_b32 s47, s48, -1
	s_delay_alu instid0(SALU_CYCLE_1) | instskip(NEXT) | instid1(SALU_CYCLE_1)
	s_and_b32 s47, exec_lo, s47
	s_or_b32 s46, s47, s46
	s_delay_alu instid0(SALU_CYCLE_1)
	s_and_not1_b32 exec_lo, exec_lo, s46
	s_cbranch_execz .LBB133_64
.LBB133_54:                             ;   Parent Loop BB133_25 Depth=1
                                        ;     Parent Loop BB133_28 Depth=2
                                        ; =>    This Inner Loop Header: Depth=3
	s_delay_alu instid0(VALU_DEP_1)
	v_lshl_add_u32 v15, v14, 3, 0
	s_mov_b32 s47, exec_lo
                                        ; implicit-def: $sgpr48
	ds_load_b64 v[16:17], v15
	s_waitcnt lgkmcnt(0)
	v_cmpx_ne_u64_e64 v[16:17], v[7:8]
	s_xor_b32 s47, exec_lo, s47
	s_cbranch_execz .LBB133_62
; %bb.55:                               ;   in Loop: Header=BB133_54 Depth=3
	s_mov_b32 s49, exec_lo
                                        ; implicit-def: $sgpr48
	v_cmpx_ne_u64_e64 s[16:17], v[16:17]
	s_xor_b32 s49, exec_lo, s49
; %bb.56:                               ;   in Loop: Header=BB133_54 Depth=3
	v_add_nc_u32_e32 v14, 1, v14
	s_mov_b32 s48, -1
                                        ; implicit-def: $vgpr15
	s_delay_alu instid0(VALU_DEP_1)
	v_and_b32_e32 v14, 0x1ff, v14
; %bb.57:                               ;   in Loop: Header=BB133_54 Depth=3
	s_and_not1_saveexec_b32 s49, s49
	s_cbranch_execz .LBB133_61
; %bb.58:                               ;   in Loop: Header=BB133_54 Depth=3
	v_dual_mov_b32 v16, s16 :: v_dual_mov_b32 v17, s17
	s_mov_b32 s51, -1
	s_mov_b32 s50, exec_lo
	ds_cmpstore_rtn_b64 v[16:17], v15, v[7:8], v[16:17]
	s_waitcnt lgkmcnt(0)
	v_cmpx_eq_u64_e64 s[16:17], v[16:17]
	s_cbranch_execz .LBB133_60
; %bb.59:                               ;   in Loop: Header=BB133_54 Depth=3
	v_mad_u64_u32 v[16:17], null, v14, 24, v[15:16]
	s_xor_b32 s51, exec_lo, -1
	ds_add_f32 v16, v19 offset:4112
	ds_add_f32 v16, v18 offset:4116
.LBB133_60:                             ;   in Loop: Header=BB133_54 Depth=3
	s_or_b32 exec_lo, exec_lo, s50
	s_delay_alu instid0(SALU_CYCLE_1) | instskip(SKIP_1) | instid1(SALU_CYCLE_1)
	s_and_not1_b32 s48, s48, exec_lo
	s_and_b32 s50, s51, exec_lo
	s_or_b32 s48, s48, s50
.LBB133_61:                             ;   in Loop: Header=BB133_54 Depth=3
	s_or_b32 exec_lo, exec_lo, s49
	s_delay_alu instid0(SALU_CYCLE_1)
	s_and_b32 s48, s48, exec_lo
                                        ; implicit-def: $vgpr15
.LBB133_62:                             ;   in Loop: Header=BB133_54 Depth=3
	s_and_not1_saveexec_b32 s47, s47
	s_cbranch_execz .LBB133_53
; %bb.63:                               ;   in Loop: Header=BB133_54 Depth=3
	v_mad_u64_u32 v[16:17], null, v14, 24, v[15:16]
	s_and_not1_b32 s48, s48, exec_lo
	ds_add_f32 v16, v19 offset:4112
	ds_add_f32 v16, v18 offset:4116
	s_branch .LBB133_53
.LBB133_64:                             ;   in Loop: Header=BB133_28 Depth=2
	s_or_b32 exec_lo, exec_lo, s46
	v_mul_f32_e64 v14, v13, -v28
	s_mov_b32 s46, 0
	s_delay_alu instid0(VALU_DEP_1) | instskip(NEXT) | instid1(VALU_DEP_1)
	v_fmac_f32_e32 v14, v29, v12
	v_dual_mul_f32 v13, v29, v13 :: v_dual_fmac_f32 v14, v26, v10
	s_delay_alu instid0(VALU_DEP_1) | instskip(NEXT) | instid1(VALU_DEP_2)
	v_fmac_f32_e32 v13, v28, v12
	v_fma_f32 v14, -v27, v11, v14
	s_delay_alu instid0(VALU_DEP_2) | instskip(NEXT) | instid1(VALU_DEP_1)
	v_fmac_f32_e32 v13, v27, v10
	v_fmac_f32_e32 v13, v26, v11
	s_branch .LBB133_66
.LBB133_65:                             ;   in Loop: Header=BB133_66 Depth=3
	s_or_b32 exec_lo, exec_lo, s47
	s_xor_b32 s47, s48, -1
	s_delay_alu instid0(SALU_CYCLE_1) | instskip(NEXT) | instid1(SALU_CYCLE_1)
	s_and_b32 s47, exec_lo, s47
	s_or_b32 s46, s47, s46
	s_delay_alu instid0(SALU_CYCLE_1)
	s_and_not1_b32 exec_lo, exec_lo, s46
	s_cbranch_execz .LBB133_27
.LBB133_66:                             ;   Parent Loop BB133_25 Depth=1
                                        ;     Parent Loop BB133_28 Depth=2
                                        ; =>    This Inner Loop Header: Depth=3
	v_lshl_add_u32 v10, v9, 3, 0
	s_mov_b32 s47, exec_lo
                                        ; implicit-def: $sgpr48
	ds_load_b64 v[11:12], v10
	s_waitcnt lgkmcnt(0)
	v_cmpx_ne_u64_e64 v[11:12], v[7:8]
	s_xor_b32 s47, exec_lo, s47
	s_cbranch_execz .LBB133_74
; %bb.67:                               ;   in Loop: Header=BB133_66 Depth=3
	s_mov_b32 s49, exec_lo
                                        ; implicit-def: $sgpr48
	v_cmpx_ne_u64_e64 s[16:17], v[11:12]
	s_xor_b32 s49, exec_lo, s49
; %bb.68:                               ;   in Loop: Header=BB133_66 Depth=3
	v_add_nc_u32_e32 v9, 1, v9
	s_mov_b32 s48, -1
                                        ; implicit-def: $vgpr10
	s_delay_alu instid0(VALU_DEP_1)
	v_and_b32_e32 v9, 0x1ff, v9
; %bb.69:                               ;   in Loop: Header=BB133_66 Depth=3
	s_and_not1_saveexec_b32 s49, s49
	s_cbranch_execz .LBB133_73
; %bb.70:                               ;   in Loop: Header=BB133_66 Depth=3
	v_dual_mov_b32 v11, s16 :: v_dual_mov_b32 v12, s17
	s_mov_b32 s51, -1
	s_mov_b32 s50, exec_lo
	ds_cmpstore_rtn_b64 v[11:12], v10, v[7:8], v[11:12]
	s_waitcnt lgkmcnt(0)
	v_cmpx_eq_u64_e64 s[16:17], v[11:12]
	s_cbranch_execz .LBB133_72
; %bb.71:                               ;   in Loop: Header=BB133_66 Depth=3
	v_mad_u64_u32 v[11:12], null, v9, 24, v[10:11]
	s_xor_b32 s51, exec_lo, -1
	ds_add_f32 v11, v14 offset:4120
	ds_add_f32 v11, v13 offset:4124
.LBB133_72:                             ;   in Loop: Header=BB133_66 Depth=3
	s_or_b32 exec_lo, exec_lo, s50
	s_delay_alu instid0(SALU_CYCLE_1) | instskip(SKIP_1) | instid1(SALU_CYCLE_1)
	s_and_not1_b32 s48, s48, exec_lo
	s_and_b32 s50, s51, exec_lo
	s_or_b32 s48, s48, s50
.LBB133_73:                             ;   in Loop: Header=BB133_66 Depth=3
	s_or_b32 exec_lo, exec_lo, s49
	s_delay_alu instid0(SALU_CYCLE_1)
	s_and_b32 s48, s48, exec_lo
                                        ; implicit-def: $vgpr10
.LBB133_74:                             ;   in Loop: Header=BB133_66 Depth=3
	s_and_not1_saveexec_b32 s47, s47
	s_cbranch_execz .LBB133_65
; %bb.75:                               ;   in Loop: Header=BB133_66 Depth=3
	v_mad_u64_u32 v[11:12], null, v9, 24, v[10:11]
	s_and_not1_b32 s48, s48, exec_lo
	ds_add_f32 v11, v14 offset:4120
	ds_add_f32 v11, v13 offset:4124
	s_branch .LBB133_65
.LBB133_76:
	s_or_b32 exec_lo, exec_lo, s20
.LBB133_77:
	s_delay_alu instid0(SALU_CYCLE_1)
	s_and_not1_b32 vcc_lo, exec_lo, s44
	s_waitcnt lgkmcnt(0)
	s_barrier
	buffer_gl0_inv
	s_cbranch_vccnz .LBB133_130
; %bb.78:
	s_lshl_b64 s[0:1], s[40:41], 3
	s_mov_b32 s3, 0
	s_add_u32 s0, s18, s0
	s_addc_u32 s1, s19, s1
	s_load_b128 s[12:15], s[0:1], 0x0
	v_sub_co_u32 v1, s0, v0, s31
	s_delay_alu instid0(VALU_DEP_1) | instskip(SKIP_1) | instid1(VALU_DEP_2)
	v_sub_co_ci_u32_e64 v2, null, 0, 0, s0
	s_waitcnt lgkmcnt(0)
	v_add_co_u32 v1, vcc_lo, s12, v1
	s_delay_alu instid0(VALU_DEP_2) | instskip(SKIP_3) | instid1(VALU_DEP_1)
	v_add_co_ci_u32_e32 v2, vcc_lo, s13, v2, vcc_lo
	s_sub_u32 s0, s14, s31
	s_subb_u32 s1, s15, 0
	s_mov_b32 s12, exec_lo
	v_cmpx_gt_i64_e64 s[0:1], v[1:2]
	s_cbranch_execz .LBB133_129
; %bb.79:
	s_cmp_eq_u32 s36, 0
	s_mov_b32 s13, s31
	s_cselect_b32 s14, 1, 2
	s_cselect_b32 s15, 2, 1
	s_branch .LBB133_81
.LBB133_80:                             ;   in Loop: Header=BB133_81 Depth=1
	s_or_b32 exec_lo, exec_lo, s18
	v_add_co_u32 v1, vcc_lo, 0x100, v1
	v_add_co_ci_u32_e32 v2, vcc_lo, 0, v2, vcc_lo
	s_delay_alu instid0(VALU_DEP_1) | instskip(SKIP_1) | instid1(SALU_CYCLE_1)
	v_cmp_le_i64_e32 vcc_lo, s[0:1], v[1:2]
	s_or_b32 s3, vcc_lo, s3
	s_and_not1_b32 exec_lo, exec_lo, s3
	s_cbranch_execz .LBB133_129
.LBB133_81:                             ; =>This Loop Header: Depth=1
                                        ;     Child Loop BB133_83 Depth 2
                                        ;     Child Loop BB133_95 Depth 2
                                        ;     Child Loop BB133_107 Depth 2
                                        ;     Child Loop BB133_119 Depth 2
	v_lshlrev_b64 v[3:4], 3, v[1:2]
	v_lshlrev_b64 v[5:6], 2, v[1:2]
	;; [unrolled: 1-line block ×3, first 2 shown]
	s_mov_b32 s18, 0
	s_delay_alu instid0(VALU_DEP_3) | instskip(NEXT) | instid1(VALU_DEP_4)
	v_add_co_u32 v3, vcc_lo, s4, v3
	v_add_co_ci_u32_e32 v4, vcc_lo, s5, v4, vcc_lo
	s_delay_alu instid0(VALU_DEP_4)
	v_or_b32_e32 v10, 0, v6
	v_or_b32_e32 v9, s14, v5
	;; [unrolled: 1-line block ×3, first 2 shown]
	global_load_b64 v[3:4], v[3:4], off
	v_or_b32_e32 v5, s15, v5
	v_add_co_u32 v7, vcc_lo, s6, v7
	v_lshlrev_b64 v[9:10], 3, v[9:10]
	v_add_co_ci_u32_e32 v8, vcc_lo, s7, v8, vcc_lo
	s_delay_alu instid0(VALU_DEP_4) | instskip(NEXT) | instid1(VALU_DEP_3)
	v_lshlrev_b64 v[5:6], 3, v[5:6]
	v_add_co_u32 v9, vcc_lo, s6, v9
	global_load_b64 v[12:13], v[7:8], off
	v_add_co_ci_u32_e32 v10, vcc_lo, s7, v10, vcc_lo
	v_add_co_u32 v14, vcc_lo, s6, v5
	v_add_co_ci_u32_e32 v15, vcc_lo, s7, v6, vcc_lo
	s_clause 0x2
	global_load_b64 v[6:7], v[7:8], off offset:24
	global_load_b64 v[10:11], v[9:10], off
	global_load_b64 v[8:9], v[14:15], off
	s_waitcnt vmcnt(4)
	v_sub_co_u32 v3, vcc_lo, v3, s13
	v_subrev_co_ci_u32_e32 v4, vcc_lo, 0, v4, vcc_lo
	s_delay_alu instid0(VALU_DEP_2) | instskip(SKIP_3) | instid1(VALU_DEP_2)
	v_mul_lo_u32 v5, 0x89, v3
	s_waitcnt vmcnt(3)
	v_mul_f32_e64 v16, v13, -s42
	v_mul_f32_e32 v17, s33, v13
	v_dual_fmac_f32 v16, s33, v12 :: v_dual_and_b32 v5, 0x1ff, v5
	s_delay_alu instid0(VALU_DEP_2) | instskip(SKIP_1) | instid1(VALU_DEP_2)
	v_fmac_f32_e32 v17, s42, v12
	s_waitcnt vmcnt(2)
	v_dual_mov_b32 v13, v6 :: v_dual_mov_b32 v12, v5
	s_branch .LBB133_83
.LBB133_82:                             ;   in Loop: Header=BB133_83 Depth=2
	s_or_b32 exec_lo, exec_lo, s19
	s_xor_b32 s19, s20, -1
	s_delay_alu instid0(SALU_CYCLE_1) | instskip(NEXT) | instid1(SALU_CYCLE_1)
	s_and_b32 s19, exec_lo, s19
	s_or_b32 s18, s19, s18
	s_delay_alu instid0(SALU_CYCLE_1)
	s_and_not1_b32 exec_lo, exec_lo, s18
	s_cbranch_execz .LBB133_93
.LBB133_83:                             ;   Parent Loop BB133_81 Depth=1
                                        ; =>  This Inner Loop Header: Depth=2
	s_delay_alu instid0(VALU_DEP_1)
	v_lshl_add_u32 v13, v12, 3, 0
	s_mov_b32 s19, exec_lo
                                        ; implicit-def: $sgpr20
	ds_load_b64 v[14:15], v13
	s_waitcnt lgkmcnt(0)
	v_cmpx_ne_u64_e64 v[14:15], v[3:4]
	s_xor_b32 s19, exec_lo, s19
	s_cbranch_execz .LBB133_91
; %bb.84:                               ;   in Loop: Header=BB133_83 Depth=2
	s_mov_b32 s21, exec_lo
                                        ; implicit-def: $sgpr20
	v_cmpx_ne_u64_e64 s[16:17], v[14:15]
	s_xor_b32 s21, exec_lo, s21
; %bb.85:                               ;   in Loop: Header=BB133_83 Depth=2
	v_add_nc_u32_e32 v12, 1, v12
	s_mov_b32 s20, -1
                                        ; implicit-def: $vgpr13
	s_delay_alu instid0(VALU_DEP_1)
	v_and_b32_e32 v12, 0x1ff, v12
; %bb.86:                               ;   in Loop: Header=BB133_83 Depth=2
	s_and_not1_saveexec_b32 s21, s21
	s_cbranch_execz .LBB133_90
; %bb.87:                               ;   in Loop: Header=BB133_83 Depth=2
	v_dual_mov_b32 v14, s16 :: v_dual_mov_b32 v15, s17
	s_mov_b32 s23, -1
	s_mov_b32 s22, exec_lo
	ds_cmpstore_rtn_b64 v[14:15], v13, v[3:4], v[14:15]
	s_waitcnt lgkmcnt(0)
	v_cmpx_eq_u64_e64 s[16:17], v[14:15]
	s_cbranch_execz .LBB133_89
; %bb.88:                               ;   in Loop: Header=BB133_83 Depth=2
	v_mad_u64_u32 v[14:15], null, v12, 24, v[13:14]
	s_xor_b32 s23, exec_lo, -1
	ds_add_f32 v14, v16 offset:4096
	ds_add_f32 v14, v17 offset:4100
.LBB133_89:                             ;   in Loop: Header=BB133_83 Depth=2
	s_or_b32 exec_lo, exec_lo, s22
	s_delay_alu instid0(SALU_CYCLE_1) | instskip(SKIP_1) | instid1(SALU_CYCLE_1)
	s_and_not1_b32 s20, s20, exec_lo
	s_and_b32 s22, s23, exec_lo
	s_or_b32 s20, s20, s22
.LBB133_90:                             ;   in Loop: Header=BB133_83 Depth=2
	s_or_b32 exec_lo, exec_lo, s21
	s_delay_alu instid0(SALU_CYCLE_1)
	s_and_b32 s20, s20, exec_lo
                                        ; implicit-def: $vgpr13
.LBB133_91:                             ;   in Loop: Header=BB133_83 Depth=2
	s_and_not1_saveexec_b32 s19, s19
	s_cbranch_execz .LBB133_82
; %bb.92:                               ;   in Loop: Header=BB133_83 Depth=2
	v_mad_u64_u32 v[14:15], null, v12, 24, v[13:14]
	s_and_not1_b32 s20, s20, exec_lo
	ds_add_f32 v14, v16 offset:4096
	ds_add_f32 v14, v17 offset:4100
	s_branch .LBB133_82
.LBB133_93:                             ;   in Loop: Header=BB133_81 Depth=1
	s_or_b32 exec_lo, exec_lo, s18
	s_waitcnt vmcnt(1)
	v_mul_f32_e64 v14, v11, -s42
	v_mul_f32_e32 v15, s33, v11
	s_mov_b32 s18, 0
	s_delay_alu instid0(VALU_DEP_2) | instskip(NEXT) | instid1(VALU_DEP_2)
	v_fmac_f32_e32 v14, s33, v10
	v_fmac_f32_e32 v15, s42, v10
	v_dual_mov_b32 v11, v6 :: v_dual_mov_b32 v10, v5
	s_branch .LBB133_95
.LBB133_94:                             ;   in Loop: Header=BB133_95 Depth=2
	s_or_b32 exec_lo, exec_lo, s19
	s_xor_b32 s19, s20, -1
	s_delay_alu instid0(SALU_CYCLE_1) | instskip(NEXT) | instid1(SALU_CYCLE_1)
	s_and_b32 s19, exec_lo, s19
	s_or_b32 s18, s19, s18
	s_delay_alu instid0(SALU_CYCLE_1)
	s_and_not1_b32 exec_lo, exec_lo, s18
	s_cbranch_execz .LBB133_105
.LBB133_95:                             ;   Parent Loop BB133_81 Depth=1
                                        ; =>  This Inner Loop Header: Depth=2
	s_delay_alu instid0(VALU_DEP_1)
	v_lshl_add_u32 v11, v10, 3, 0
	s_mov_b32 s19, exec_lo
                                        ; implicit-def: $sgpr20
	ds_load_b64 v[12:13], v11
	s_waitcnt lgkmcnt(0)
	v_cmpx_ne_u64_e64 v[12:13], v[3:4]
	s_xor_b32 s19, exec_lo, s19
	s_cbranch_execz .LBB133_103
; %bb.96:                               ;   in Loop: Header=BB133_95 Depth=2
	s_mov_b32 s21, exec_lo
                                        ; implicit-def: $sgpr20
	v_cmpx_ne_u64_e64 s[16:17], v[12:13]
	s_xor_b32 s21, exec_lo, s21
; %bb.97:                               ;   in Loop: Header=BB133_95 Depth=2
	v_add_nc_u32_e32 v10, 1, v10
	s_mov_b32 s20, -1
                                        ; implicit-def: $vgpr11
	s_delay_alu instid0(VALU_DEP_1)
	v_and_b32_e32 v10, 0x1ff, v10
; %bb.98:                               ;   in Loop: Header=BB133_95 Depth=2
	s_and_not1_saveexec_b32 s21, s21
	s_cbranch_execz .LBB133_102
; %bb.99:                               ;   in Loop: Header=BB133_95 Depth=2
	v_dual_mov_b32 v12, s16 :: v_dual_mov_b32 v13, s17
	s_mov_b32 s23, -1
	s_mov_b32 s22, exec_lo
	ds_cmpstore_rtn_b64 v[12:13], v11, v[3:4], v[12:13]
	s_waitcnt lgkmcnt(0)
	v_cmpx_eq_u64_e64 s[16:17], v[12:13]
	s_cbranch_execz .LBB133_101
; %bb.100:                              ;   in Loop: Header=BB133_95 Depth=2
	v_mad_u64_u32 v[12:13], null, v10, 24, v[11:12]
	s_xor_b32 s23, exec_lo, -1
	ds_add_f32 v12, v14 offset:4104
	ds_add_f32 v12, v15 offset:4108
.LBB133_101:                            ;   in Loop: Header=BB133_95 Depth=2
	s_or_b32 exec_lo, exec_lo, s22
	s_delay_alu instid0(SALU_CYCLE_1) | instskip(SKIP_1) | instid1(SALU_CYCLE_1)
	s_and_not1_b32 s20, s20, exec_lo
	s_and_b32 s22, s23, exec_lo
	s_or_b32 s20, s20, s22
.LBB133_102:                            ;   in Loop: Header=BB133_95 Depth=2
	s_or_b32 exec_lo, exec_lo, s21
	s_delay_alu instid0(SALU_CYCLE_1)
	s_and_b32 s20, s20, exec_lo
                                        ; implicit-def: $vgpr11
.LBB133_103:                            ;   in Loop: Header=BB133_95 Depth=2
	s_and_not1_saveexec_b32 s19, s19
	s_cbranch_execz .LBB133_94
; %bb.104:                              ;   in Loop: Header=BB133_95 Depth=2
	v_mad_u64_u32 v[12:13], null, v10, 24, v[11:12]
	s_and_not1_b32 s20, s20, exec_lo
	ds_add_f32 v12, v14 offset:4104
	ds_add_f32 v12, v15 offset:4108
	s_branch .LBB133_94
.LBB133_105:                            ;   in Loop: Header=BB133_81 Depth=1
	s_or_b32 exec_lo, exec_lo, s18
	s_waitcnt vmcnt(0)
	v_mul_f32_e64 v12, v9, -s42
	v_mul_f32_e32 v13, s33, v9
	s_mov_b32 s18, 0
	s_delay_alu instid0(VALU_DEP_2) | instskip(NEXT) | instid1(VALU_DEP_2)
	v_fmac_f32_e32 v12, s33, v8
	v_fmac_f32_e32 v13, s42, v8
	v_dual_mov_b32 v9, v6 :: v_dual_mov_b32 v8, v5
	s_branch .LBB133_107
.LBB133_106:                            ;   in Loop: Header=BB133_107 Depth=2
	s_or_b32 exec_lo, exec_lo, s19
	s_xor_b32 s19, s20, -1
	s_delay_alu instid0(SALU_CYCLE_1) | instskip(NEXT) | instid1(SALU_CYCLE_1)
	s_and_b32 s19, exec_lo, s19
	s_or_b32 s18, s19, s18
	s_delay_alu instid0(SALU_CYCLE_1)
	s_and_not1_b32 exec_lo, exec_lo, s18
	s_cbranch_execz .LBB133_117
.LBB133_107:                            ;   Parent Loop BB133_81 Depth=1
                                        ; =>  This Inner Loop Header: Depth=2
	s_delay_alu instid0(VALU_DEP_1)
	v_lshl_add_u32 v9, v8, 3, 0
	s_mov_b32 s19, exec_lo
                                        ; implicit-def: $sgpr20
	ds_load_b64 v[10:11], v9
	s_waitcnt lgkmcnt(0)
	v_cmpx_ne_u64_e64 v[10:11], v[3:4]
	s_xor_b32 s19, exec_lo, s19
	s_cbranch_execz .LBB133_115
; %bb.108:                              ;   in Loop: Header=BB133_107 Depth=2
	s_mov_b32 s21, exec_lo
                                        ; implicit-def: $sgpr20
	v_cmpx_ne_u64_e64 s[16:17], v[10:11]
	s_xor_b32 s21, exec_lo, s21
; %bb.109:                              ;   in Loop: Header=BB133_107 Depth=2
	v_add_nc_u32_e32 v8, 1, v8
	s_mov_b32 s20, -1
                                        ; implicit-def: $vgpr9
	s_delay_alu instid0(VALU_DEP_1)
	v_and_b32_e32 v8, 0x1ff, v8
; %bb.110:                              ;   in Loop: Header=BB133_107 Depth=2
	s_and_not1_saveexec_b32 s21, s21
	s_cbranch_execz .LBB133_114
; %bb.111:                              ;   in Loop: Header=BB133_107 Depth=2
	v_dual_mov_b32 v10, s16 :: v_dual_mov_b32 v11, s17
	s_mov_b32 s23, -1
	s_mov_b32 s22, exec_lo
	ds_cmpstore_rtn_b64 v[10:11], v9, v[3:4], v[10:11]
	s_waitcnt lgkmcnt(0)
	v_cmpx_eq_u64_e64 s[16:17], v[10:11]
	s_cbranch_execz .LBB133_113
; %bb.112:                              ;   in Loop: Header=BB133_107 Depth=2
	v_mad_u64_u32 v[10:11], null, v8, 24, v[9:10]
	s_xor_b32 s23, exec_lo, -1
	ds_add_f32 v10, v12 offset:4112
	ds_add_f32 v10, v13 offset:4116
.LBB133_113:                            ;   in Loop: Header=BB133_107 Depth=2
	s_or_b32 exec_lo, exec_lo, s22
	s_delay_alu instid0(SALU_CYCLE_1) | instskip(SKIP_1) | instid1(SALU_CYCLE_1)
	s_and_not1_b32 s20, s20, exec_lo
	s_and_b32 s22, s23, exec_lo
	s_or_b32 s20, s20, s22
.LBB133_114:                            ;   in Loop: Header=BB133_107 Depth=2
	s_or_b32 exec_lo, exec_lo, s21
	s_delay_alu instid0(SALU_CYCLE_1)
	s_and_b32 s20, s20, exec_lo
                                        ; implicit-def: $vgpr9
.LBB133_115:                            ;   in Loop: Header=BB133_107 Depth=2
	s_and_not1_saveexec_b32 s19, s19
	s_cbranch_execz .LBB133_106
; %bb.116:                              ;   in Loop: Header=BB133_107 Depth=2
	v_mad_u64_u32 v[10:11], null, v8, 24, v[9:10]
	s_and_not1_b32 s20, s20, exec_lo
	ds_add_f32 v10, v12 offset:4112
	ds_add_f32 v10, v13 offset:4116
	s_branch .LBB133_106
.LBB133_117:                            ;   in Loop: Header=BB133_81 Depth=1
	s_or_b32 exec_lo, exec_lo, s18
	v_mul_f32_e64 v9, v7, -s42
	v_mul_f32_e32 v10, s33, v7
	s_mov_b32 s18, 0
	s_delay_alu instid0(VALU_DEP_2) | instskip(NEXT) | instid1(VALU_DEP_2)
	v_fmac_f32_e32 v9, s33, v6
	v_fmac_f32_e32 v10, s42, v6
	s_branch .LBB133_119
.LBB133_118:                            ;   in Loop: Header=BB133_119 Depth=2
	s_or_b32 exec_lo, exec_lo, s19
	s_xor_b32 s19, s20, -1
	s_delay_alu instid0(SALU_CYCLE_1) | instskip(NEXT) | instid1(SALU_CYCLE_1)
	s_and_b32 s19, exec_lo, s19
	s_or_b32 s18, s19, s18
	s_delay_alu instid0(SALU_CYCLE_1)
	s_and_not1_b32 exec_lo, exec_lo, s18
	s_cbranch_execz .LBB133_80
.LBB133_119:                            ;   Parent Loop BB133_81 Depth=1
                                        ; =>  This Inner Loop Header: Depth=2
	v_lshl_add_u32 v6, v5, 3, 0
	s_mov_b32 s19, exec_lo
                                        ; implicit-def: $sgpr20
	ds_load_b64 v[7:8], v6
	s_waitcnt lgkmcnt(0)
	v_cmpx_ne_u64_e64 v[7:8], v[3:4]
	s_xor_b32 s19, exec_lo, s19
	s_cbranch_execz .LBB133_127
; %bb.120:                              ;   in Loop: Header=BB133_119 Depth=2
	s_mov_b32 s21, exec_lo
                                        ; implicit-def: $sgpr20
	v_cmpx_ne_u64_e64 s[16:17], v[7:8]
	s_xor_b32 s21, exec_lo, s21
; %bb.121:                              ;   in Loop: Header=BB133_119 Depth=2
	v_add_nc_u32_e32 v5, 1, v5
	s_mov_b32 s20, -1
                                        ; implicit-def: $vgpr6
	s_delay_alu instid0(VALU_DEP_1)
	v_and_b32_e32 v5, 0x1ff, v5
; %bb.122:                              ;   in Loop: Header=BB133_119 Depth=2
	s_and_not1_saveexec_b32 s21, s21
	s_cbranch_execz .LBB133_126
; %bb.123:                              ;   in Loop: Header=BB133_119 Depth=2
	v_dual_mov_b32 v7, s16 :: v_dual_mov_b32 v8, s17
	s_mov_b32 s23, -1
	s_mov_b32 s22, exec_lo
	ds_cmpstore_rtn_b64 v[7:8], v6, v[3:4], v[7:8]
	s_waitcnt lgkmcnt(0)
	v_cmpx_eq_u64_e64 s[16:17], v[7:8]
	s_cbranch_execz .LBB133_125
; %bb.124:                              ;   in Loop: Header=BB133_119 Depth=2
	v_mad_u64_u32 v[7:8], null, v5, 24, v[6:7]
	s_xor_b32 s23, exec_lo, -1
	ds_add_f32 v7, v9 offset:4120
	ds_add_f32 v7, v10 offset:4124
.LBB133_125:                            ;   in Loop: Header=BB133_119 Depth=2
	s_or_b32 exec_lo, exec_lo, s22
	s_delay_alu instid0(SALU_CYCLE_1) | instskip(SKIP_1) | instid1(SALU_CYCLE_1)
	s_and_not1_b32 s20, s20, exec_lo
	s_and_b32 s22, s23, exec_lo
	s_or_b32 s20, s20, s22
.LBB133_126:                            ;   in Loop: Header=BB133_119 Depth=2
	s_or_b32 exec_lo, exec_lo, s21
	s_delay_alu instid0(SALU_CYCLE_1)
	s_and_b32 s20, s20, exec_lo
                                        ; implicit-def: $vgpr6
.LBB133_127:                            ;   in Loop: Header=BB133_119 Depth=2
	s_and_not1_saveexec_b32 s19, s19
	s_cbranch_execz .LBB133_118
; %bb.128:                              ;   in Loop: Header=BB133_119 Depth=2
	v_mad_u64_u32 v[7:8], null, v5, 24, v[6:7]
	s_and_not1_b32 s20, s20, exec_lo
	ds_add_f32 v7, v9 offset:4120
	ds_add_f32 v7, v10 offset:4124
	s_branch .LBB133_118
.LBB133_129:
	s_or_b32 exec_lo, exec_lo, s12
.LBB133_130:
	s_waitcnt lgkmcnt(0)
	s_barrier
	buffer_gl0_inv
	s_and_saveexec_b32 s0, s2
	s_cbranch_execz .LBB133_137
; %bb.131:
	s_lshl_b64 s[0:1], s[40:41], 3
	s_delay_alu instid0(SALU_CYCLE_1)
	s_add_u32 s0, s8, s0
	s_addc_u32 s1, s9, s1
	s_load_b64 s[0:1], s[0:1], 0x0
	s_waitcnt lgkmcnt(0)
	s_sub_u32 s2, s0, s30
	s_subb_u32 s3, s1, 0
	s_cmp_eq_u32 s36, 0
	s_mov_b32 s1, 0
	s_cselect_b32 s4, 1, 2
	s_cselect_b32 s5, 2, 1
	s_add_i32 s6, 0, 0x1000
	s_branch .LBB133_133
.LBB133_132:                            ;   in Loop: Header=BB133_133 Depth=1
	s_or_b32 exec_lo, exec_lo, s7
	v_add_nc_u32_e32 v1, 0x100, v0
	v_cmp_lt_u32_e32 vcc_lo, 0xff, v0
	s_delay_alu instid0(VALU_DEP_2) | instskip(SKIP_1) | instid1(SALU_CYCLE_1)
	v_mov_b32_e32 v0, v1
	s_or_b32 s1, vcc_lo, s1
	s_and_not1_b32 exec_lo, exec_lo, s1
	s_cbranch_execz .LBB133_137
.LBB133_133:                            ; =>This Loop Header: Depth=1
                                        ;     Child Loop BB133_135 Depth 2
	s_delay_alu instid0(VALU_DEP_1)
	v_lshl_add_u32 v1, v0, 3, 0
	s_mov_b32 s7, exec_lo
	ds_load_b64 v[1:2], v1
	s_waitcnt lgkmcnt(0)
	v_cmpx_gt_i64_e64 s[16:17], v[1:2]
	s_cbranch_execz .LBB133_132
; %bb.134:                              ;   in Loop: Header=BB133_133 Depth=1
	v_dual_mov_b32 v4, s3 :: v_dual_mov_b32 v3, s2
	s_mov_b32 s8, 0
.LBB133_135:                            ;   Parent Loop BB133_133 Depth=1
                                        ; =>  This Inner Loop Header: Depth=2
	s_delay_alu instid0(SALU_CYCLE_1)
	s_add_i32 s0, s8, 0
	s_addk_i32 s8, 0x80
	v_mov_b32_e32 v33, s0
	s_cmpk_lg_i32 s8, 0x1000
	ds_load_2addr_b64 v[5:8], v33 offset1:1
	ds_load_2addr_b64 v[9:12], v33 offset0:2 offset1:3
	ds_load_2addr_b64 v[13:16], v33 offset0:4 offset1:5
	;; [unrolled: 1-line block ×7, first 2 shown]
	s_waitcnt lgkmcnt(7)
	v_cmp_gt_i64_e32 vcc_lo, v[1:2], v[5:6]
	v_cndmask_b32_e64 v5, 0, 1, vcc_lo
	v_cmp_gt_i64_e32 vcc_lo, v[1:2], v[7:8]
	v_cndmask_b32_e64 v6, 0, 1, vcc_lo
	s_waitcnt lgkmcnt(6)
	v_cmp_gt_i64_e32 vcc_lo, v[1:2], v[9:10]
	v_cndmask_b32_e64 v7, 0, 1, vcc_lo
	v_cmp_gt_i64_e32 vcc_lo, v[1:2], v[11:12]
	v_cndmask_b32_e64 v8, 0, 1, vcc_lo
	;; [unrolled: 5-line block ×4, first 2 shown]
	s_waitcnt lgkmcnt(3)
	v_cmp_gt_i64_e32 vcc_lo, v[1:2], v[21:22]
	v_cndmask_b32_e64 v13, 0, 1, vcc_lo
	v_add_co_u32 v3, vcc_lo, v3, v5
	v_add_co_ci_u32_e32 v4, vcc_lo, 0, v4, vcc_lo
	v_cmp_gt_i64_e32 vcc_lo, v[1:2], v[23:24]
	s_delay_alu instid0(VALU_DEP_3) | instskip(NEXT) | instid1(VALU_DEP_1)
	v_add_co_u32 v3, s0, v3, v6
	v_add_co_ci_u32_e64 v4, s0, 0, v4, s0
	v_cndmask_b32_e64 v5, 0, 1, vcc_lo
	s_delay_alu instid0(VALU_DEP_3) | instskip(NEXT) | instid1(VALU_DEP_3)
	v_add_co_u32 v3, vcc_lo, v3, v7
	v_add_co_ci_u32_e32 v4, vcc_lo, 0, v4, vcc_lo
	s_waitcnt lgkmcnt(2)
	v_cmp_gt_i64_e32 vcc_lo, v[1:2], v[25:26]
	s_delay_alu instid0(VALU_DEP_3) | instskip(NEXT) | instid1(VALU_DEP_1)
	v_add_co_u32 v3, s0, v3, v8
	v_add_co_ci_u32_e64 v4, s0, 0, v4, s0
	v_cndmask_b32_e64 v6, 0, 1, vcc_lo
	s_delay_alu instid0(VALU_DEP_3) | instskip(NEXT) | instid1(VALU_DEP_3)
	v_add_co_u32 v3, vcc_lo, v3, v9
	v_add_co_ci_u32_e32 v4, vcc_lo, 0, v4, vcc_lo
	v_cmp_gt_i64_e32 vcc_lo, v[1:2], v[27:28]
	s_delay_alu instid0(VALU_DEP_3) | instskip(NEXT) | instid1(VALU_DEP_1)
	v_add_co_u32 v3, s0, v3, v10
	v_add_co_ci_u32_e64 v4, s0, 0, v4, s0
	v_cndmask_b32_e64 v7, 0, 1, vcc_lo
	s_delay_alu instid0(VALU_DEP_3) | instskip(NEXT) | instid1(VALU_DEP_3)
	v_add_co_u32 v3, vcc_lo, v3, v11
	v_add_co_ci_u32_e32 v4, vcc_lo, 0, v4, vcc_lo
	s_waitcnt lgkmcnt(1)
	v_cmp_gt_i64_e32 vcc_lo, v[1:2], v[29:30]
	s_delay_alu instid0(VALU_DEP_3) | instskip(NEXT) | instid1(VALU_DEP_1)
	v_add_co_u32 v3, s0, v3, v12
	v_add_co_ci_u32_e64 v4, s0, 0, v4, s0
	v_cndmask_b32_e64 v8, 0, 1, vcc_lo
	s_delay_alu instid0(VALU_DEP_3) | instskip(NEXT) | instid1(VALU_DEP_3)
	;; [unrolled: 17-line block ×3, first 2 shown]
	v_add_co_u32 v3, vcc_lo, v3, v8
	v_add_co_ci_u32_e32 v4, vcc_lo, 0, v4, vcc_lo
	v_cmp_gt_i64_e32 vcc_lo, v[1:2], v[35:36]
	s_delay_alu instid0(VALU_DEP_3) | instskip(NEXT) | instid1(VALU_DEP_1)
	v_add_co_u32 v3, s0, v3, v5
	v_add_co_ci_u32_e64 v4, s0, 0, v4, s0
	v_cndmask_b32_e64 v5, 0, 1, vcc_lo
	s_delay_alu instid0(VALU_DEP_3) | instskip(NEXT) | instid1(VALU_DEP_3)
	v_add_co_u32 v3, vcc_lo, v3, v6
	v_add_co_ci_u32_e32 v4, vcc_lo, 0, v4, vcc_lo
	s_delay_alu instid0(VALU_DEP_2) | instskip(NEXT) | instid1(VALU_DEP_2)
	v_add_co_u32 v3, vcc_lo, v3, v5
	v_add_co_ci_u32_e32 v4, vcc_lo, 0, v4, vcc_lo
	s_cbranch_scc1 .LBB133_135
; %bb.136:                              ;   in Loop: Header=BB133_133 Depth=1
	v_lshlrev_b32_e32 v5, 2, v0
	v_lshl_add_u32 v11, v0, 5, s6
	s_delay_alu instid0(VALU_DEP_3) | instskip(SKIP_1) | instid1(VALU_DEP_4)
	v_lshlrev_b64 v[13:14], 3, v[3:4]
	v_add_co_u32 v1, vcc_lo, v1, s30
	v_or_b32_e32 v6, s5, v5
	v_or_b32_e32 v5, s4, v5
	v_lshlrev_b64 v[3:4], 5, v[3:4]
	v_add_co_ci_u32_e32 v2, vcc_lo, 0, v2, vcc_lo
	s_delay_alu instid0(VALU_DEP_4) | instskip(NEXT) | instid1(VALU_DEP_4)
	v_lshl_add_u32 v7, v6, 3, s6
	v_lshl_add_u32 v8, v5, 3, s6
	v_add_co_u32 v13, vcc_lo, s10, v13
	ds_load_2addr_b32 v[5:6], v11 offset1:1
	ds_load_2addr_b32 v[9:10], v7 offset1:1
	;; [unrolled: 1-line block ×3, first 2 shown]
	ds_load_2addr_b32 v[11:12], v11 offset0:6 offset1:7
	v_add_co_ci_u32_e32 v14, vcc_lo, s11, v14, vcc_lo
	v_add_co_u32 v3, vcc_lo, s34, v3
	v_add_co_ci_u32_e32 v4, vcc_lo, s35, v4, vcc_lo
	global_store_b64 v[13:14], v[1:2], off
	s_waitcnt lgkmcnt(1)
	global_store_b128 v[3:4], v[5:8], off
	s_waitcnt lgkmcnt(0)
	global_store_b128 v[3:4], v[9:12], off offset:16
	s_branch .LBB133_132
.LBB133_137:
	s_nop 0
	s_sendmsg sendmsg(MSG_DEALLOC_VGPRS)
	s_endpgm
	.section	.rodata,"a",@progbits
	.p2align	6, 0x0
	.amdhsa_kernel _ZN9rocsparseL30bsrgemm_fill_block_per_row_2x2ILj256ELj16ELj512ELj137Ell21rocsparse_complex_numIfEEEv20rocsparse_direction_T4_S4_PKS4_S6_NS_24const_host_device_scalarIT5_EEPKT3_S6_PKS8_SC_S6_SE_S9_SC_S6_SE_SC_PS4_PS8_21rocsparse_index_base_SH_SH_SH_bbb
		.amdhsa_group_segment_fixed_size 0
		.amdhsa_private_segment_fixed_size 0
		.amdhsa_kernarg_size 172
		.amdhsa_user_sgpr_count 15
		.amdhsa_user_sgpr_dispatch_ptr 0
		.amdhsa_user_sgpr_queue_ptr 0
		.amdhsa_user_sgpr_kernarg_segment_ptr 1
		.amdhsa_user_sgpr_dispatch_id 0
		.amdhsa_user_sgpr_private_segment_size 0
		.amdhsa_wavefront_size32 1
		.amdhsa_uses_dynamic_stack 0
		.amdhsa_enable_private_segment 0
		.amdhsa_system_sgpr_workgroup_id_x 1
		.amdhsa_system_sgpr_workgroup_id_y 0
		.amdhsa_system_sgpr_workgroup_id_z 0
		.amdhsa_system_sgpr_workgroup_info 0
		.amdhsa_system_vgpr_workitem_id 0
		.amdhsa_next_free_vgpr 37
		.amdhsa_next_free_sgpr 52
		.amdhsa_reserve_vcc 1
		.amdhsa_float_round_mode_32 0
		.amdhsa_float_round_mode_16_64 0
		.amdhsa_float_denorm_mode_32 3
		.amdhsa_float_denorm_mode_16_64 3
		.amdhsa_dx10_clamp 1
		.amdhsa_ieee_mode 1
		.amdhsa_fp16_overflow 0
		.amdhsa_workgroup_processor_mode 1
		.amdhsa_memory_ordered 1
		.amdhsa_forward_progress 0
		.amdhsa_shared_vgpr_count 0
		.amdhsa_exception_fp_ieee_invalid_op 0
		.amdhsa_exception_fp_denorm_src 0
		.amdhsa_exception_fp_ieee_div_zero 0
		.amdhsa_exception_fp_ieee_overflow 0
		.amdhsa_exception_fp_ieee_underflow 0
		.amdhsa_exception_fp_ieee_inexact 0
		.amdhsa_exception_int_div_zero 0
	.end_amdhsa_kernel
	.section	.text._ZN9rocsparseL30bsrgemm_fill_block_per_row_2x2ILj256ELj16ELj512ELj137Ell21rocsparse_complex_numIfEEEv20rocsparse_direction_T4_S4_PKS4_S6_NS_24const_host_device_scalarIT5_EEPKT3_S6_PKS8_SC_S6_SE_S9_SC_S6_SE_SC_PS4_PS8_21rocsparse_index_base_SH_SH_SH_bbb,"axG",@progbits,_ZN9rocsparseL30bsrgemm_fill_block_per_row_2x2ILj256ELj16ELj512ELj137Ell21rocsparse_complex_numIfEEEv20rocsparse_direction_T4_S4_PKS4_S6_NS_24const_host_device_scalarIT5_EEPKT3_S6_PKS8_SC_S6_SE_S9_SC_S6_SE_SC_PS4_PS8_21rocsparse_index_base_SH_SH_SH_bbb,comdat
.Lfunc_end133:
	.size	_ZN9rocsparseL30bsrgemm_fill_block_per_row_2x2ILj256ELj16ELj512ELj137Ell21rocsparse_complex_numIfEEEv20rocsparse_direction_T4_S4_PKS4_S6_NS_24const_host_device_scalarIT5_EEPKT3_S6_PKS8_SC_S6_SE_S9_SC_S6_SE_SC_PS4_PS8_21rocsparse_index_base_SH_SH_SH_bbb, .Lfunc_end133-_ZN9rocsparseL30bsrgemm_fill_block_per_row_2x2ILj256ELj16ELj512ELj137Ell21rocsparse_complex_numIfEEEv20rocsparse_direction_T4_S4_PKS4_S6_NS_24const_host_device_scalarIT5_EEPKT3_S6_PKS8_SC_S6_SE_S9_SC_S6_SE_SC_PS4_PS8_21rocsparse_index_base_SH_SH_SH_bbb
                                        ; -- End function
	.section	.AMDGPU.csdata,"",@progbits
; Kernel info:
; codeLenInByte = 5232
; NumSgprs: 54
; NumVgprs: 37
; ScratchSize: 0
; MemoryBound: 0
; FloatMode: 240
; IeeeMode: 1
; LDSByteSize: 0 bytes/workgroup (compile time only)
; SGPRBlocks: 6
; VGPRBlocks: 4
; NumSGPRsForWavesPerEU: 54
; NumVGPRsForWavesPerEU: 37
; Occupancy: 16
; WaveLimiterHint : 1
; COMPUTE_PGM_RSRC2:SCRATCH_EN: 0
; COMPUTE_PGM_RSRC2:USER_SGPR: 15
; COMPUTE_PGM_RSRC2:TRAP_HANDLER: 0
; COMPUTE_PGM_RSRC2:TGID_X_EN: 1
; COMPUTE_PGM_RSRC2:TGID_Y_EN: 0
; COMPUTE_PGM_RSRC2:TGID_Z_EN: 0
; COMPUTE_PGM_RSRC2:TIDIG_COMP_CNT: 0
	.section	.text._ZN9rocsparseL38bsrgemm_block_per_row_atomic_multipassILj256ELj256ELj2Ell21rocsparse_complex_numIfEEEv20rocsparse_direction_T3_S4_PKS4_S6_NS_24const_host_device_scalarIT4_EEPKT2_S6_PKS8_SC_S6_SE_S9_SC_S6_SE_SC_PS4_PS8_PSA_21rocsparse_index_base_SI_SI_SI_bbb,"axG",@progbits,_ZN9rocsparseL38bsrgemm_block_per_row_atomic_multipassILj256ELj256ELj2Ell21rocsparse_complex_numIfEEEv20rocsparse_direction_T3_S4_PKS4_S6_NS_24const_host_device_scalarIT4_EEPKT2_S6_PKS8_SC_S6_SE_S9_SC_S6_SE_SC_PS4_PS8_PSA_21rocsparse_index_base_SI_SI_SI_bbb,comdat
	.globl	_ZN9rocsparseL38bsrgemm_block_per_row_atomic_multipassILj256ELj256ELj2Ell21rocsparse_complex_numIfEEEv20rocsparse_direction_T3_S4_PKS4_S6_NS_24const_host_device_scalarIT4_EEPKT2_S6_PKS8_SC_S6_SE_S9_SC_S6_SE_SC_PS4_PS8_PSA_21rocsparse_index_base_SI_SI_SI_bbb ; -- Begin function _ZN9rocsparseL38bsrgemm_block_per_row_atomic_multipassILj256ELj256ELj2Ell21rocsparse_complex_numIfEEEv20rocsparse_direction_T3_S4_PKS4_S6_NS_24const_host_device_scalarIT4_EEPKT2_S6_PKS8_SC_S6_SE_S9_SC_S6_SE_SC_PS4_PS8_PSA_21rocsparse_index_base_SI_SI_SI_bbb
	.p2align	8
	.type	_ZN9rocsparseL38bsrgemm_block_per_row_atomic_multipassILj256ELj256ELj2Ell21rocsparse_complex_numIfEEEv20rocsparse_direction_T3_S4_PKS4_S6_NS_24const_host_device_scalarIT4_EEPKT2_S6_PKS8_SC_S6_SE_S9_SC_S6_SE_SC_PS4_PS8_PSA_21rocsparse_index_base_SI_SI_SI_bbb,@function
_ZN9rocsparseL38bsrgemm_block_per_row_atomic_multipassILj256ELj256ELj2Ell21rocsparse_complex_numIfEEEv20rocsparse_direction_T3_S4_PKS4_S6_NS_24const_host_device_scalarIT4_EEPKT2_S6_PKS8_SC_S6_SE_S9_SC_S6_SE_SC_PS4_PS8_PSA_21rocsparse_index_base_SI_SI_SI_bbb: ; @_ZN9rocsparseL38bsrgemm_block_per_row_atomic_multipassILj256ELj256ELj2Ell21rocsparse_complex_numIfEEEv20rocsparse_direction_T3_S4_PKS4_S6_NS_24const_host_device_scalarIT4_EEPKT2_S6_PKS8_SC_S6_SE_S9_SC_S6_SE_SC_PS4_PS8_PSA_21rocsparse_index_base_SI_SI_SI_bbb
; %bb.0:
	s_mov_b32 s2, s15
	s_clause 0x5
	s_load_b32 s9, s[0:1], 0xb0
	s_load_b256 s[12:19], s[0:1], 0x90
	s_load_b256 s[20:27], s[0:1], 0x70
	;; [unrolled: 1-line block ×3, first 2 shown]
	s_load_b128 s[4:7], s[0:1], 0x18
	s_load_b256 s[44:51], s[0:1], 0x30
	s_mov_b32 s35, 0
	s_mov_b32 s33, 0
	s_waitcnt lgkmcnt(0)
	s_bitcmp1_b32 s9, 0
	s_cselect_b32 s8, -1, 0
	s_bitcmp1_b32 s9, 16
	s_cselect_b32 s3, -1, 0
	s_delay_alu instid0(SALU_CYCLE_1)
	s_xor_b32 s3, s3, -1
	s_bitcmp0_b32 s9, 0
	s_cbranch_scc1 .LBB134_5
; %bb.1:
	s_load_b64 s[34:35], s[0:1], 0x28
	s_and_not1_b32 vcc_lo, exec_lo, s3
	s_waitcnt lgkmcnt(0)
	s_mov_b32 s33, s34
	s_cbranch_vccnz .LBB134_3
; %bb.2:
	s_load_b32 s33, s[34:35], 0x0
.LBB134_3:
	s_and_not1_b32 vcc_lo, exec_lo, s3
	s_cbranch_vccnz .LBB134_5
; %bb.4:
	s_load_b32 s35, s[34:35], 0x4
.LBB134_5:
	s_bitcmp1_b32 s9, 8
	s_mov_b32 s57, 0
	s_cselect_b32 s34, -1, 0
	s_bfe_u32 s9, s9, 0x10008
	s_mov_b32 s56, 0
	s_cmp_eq_u32 s9, 0
	s_cbranch_scc1 .LBB134_11
; %bb.6:
	v_cndmask_b32_e64 v1, 0, 1, s3
	s_and_not1_b32 vcc_lo, exec_lo, s3
	s_mov_b32 s56, s40
	s_cbranch_vccnz .LBB134_8
; %bb.7:
	s_load_b32 s56, s[40:41], 0x0
.LBB134_8:
	s_delay_alu instid0(VALU_DEP_1)
	v_cmp_ne_u32_e32 vcc_lo, 1, v1
	s_cbranch_vccnz .LBB134_10
; %bb.9:
	s_load_b32 s41, s[40:41], 0x4
.LBB134_10:
	s_waitcnt lgkmcnt(0)
	s_mov_b32 s57, s41
.LBB134_11:
	s_mov_b64 s[40:41], 0
	s_cmp_eq_u64 s[6:7], 0
	s_mov_b32 s3, 0
	s_cbranch_scc1 .LBB134_13
; %bb.12:
	s_load_b64 s[4:5], s[4:5], 0x0
	s_waitcnt lgkmcnt(0)
	s_lshl_b64 s[4:5], s[4:5], 3
	s_delay_alu instid0(SALU_CYCLE_1) | instskip(SKIP_2) | instid1(SALU_CYCLE_1)
	s_add_u32 s4, s6, s4
	s_addc_u32 s5, s7, s5
	s_lshl_b64 s[2:3], s[2:3], 3
	s_add_u32 s2, s4, s2
	s_addc_u32 s3, s5, s3
	s_load_b64 s[2:3], s[2:3], 0x0
.LBB134_13:
	s_and_not1_b32 vcc_lo, exec_lo, s8
	s_cbranch_vccz .LBB134_16
; %bb.14:
	s_and_not1_b32 vcc_lo, exec_lo, s8
	s_mov_b64 s[52:53], 0
	s_cbranch_vccz .LBB134_17
.LBB134_15:
	s_load_b128 s[28:31], s[0:1], 0x8
	s_waitcnt lgkmcnt(0)
	v_cmp_lt_i64_e64 s4, s[28:29], 1
	s_delay_alu instid0(VALU_DEP_1)
	s_and_b32 vcc_lo, exec_lo, s4
	s_cbranch_vccz .LBB134_18
	s_branch .LBB134_104
.LBB134_16:
	s_waitcnt lgkmcnt(0)
	s_lshl_b64 s[4:5], s[2:3], 3
	s_delay_alu instid0(SALU_CYCLE_1)
	s_add_u32 s4, s44, s4
	s_addc_u32 s5, s45, s5
	s_load_b64 s[4:5], s[4:5], 0x0
	s_waitcnt lgkmcnt(0)
	s_sub_u32 s40, s4, s16
	s_subb_u32 s41, s5, 0
	s_and_not1_b32 vcc_lo, exec_lo, s8
	s_mov_b64 s[52:53], 0
	s_cbranch_vccnz .LBB134_15
.LBB134_17:
	s_waitcnt lgkmcnt(0)
	s_lshl_b64 s[4:5], s[2:3], 3
	s_delay_alu instid0(SALU_CYCLE_1)
	s_add_u32 s4, s44, s4
	s_addc_u32 s5, s45, s5
	s_load_b64 s[4:5], s[4:5], 0x8
	s_waitcnt lgkmcnt(0)
	s_sub_u32 s52, s4, s16
	s_subb_u32 s53, s5, 0
	s_load_b128 s[28:31], s[0:1], 0x8
	s_waitcnt lgkmcnt(0)
	v_cmp_lt_i64_e64 s4, s[28:29], 1
	s_delay_alu instid0(VALU_DEP_1)
	s_and_b32 vcc_lo, exec_lo, s4
	s_cbranch_vccnz .LBB134_104
.LBB134_18:
	v_bfe_u32 v7, v0, 1, 1
	s_lshl_b64 s[6:7], s[2:3], 3
	v_and_b32_e32 v3, 1, v0
	s_add_u32 s2, s24, s6
	s_addc_u32 s3, s25, s7
	v_mad_u64_u32 v[5:6], null, v7, s30, 0
	v_and_b32_e32 v15, 3, v0
	s_load_b64 s[2:3], s[2:3], 0x0
	s_mul_i32 s4, s30, s31
	s_mul_hi_u32 s10, s30, s30
	s_load_b32 s5, s[0:1], 0x0
	v_lshrrev_b32_e32 v1, 2, v0
	s_delay_alu instid0(VALU_DEP_3)
	v_mov_b32_e32 v2, v6
	v_cmp_lt_i64_e64 s9, s[40:41], s[52:53]
	v_and_b32_e32 v38, 2, v0
	s_mov_b32 s60, s19
	v_cmp_gt_u32_e64 s0, 0x100, v0
	v_mad_u64_u32 v[9:10], null, v7, s31, v[2:3]
	v_mov_b32_e32 v2, 0
	v_mul_lo_u32 v10, v3, s31
	v_lshlrev_b32_e32 v35, 3, v0
	v_cmp_eq_u32_e64 s1, 0, v0
	v_or_b32_e32 v52, 0xffffff00, v0
	v_mov_b32_e32 v4, v2
	v_mov_b32_e32 v6, v9
	v_mul_lo_u32 v9, v3, s30
	s_waitcnt lgkmcnt(0)
	s_sub_u32 s24, s2, s18
	v_mov_b32_e32 v8, v2
	s_subb_u32 s25, s3, 0
	v_lshlrev_b64 v[11:12], 3, v[5:6]
	v_lshlrev_b32_e32 v5, 3, v3
	s_add_i32 s2, s10, s4
	v_cmp_gt_i64_e64 s3, s[30:31], v[3:4]
	s_add_i32 s45, s2, s4
	v_lshlrev_b64 v[9:10], 3, v[9:10]
	v_add_co_u32 v13, s2, s48, v11
	s_delay_alu instid0(VALU_DEP_1) | instskip(SKIP_1) | instid1(VALU_DEP_3)
	v_add_co_ci_u32_e64 v14, s2, s49, v12, s2
	v_cmp_gt_i64_e64 s2, s[30:31], v[7:8]
	v_add_co_u32 v4, s4, v13, v5
	v_cmp_gt_u64_e32 vcc_lo, s[30:31], v[7:8]
	s_delay_alu instid0(VALU_DEP_4) | instskip(NEXT) | instid1(VALU_DEP_4)
	v_add_co_ci_u32_e64 v37, s4, 0, v14, s4
	s_and_b32 s58, s3, s2
	v_lshlrev_b64 v[13:14], 3, v[7:8]
	v_add_co_u32 v8, s2, s12, v9
	s_delay_alu instid0(VALU_DEP_1) | instskip(SKIP_1) | instid1(VALU_DEP_1)
	v_add_co_ci_u32_e64 v16, s2, s13, v10, s2
	v_add_co_u32 v17, s2, s12, v11
	v_add_co_ci_u32_e64 v18, s2, s13, v12, s2
	s_delay_alu instid0(VALU_DEP_4) | instskip(NEXT) | instid1(VALU_DEP_1)
	v_add_co_u32 v8, s2, v8, v13
	v_add_co_ci_u32_e64 v16, s2, v16, v14, s2
	s_delay_alu instid0(VALU_DEP_4) | instskip(NEXT) | instid1(VALU_DEP_1)
	v_add_co_u32 v17, s2, v17, v5
	v_add_co_ci_u32_e64 v18, s2, 0, v18, s2
	v_add_co_u32 v9, s2, s22, v9
	s_delay_alu instid0(VALU_DEP_1) | instskip(SKIP_1) | instid1(VALU_DEP_1)
	v_add_co_ci_u32_e64 v10, s2, s23, v10, s2
	v_sub_co_u32 v39, s2, v1, s19
	v_sub_co_ci_u32_e64 v40, null, 0, 0, s2
	s_delay_alu instid0(VALU_DEP_4) | instskip(NEXT) | instid1(VALU_DEP_1)
	v_add_co_u32 v9, s2, v9, v13
	v_add_co_ci_u32_e64 v10, s2, v10, v14, s2
	v_add_co_u32 v11, s2, s22, v11
	s_delay_alu instid0(VALU_DEP_1) | instskip(SKIP_1) | instid1(VALU_DEP_2)
	v_add_co_ci_u32_e64 v12, s2, s23, v12, s2
	s_cmp_eq_u32 s5, 0
	v_add_co_u32 v11, s2, v11, v5
	s_cselect_b32 s11, -1, 0
	s_delay_alu instid0(VALU_DEP_2)
	v_add_co_ci_u32_e64 v12, s2, 0, v12, s2
	s_cmp_lg_u32 s5, 0
	v_dual_mov_b32 v58, 1 :: v_dual_lshlrev_b32 v7, 3, v7
	v_cndmask_b32_e64 v9, v9, v11, s11
	v_and_b32_e32 v11, 0xfc, v0
	s_cselect_b32 s59, -1, 0
	s_add_u32 s42, s42, s6
	s_addc_u32 s43, s43, s7
	s_and_b32 s61, s8, s9
	s_and_b32 s62, s3, vcc_lo
	v_cndmask_b32_e64 v10, v10, v12, s11
	s_add_u32 s63, s50, 8
	s_addc_u32 s64, s51, 0
	v_lshl_or_b32 v7, v1, 5, v7
	v_lshlrev_b32_e32 v13, 2, v0
	v_cmp_eq_u32_e64 s2, 3, v15
	v_cndmask_b32_e64 v50, v16, v18, s11
	s_add_u32 s65, s26, -8
	v_mov_b32_e32 v15, 0
	v_or3_b32 v12, v11, v38, v3
	v_add_co_u32 v14, s19, v0, -1
	s_addc_u32 s66, s27, -1
	v_add_co_u32 v9, vcc_lo, v9, 4
	s_add_u32 s22, s38, 4
	v_add_co_ci_u32_e32 v10, vcc_lo, 0, v10, vcc_lo
	v_cmp_ne_u32_e64 s3, 0, v0
	v_cmp_lt_u32_e64 s4, 1, v0
	v_cmp_lt_u32_e64 s5, 3, v0
	;; [unrolled: 1-line block ×7, first 2 shown]
	v_cndmask_b32_e64 v51, v8, v17, s11
	s_addc_u32 s23, s39, 0
	v_add_nc_u32_e32 v53, 0x2000, v7
	s_movk_i32 s11, 0x7f0
	v_add_co_u32 v7, s12, s22, v5
	v_add_co_u32 v0, vcc_lo, v39, 64
	v_add_nc_u32_e32 v44, 0x27f0, v13
	v_dual_mov_b32 v17, 0x100 :: v_dual_lshlrev_b32 v56, 3, v12
	v_or_b32_e32 v57, 0x2800, v11
	v_mov_b32_e32 v11, s24
	v_or_b32_e32 v36, 0x2000, v35
	v_dual_mov_b32 v6, v2 :: v_dual_add_nc_u32 v43, 0x27f8, v13
	v_or_b32_e32 v41, 0x2800, v13
	v_lshl_add_u32 v42, v14, 2, 0x2800
	v_dual_mov_b32 v16, 0 :: v_dual_add_nc_u32 v45, 0x27e0, v13
	v_add_nc_u32_e32 v46, 0x27c0, v13
	v_dual_mov_b32 v18, 0 :: v_dual_add_nc_u32 v47, 0x2780, v13
	v_add_nc_u32_e32 v48, 0x2700, v13
	v_dual_mov_b32 v12, s25 :: v_dual_add_nc_u32 v49, 0x2600, v13
	v_add_co_ci_u32_e64 v8, null, s23, 0, s12
	v_and_or_b32 v54, v35, s11, 0x2000
	v_add_co_ci_u32_e32 v55, vcc_lo, 0, v40, vcc_lo
	v_mov_b32_e32 v13, v2
	v_mov_b32_e32 v14, v2
	s_mul_i32 s44, s30, s30
	s_lshl_b64 s[38:39], s[30:31], 3
	s_lshl_b64 s[48:49], s[44:45], 3
	;; [unrolled: 1-line block ×3, first 2 shown]
	s_branch .LBB134_20
.LBB134_19:                             ;   in Loop: Header=BB134_20 Depth=1
	s_or_b32 exec_lo, exec_lo, s11
	s_waitcnt_vscnt null, 0x0
	s_barrier
	buffer_gl0_inv
	ds_load_b64 v[15:16], v2 offset:11264
	v_ashrrev_i32_e32 v17, 31, v18
	v_add_co_u32 v11, vcc_lo, v11, v18
	s_waitcnt lgkmcnt(0)
	s_barrier
	s_delay_alu instid0(VALU_DEP_2) | instskip(SKIP_3) | instid1(VALU_DEP_1)
	v_add_co_ci_u32_e32 v12, vcc_lo, v12, v17, vcc_lo
	buffer_gl0_inv
	v_cmp_le_i64_e32 vcc_lo, s[28:29], v[15:16]
	v_add_co_u32 v17, s11, 0x100, v15
	v_add_co_ci_u32_e64 v18, s11, 0, v16, s11
	s_cbranch_vccnz .LBB134_104
.LBB134_20:                             ; =>This Loop Header: Depth=1
                                        ;     Child Loop BB134_23 Depth 2
                                        ;     Child Loop BB134_29 Depth 2
                                        ;       Child Loop BB134_45 Depth 3
                                        ;         Child Loop BB134_57 Depth 4
                                        ;         Child Loop BB134_53 Depth 4
                                        ;     Child Loop BB134_67 Depth 2
                                        ;     Child Loop BB134_76 Depth 2
	;; [unrolled: 1-line block ×3, first 2 shown]
	s_and_saveexec_b32 s11, s0
	s_cbranch_execz .LBB134_22
; %bb.21:                               ;   in Loop: Header=BB134_20 Depth=1
	ds_store_b32 v41, v2
.LBB134_22:                             ;   in Loop: Header=BB134_20 Depth=1
	s_or_b32 exec_lo, exec_lo, s11
	v_dual_mov_b32 v19, v35 :: v_dual_mov_b32 v20, v52
	s_mov_b32 s11, 0
.LBB134_23:                             ;   Parent Loop BB134_20 Depth=1
                                        ; =>  This Inner Loop Header: Depth=2
	s_delay_alu instid0(VALU_DEP_1) | instskip(SKIP_4) | instid1(SALU_CYCLE_1)
	v_add_nc_u32_e32 v20, 0x100, v20
	ds_store_b64 v19, v[13:14]
	v_add_nc_u32_e32 v19, 0x800, v19
	v_cmp_lt_u32_e32 vcc_lo, 0x2ff, v20
	s_or_b32 s11, vcc_lo, s11
	s_and_not1_b32 exec_lo, exec_lo, s11
	s_cbranch_execnz .LBB134_23
; %bb.24:                               ;   in Loop: Header=BB134_20 Depth=1
	s_or_b32 exec_lo, exec_lo, s11
	s_and_saveexec_b32 s11, s1
	s_cbranch_execz .LBB134_26
; %bb.25:                               ;   in Loop: Header=BB134_20 Depth=1
	v_dual_mov_b32 v19, s28 :: v_dual_mov_b32 v20, s29
	ds_store_b64 v2, v[19:20] offset:11264
.LBB134_26:                             ;   in Loop: Header=BB134_20 Depth=1
	s_or_b32 exec_lo, exec_lo, s11
	v_dual_mov_b32 v19, s28 :: v_dual_mov_b32 v20, s29
	s_and_not1_b32 vcc_lo, exec_lo, s61
	s_waitcnt lgkmcnt(0)
	s_barrier
	buffer_gl0_inv
	s_cbranch_vccnz .LBB134_62
; %bb.27:                               ;   in Loop: Header=BB134_20 Depth=1
	v_cmp_ne_u64_e64 s11, 0, v[15:16]
	v_dual_mov_b32 v19, s28 :: v_dual_mov_b32 v20, s29
	s_mov_b64 s[24:25], s[40:41]
	s_branch .LBB134_29
.LBB134_28:                             ;   in Loop: Header=BB134_29 Depth=2
	s_or_b32 exec_lo, exec_lo, s13
	s_add_u32 s24, s24, 64
	s_addc_u32 s25, s25, 0
	s_delay_alu instid0(SALU_CYCLE_1) | instskip(NEXT) | instid1(VALU_DEP_1)
	v_cmp_lt_i64_e64 s12, s[24:25], s[52:53]
	s_and_b32 vcc_lo, exec_lo, s12
	s_cbranch_vccz .LBB134_62
.LBB134_29:                             ;   Parent Loop BB134_20 Depth=1
                                        ; =>  This Loop Header: Depth=2
                                        ;       Child Loop BB134_45 Depth 3
                                        ;         Child Loop BB134_57 Depth 4
                                        ;         Child Loop BB134_53 Depth 4
	v_add_co_u32 v21, s12, s24, v1
	s_delay_alu instid0(VALU_DEP_1) | instskip(NEXT) | instid1(VALU_DEP_1)
	v_add_co_ci_u32_e64 v22, null, s25, 0, s12
	s_waitcnt_vscnt null, 0x0
	s_barrier
	buffer_gl0_inv
	v_cmp_gt_i64_e64 s12, s[52:53], v[21:22]
	s_delay_alu instid0(VALU_DEP_1)
	s_and_saveexec_b32 s13, s12
	s_cbranch_execz .LBB134_34
; %bb.30:                               ;   in Loop: Header=BB134_29 Depth=2
	s_and_saveexec_b32 s26, s62
	s_delay_alu instid0(SALU_CYCLE_1)
	s_xor_b32 s26, exec_lo, s26
	s_cbranch_execz .LBB134_32
; %bb.31:                               ;   in Loop: Header=BB134_29 Depth=2
	v_mul_lo_u32 v25, v22, s44
	v_mul_lo_u32 v26, v21, s45
	v_mad_u64_u32 v[23:24], null, v21, s44, 0
	s_delay_alu instid0(VALU_DEP_1) | instskip(NEXT) | instid1(VALU_DEP_1)
	v_add3_u32 v24, v24, v26, v25
	v_lshlrev_b64 v[23:24], 3, v[23:24]
	s_delay_alu instid0(VALU_DEP_1) | instskip(NEXT) | instid1(VALU_DEP_2)
	v_add_co_u32 v23, vcc_lo, v4, v23
	v_add_co_ci_u32_e32 v24, vcc_lo, v37, v24, vcc_lo
	global_load_b64 v[23:24], v[23:24], off
	s_waitcnt vmcnt(0)
	ds_store_b64 v36, v[23:24]
.LBB134_32:                             ;   in Loop: Header=BB134_29 Depth=2
	s_and_not1_saveexec_b32 s26, s26
	s_cbranch_execz .LBB134_34
; %bb.33:                               ;   in Loop: Header=BB134_29 Depth=2
	ds_store_b64 v36, v[13:14]
.LBB134_34:                             ;   in Loop: Header=BB134_29 Depth=2
	s_or_b32 exec_lo, exec_lo, s13
	v_mov_b32_e32 v23, 0
	v_lshlrev_b64 v[21:22], 3, v[21:22]
	v_mov_b32_e32 v24, 0
	s_waitcnt lgkmcnt(0)
	s_barrier
	buffer_gl0_inv
	s_and_saveexec_b32 s67, s12
	s_cbranch_execz .LBB134_60
; %bb.35:                               ;   in Loop: Header=BB134_29 Depth=2
	v_add_co_u32 v23, vcc_lo, s46, v21
	v_add_co_ci_u32_e32 v24, vcc_lo, s47, v22, vcc_lo
	s_and_b32 vcc_lo, exec_lo, s11
	global_load_b64 v[25:26], v[23:24], off
	s_cbranch_vccz .LBB134_37
; %bb.36:                               ;   in Loop: Header=BB134_29 Depth=2
	v_add_co_u32 v23, vcc_lo, s14, v21
	v_add_co_ci_u32_e32 v24, vcc_lo, s15, v22, vcc_lo
	s_mov_b32 s13, 0
	global_load_b64 v[23:24], v[23:24], off
	s_branch .LBB134_38
.LBB134_37:                             ;   in Loop: Header=BB134_29 Depth=2
	s_mov_b32 s13, -1
                                        ; implicit-def: $vgpr23_vgpr24
.LBB134_38:                             ;   in Loop: Header=BB134_29 Depth=2
	s_waitcnt vmcnt(0)
	v_sub_co_u32 v25, vcc_lo, v25, s16
	v_subrev_co_ci_u32_e32 v26, vcc_lo, 0, v26, vcc_lo
	s_and_not1_b32 vcc_lo, exec_lo, s13
	s_delay_alu instid0(VALU_DEP_1)
	v_lshlrev_b64 v[25:26], 3, v[25:26]
	s_cbranch_vccnz .LBB134_40
; %bb.39:                               ;   in Loop: Header=BB134_29 Depth=2
	s_delay_alu instid0(VALU_DEP_1) | instskip(NEXT) | instid1(VALU_DEP_2)
	v_add_co_u32 v23, vcc_lo, s50, v25
	v_add_co_ci_u32_e32 v24, vcc_lo, s51, v26, vcc_lo
	global_load_b64 v[23:24], v[23:24], off
	s_waitcnt vmcnt(0)
	v_sub_co_u32 v23, vcc_lo, v23, s17
	v_subrev_co_ci_u32_e32 v24, vcc_lo, 0, v24, vcc_lo
.LBB134_40:                             ;   in Loop: Header=BB134_29 Depth=2
	s_delay_alu instid0(VALU_DEP_1) | instskip(NEXT) | instid1(VALU_DEP_2)
	v_add_co_u32 v25, vcc_lo, s63, v25
	v_add_co_ci_u32_e32 v26, vcc_lo, s64, v26, vcc_lo
	s_mov_b32 s68, exec_lo
	global_load_b64 v[25:26], v[25:26], off
	s_waitcnt vmcnt(0)
	v_sub_co_u32 v25, vcc_lo, v25, s17
	v_subrev_co_ci_u32_e32 v26, vcc_lo, 0, v26, vcc_lo
	s_delay_alu instid0(VALU_DEP_1)
	v_cmpx_lt_i64_e64 v[23:24], v[25:26]
	s_cbranch_execz .LBB134_59
; %bb.41:                               ;   in Loop: Header=BB134_29 Depth=2
	v_mad_u64_u32 v[31:32], null, s38, v23, v[5:6]
	v_mul_lo_u32 v29, s38, v24
	v_mul_lo_u32 v30, s39, v23
	v_mad_u64_u32 v[27:28], null, s48, v23, v[7:8]
	v_mul_lo_u32 v33, s48, v24
	v_mul_lo_u32 v34, s49, v23
	v_mul_lo_u32 v59, s31, v31
	s_mov_b32 s69, 0
	v_add3_u32 v32, v30, v32, v29
	v_mad_u64_u32 v[29:30], null, s30, v31, s[22:23]
	s_delay_alu instid0(VALU_DEP_4) | instskip(NEXT) | instid1(VALU_DEP_3)
	v_add3_u32 v28, v34, v28, v33
	v_mul_lo_u32 v31, s30, v32
	s_delay_alu instid0(VALU_DEP_1)
	v_add3_u32 v30, v59, v30, v31
	v_dual_mov_b32 v32, v24 :: v_dual_mov_b32 v31, v23
	s_branch .LBB134_45
.LBB134_42:                             ;   in Loop: Header=BB134_45 Depth=3
	v_or3_b32 v33, v59, v38, v3
	s_delay_alu instid0(VALU_DEP_2) | instskip(SKIP_1) | instid1(VALU_DEP_2)
	v_mul_f32_e64 v34, v61, -s35
	v_mul_f32_e32 v59, s33, v61
	v_dual_fmac_f32 v34, s33, v60 :: v_dual_lshlrev_b32 v33, 3, v33
	s_delay_alu instid0(VALU_DEP_2)
	v_fmac_f32_e32 v59, s35, v60
	ds_add_f32 v33, v34
	ds_add_f32 v33, v59 offset:4
.LBB134_43:                             ;   in Loop: Header=BB134_45 Depth=3
	s_or_b32 exec_lo, exec_lo, s71
	s_delay_alu instid0(SALU_CYCLE_1)
	s_or_b32 s13, s13, exec_lo
.LBB134_44:                             ;   in Loop: Header=BB134_45 Depth=3
	s_or_b32 exec_lo, exec_lo, s70
	v_add_co_u32 v31, vcc_lo, v31, 1
	v_add_co_ci_u32_e32 v32, vcc_lo, 0, v32, vcc_lo
	s_xor_b32 s26, s13, -1
	v_add_co_u32 v29, s13, v29, s48
	s_delay_alu instid0(VALU_DEP_2)
	v_cmp_ge_i64_e32 vcc_lo, v[31:32], v[25:26]
	v_add_co_ci_u32_e64 v30, s13, s49, v30, s13
	s_or_b32 s13, s26, vcc_lo
	v_add_co_u32 v27, vcc_lo, v27, s48
	v_add_co_ci_u32_e32 v28, vcc_lo, s49, v28, vcc_lo
	s_and_b32 s13, exec_lo, s13
	s_delay_alu instid0(SALU_CYCLE_1) | instskip(NEXT) | instid1(SALU_CYCLE_1)
	s_or_b32 s69, s13, s69
	s_and_not1_b32 exec_lo, exec_lo, s69
	s_cbranch_execz .LBB134_58
.LBB134_45:                             ;   Parent Loop BB134_20 Depth=1
                                        ;     Parent Loop BB134_29 Depth=2
                                        ; =>    This Loop Header: Depth=3
                                        ;         Child Loop BB134_57 Depth 4
                                        ;         Child Loop BB134_53 Depth 4
	s_delay_alu instid0(VALU_DEP_1) | instskip(NEXT) | instid1(VALU_DEP_1)
	v_lshlrev_b64 v[33:34], 3, v[31:32]
	v_add_co_u32 v33, vcc_lo, s36, v33
	s_delay_alu instid0(VALU_DEP_2) | instskip(SKIP_4) | instid1(VALU_DEP_1)
	v_add_co_ci_u32_e32 v34, vcc_lo, s37, v34, vcc_lo
	global_load_b64 v[33:34], v[33:34], off
	s_waitcnt vmcnt(0)
	v_sub_co_u32 v33, vcc_lo, v33, s17
	v_subrev_co_ci_u32_e32 v34, vcc_lo, 0, v34, vcc_lo
	v_cmp_lt_i64_e64 s13, v[33:34], v[15:16]
	v_cmp_ge_i64_e32 vcc_lo, v[33:34], v[17:18]
	s_delay_alu instid0(VALU_DEP_2) | instskip(NEXT) | instid1(SALU_CYCLE_1)
	s_or_b32 s26, s13, vcc_lo
                                        ; implicit-def: $sgpr13
	s_and_saveexec_b32 s27, s26
	s_delay_alu instid0(SALU_CYCLE_1)
	s_xor_b32 s26, exec_lo, s27
	s_cbranch_execz .LBB134_49
; %bb.46:                               ;   in Loop: Header=BB134_45 Depth=3
	s_mov_b32 s27, -1
	s_and_saveexec_b32 s13, vcc_lo
; %bb.47:                               ;   in Loop: Header=BB134_45 Depth=3
	v_cmp_lt_i64_e32 vcc_lo, v[33:34], v[19:20]
	v_dual_mov_b32 v23, v31 :: v_dual_mov_b32 v24, v32
	s_xor_b32 s27, exec_lo, -1
	v_dual_cndmask_b32 v20, v20, v34 :: v_dual_cndmask_b32 v19, v19, v33
; %bb.48:                               ;   in Loop: Header=BB134_45 Depth=3
	s_or_b32 exec_lo, exec_lo, s13
	s_delay_alu instid0(SALU_CYCLE_1)
	s_and_b32 s13, s27, exec_lo
                                        ; implicit-def: $vgpr33_vgpr34
.LBB134_49:                             ;   in Loop: Header=BB134_45 Depth=3
	s_and_not1_saveexec_b32 s70, s26
	s_cbranch_execz .LBB134_44
; %bb.50:                               ;   in Loop: Header=BB134_45 Depth=3
	v_sub_nc_u32_e32 v33, v33, v15
	s_delay_alu instid0(VALU_DEP_1)
	v_lshlrev_b32_e32 v59, 2, v33
	ds_store_b32 v59, v58 offset:10240
	s_and_saveexec_b32 s71, s58
	s_cbranch_execz .LBB134_43
; %bb.51:                               ;   in Loop: Header=BB134_45 Depth=3
	s_and_not1_b32 vcc_lo, exec_lo, s59
	s_cbranch_vccnz .LBB134_55
; %bb.52:                               ;   in Loop: Header=BB134_45 Depth=3
	v_mov_b32_e32 v34, v30
	v_dual_mov_b32 v60, 0 :: v_dual_mov_b32 v33, v29
	v_dual_mov_b32 v62, v53 :: v_dual_mov_b32 v61, 0
	s_mov_b64 s[26:27], s[30:31]
	.p2align	6
.LBB134_53:                             ;   Parent Loop BB134_20 Depth=1
                                        ;     Parent Loop BB134_29 Depth=2
                                        ;       Parent Loop BB134_45 Depth=3
                                        ; =>      This Inner Loop Header: Depth=4
	global_load_b64 v[63:64], v[33:34], off offset:-4
	ds_load_b64 v[65:66], v62
	v_add_co_u32 v33, vcc_lo, v33, 8
	v_add_co_ci_u32_e32 v34, vcc_lo, 0, v34, vcc_lo
	s_add_u32 s26, s26, -1
	s_addc_u32 s27, s27, -1
	v_add_nc_u32_e32 v62, 16, v62
	s_cmp_lg_u64 s[26:27], 0
	s_waitcnt vmcnt(0) lgkmcnt(0)
	v_fmac_f32_e32 v60, v65, v63
	v_fmac_f32_e32 v61, v66, v63
	s_delay_alu instid0(VALU_DEP_2) | instskip(NEXT) | instid1(VALU_DEP_2)
	v_fma_f32 v60, -v66, v64, v60
	v_fmac_f32_e32 v61, v65, v64
	s_cbranch_scc1 .LBB134_53
; %bb.54:                               ;   in Loop: Header=BB134_45 Depth=3
	s_branch .LBB134_42
.LBB134_55:                             ;   in Loop: Header=BB134_45 Depth=3
                                        ; implicit-def: $vgpr60
                                        ; implicit-def: $vgpr61
	s_cbranch_execz .LBB134_42
; %bb.56:                               ;   in Loop: Header=BB134_45 Depth=3
	v_mov_b32_e32 v34, v28
	v_dual_mov_b32 v60, 0 :: v_dual_mov_b32 v33, v27
	v_dual_mov_b32 v62, v54 :: v_dual_mov_b32 v61, 0
	s_mov_b64 s[26:27], s[30:31]
	.p2align	6
.LBB134_57:                             ;   Parent Loop BB134_20 Depth=1
                                        ;     Parent Loop BB134_29 Depth=2
                                        ;       Parent Loop BB134_45 Depth=3
                                        ; =>      This Inner Loop Header: Depth=4
	global_load_b64 v[63:64], v[33:34], off offset:-4
	ds_load_b64 v[65:66], v62
	v_add_co_u32 v33, vcc_lo, v33, s38
	s_add_u32 s26, s26, -1
	v_add_co_ci_u32_e32 v34, vcc_lo, s39, v34, vcc_lo
	s_addc_u32 s27, s27, -1
	v_add_nc_u32_e32 v62, 8, v62
	s_cmp_eq_u64 s[26:27], 0
	s_waitcnt vmcnt(0) lgkmcnt(0)
	v_fmac_f32_e32 v60, v65, v63
	v_fmac_f32_e32 v61, v66, v63
	s_delay_alu instid0(VALU_DEP_2) | instskip(NEXT) | instid1(VALU_DEP_2)
	v_fma_f32 v60, -v66, v64, v60
	v_fmac_f32_e32 v61, v65, v64
	s_cbranch_scc0 .LBB134_57
	s_branch .LBB134_42
.LBB134_58:                             ;   in Loop: Header=BB134_29 Depth=2
	s_or_b32 exec_lo, exec_lo, s69
.LBB134_59:                             ;   in Loop: Header=BB134_29 Depth=2
	s_delay_alu instid0(SALU_CYCLE_1)
	s_or_b32 exec_lo, exec_lo, s68
.LBB134_60:                             ;   in Loop: Header=BB134_29 Depth=2
	s_delay_alu instid0(SALU_CYCLE_1)
	s_or_b32 exec_lo, exec_lo, s67
	s_waitcnt lgkmcnt(0)
	s_barrier
	buffer_gl0_inv
	s_and_saveexec_b32 s13, s12
	s_cbranch_execz .LBB134_28
; %bb.61:                               ;   in Loop: Header=BB134_29 Depth=2
	v_add_co_u32 v21, vcc_lo, s14, v21
	v_add_co_ci_u32_e32 v22, vcc_lo, s15, v22, vcc_lo
	global_store_b64 v[21:22], v[23:24], off
	s_branch .LBB134_28
.LBB134_62:                             ;   in Loop: Header=BB134_20 Depth=1
	s_and_not1_b32 vcc_lo, exec_lo, s34
	s_cbranch_vccnz .LBB134_74
; %bb.63:                               ;   in Loop: Header=BB134_20 Depth=1
	s_load_b128 s[24:27], s[42:43], 0x0
	s_waitcnt lgkmcnt(0)
	v_add_co_u32 v23, vcc_lo, s24, v39
	v_add_co_ci_u32_e32 v24, vcc_lo, s25, v40, vcc_lo
	s_sub_u32 s12, s26, s60
	s_subb_u32 s13, s27, 0
	s_mov_b32 s26, exec_lo
	s_delay_alu instid0(VALU_DEP_1)
	v_cmpx_gt_i64_e64 s[12:13], v[23:24]
	s_cbranch_execz .LBB134_73
; %bb.64:                               ;   in Loop: Header=BB134_20 Depth=1
	v_lshlrev_b64 v[25:26], 3, v[23:24]
	v_mad_u64_u32 v[21:22], null, s48, v23, v[9:10]
	v_mul_lo_u32 v27, s48, v24
	v_mul_lo_u32 v28, s49, v23
	s_delay_alu instid0(VALU_DEP_4) | instskip(SKIP_2) | instid1(VALU_DEP_4)
	v_add_co_u32 v23, vcc_lo, s20, v25
	v_add_co_ci_u32_e32 v24, vcc_lo, s21, v26, vcc_lo
	v_add_co_u32 v25, vcc_lo, v0, s24
	v_add3_u32 v22, v28, v22, v27
	v_add_co_ci_u32_e32 v26, vcc_lo, s25, v55, vcc_lo
	s_mov_b32 s24, 0
	s_branch .LBB134_67
.LBB134_65:                             ;   in Loop: Header=BB134_67 Depth=2
	s_or_b32 exec_lo, exec_lo, s27
	s_delay_alu instid0(SALU_CYCLE_1)
	s_or_b32 s11, s11, exec_lo
.LBB134_66:                             ;   in Loop: Header=BB134_67 Depth=2
	s_or_b32 exec_lo, exec_lo, s25
	v_cmp_le_i64_e32 vcc_lo, s[12:13], v[25:26]
	s_xor_b32 s25, s11, -1
	v_add_co_u32 v23, s11, 0x200, v23
	s_delay_alu instid0(VALU_DEP_1)
	v_add_co_ci_u32_e64 v24, s11, 0, v24, s11
	s_or_b32 s11, s25, vcc_lo
	v_add_co_u32 v21, vcc_lo, v21, s54
	v_add_co_ci_u32_e32 v22, vcc_lo, s55, v22, vcc_lo
	v_add_co_u32 v25, vcc_lo, v25, 64
	v_add_co_ci_u32_e32 v26, vcc_lo, 0, v26, vcc_lo
	s_and_b32 s11, exec_lo, s11
	s_delay_alu instid0(SALU_CYCLE_1) | instskip(NEXT) | instid1(SALU_CYCLE_1)
	s_or_b32 s24, s11, s24
	s_and_not1_b32 exec_lo, exec_lo, s24
	s_cbranch_execz .LBB134_72
.LBB134_67:                             ;   Parent Loop BB134_20 Depth=1
                                        ; =>  This Inner Loop Header: Depth=2
	global_load_b64 v[27:28], v[23:24], off
	s_waitcnt vmcnt(0)
	v_sub_co_u32 v27, vcc_lo, v27, s60
	v_subrev_co_ci_u32_e32 v28, vcc_lo, 0, v28, vcc_lo
	s_delay_alu instid0(VALU_DEP_1)
	v_cmp_lt_i64_e32 vcc_lo, v[27:28], v[17:18]
	v_cmp_lt_i64_e64 s11, v[27:28], v[15:16]
	s_xor_b32 s25, vcc_lo, -1
	s_delay_alu instid0(VALU_DEP_1) | instid1(SALU_CYCLE_1)
	s_or_b32 s25, s11, s25
                                        ; implicit-def: $sgpr11
	s_delay_alu instid0(SALU_CYCLE_1) | instskip(NEXT) | instid1(SALU_CYCLE_1)
	s_and_saveexec_b32 s27, s25
	s_xor_b32 s25, exec_lo, s27
; %bb.68:                               ;   in Loop: Header=BB134_67 Depth=2
	v_cmp_lt_i64_e64 s11, v[27:28], v[19:20]
	s_delay_alu instid0(VALU_DEP_1) | instskip(SKIP_2) | instid1(VALU_DEP_1)
	v_cndmask_b32_e64 v27, v19, v27, s11
	v_cndmask_b32_e64 v28, v20, v28, s11
	s_and_b32 s11, vcc_lo, exec_lo
	v_dual_cndmask_b32 v19, v27, v19 :: v_dual_cndmask_b32 v20, v28, v20
                                        ; implicit-def: $vgpr27
; %bb.69:                               ;   in Loop: Header=BB134_67 Depth=2
	s_and_not1_saveexec_b32 s25, s25
	s_cbranch_execz .LBB134_66
; %bb.70:                               ;   in Loop: Header=BB134_67 Depth=2
	v_sub_nc_u32_e32 v27, v27, v15
	s_delay_alu instid0(VALU_DEP_1)
	v_lshlrev_b32_e32 v27, 2, v27
	ds_store_b32 v27, v58 offset:10240
	s_and_saveexec_b32 s27, s62
	s_cbranch_execz .LBB134_65
; %bb.71:                               ;   in Loop: Header=BB134_67 Depth=2
	global_load_b64 v[28:29], v[21:22], off offset:-4
	v_or3_b32 v27, v27, v38, v3
	s_delay_alu instid0(VALU_DEP_1) | instskip(SKIP_2) | instid1(VALU_DEP_1)
	v_lshlrev_b32_e32 v27, 3, v27
	s_waitcnt vmcnt(0)
	v_mul_f32_e64 v30, v29, -s57
	v_dual_mul_f32 v29, s56, v29 :: v_dual_fmac_f32 v30, s56, v28
	s_delay_alu instid0(VALU_DEP_1)
	v_fmac_f32_e32 v29, s57, v28
	ds_add_f32 v27, v30
	ds_add_f32 v27, v29 offset:4
	s_branch .LBB134_65
.LBB134_72:                             ;   in Loop: Header=BB134_20 Depth=1
	s_or_b32 exec_lo, exec_lo, s24
.LBB134_73:                             ;   in Loop: Header=BB134_20 Depth=1
	s_delay_alu instid0(SALU_CYCLE_1)
	s_or_b32 exec_lo, exec_lo, s26
.LBB134_74:                             ;   in Loop: Header=BB134_20 Depth=1
	s_and_saveexec_b32 s11, s2
	s_cbranch_execz .LBB134_79
; %bb.75:                               ;   in Loop: Header=BB134_20 Depth=1
	s_mov_b32 s24, exec_lo
	s_mov_b64 s[12:13], -1
.LBB134_76:                             ;   Parent Loop BB134_20 Depth=1
                                        ; =>  This Inner Loop Header: Depth=2
	s_ctz_i32_b32 s25, s24
	s_delay_alu instid0(SALU_CYCLE_1) | instskip(SKIP_1) | instid1(VALU_DEP_1)
	v_readlane_b32 s27, v20, s25
	v_readlane_b32 s26, v19, s25
	v_cmp_lt_u64_e64 s67, s[12:13], s[26:27]
	s_delay_alu instid0(VALU_DEP_1) | instskip(SKIP_3) | instid1(SALU_CYCLE_1)
	s_and_b32 s67, s67, exec_lo
	s_cselect_b32 s13, s13, s27
	s_cselect_b32 s12, s12, s26
	s_lshl_b32 s25, 1, s25
	s_and_not1_b32 s24, s24, s25
	s_delay_alu instid0(SALU_CYCLE_1)
	s_cmp_lg_u32 s24, 0
	s_cbranch_scc1 .LBB134_76
; %bb.77:                               ;   in Loop: Header=BB134_20 Depth=1
	v_mbcnt_lo_u32_b32 v17, exec_lo, 0
	s_mov_b32 s24, exec_lo
	s_delay_alu instid0(VALU_DEP_1)
	v_cmpx_eq_u32_e32 0, v17
	s_xor_b32 s24, exec_lo, s24
	s_cbranch_execz .LBB134_79
; %bb.78:                               ;   in Loop: Header=BB134_20 Depth=1
	v_dual_mov_b32 v18, s13 :: v_dual_mov_b32 v17, s12
	ds_min_u64 v2, v[17:18] offset:11264
.LBB134_79:                             ;   in Loop: Header=BB134_20 Depth=1
	s_or_b32 exec_lo, exec_lo, s11
	s_waitcnt lgkmcnt(0)
	s_waitcnt_vscnt null, 0x0
	s_barrier
	buffer_gl0_inv
	ds_load_b32 v17, v41
	s_waitcnt lgkmcnt(0)
	s_barrier
	buffer_gl0_inv
	s_and_saveexec_b32 s11, s3
	s_cbranch_execz .LBB134_81
; %bb.80:                               ;   in Loop: Header=BB134_20 Depth=1
	ds_load_b32 v18, v42
	s_waitcnt lgkmcnt(0)
	v_add_nc_u32_e32 v17, v18, v17
.LBB134_81:                             ;   in Loop: Header=BB134_20 Depth=1
	s_or_b32 exec_lo, exec_lo, s11
	s_barrier
	buffer_gl0_inv
	ds_store_b32 v41, v17
	s_waitcnt lgkmcnt(0)
	s_barrier
	buffer_gl0_inv
	s_and_saveexec_b32 s11, s4
	s_cbranch_execz .LBB134_83
; %bb.82:                               ;   in Loop: Header=BB134_20 Depth=1
	ds_load_b32 v18, v43
	s_waitcnt lgkmcnt(0)
	v_add_nc_u32_e32 v17, v18, v17
.LBB134_83:                             ;   in Loop: Header=BB134_20 Depth=1
	s_or_b32 exec_lo, exec_lo, s11
	s_barrier
	buffer_gl0_inv
	ds_store_b32 v41, v17
	;; [unrolled: 14-line block ×8, first 2 shown]
	s_waitcnt lgkmcnt(0)
	s_barrier
	buffer_gl0_inv
	ds_load_b32 v18, v2 offset:11260
	v_mov_b32_e32 v19, 0
	s_and_saveexec_b32 s11, s19
	s_cbranch_execz .LBB134_97
; %bb.96:                               ;   in Loop: Header=BB134_20 Depth=1
	ds_load_b32 v19, v42
.LBB134_97:                             ;   in Loop: Header=BB134_20 Depth=1
	s_or_b32 exec_lo, exec_lo, s11
	s_waitcnt lgkmcnt(0)
	v_cmp_eq_u32_e32 vcc_lo, v17, v19
	s_barrier
	buffer_gl0_inv
	s_and_b32 s12, s19, vcc_lo
	s_delay_alu instid0(SALU_CYCLE_1)
	s_and_saveexec_b32 s11, s12
	s_cbranch_execz .LBB134_99
; %bb.98:                               ;   in Loop: Header=BB134_20 Depth=1
	ds_store_b32 v41, v2
.LBB134_99:                             ;   in Loop: Header=BB134_20 Depth=1
	s_or_b32 exec_lo, exec_lo, s11
	v_add_co_u32 v17, vcc_lo, v11, -1
	v_add_co_ci_u32_e32 v19, vcc_lo, -1, v12, vcc_lo
	v_add_co_u32 v20, vcc_lo, s18, v15
	v_add_co_ci_u32_e32 v21, vcc_lo, 0, v16, vcc_lo
	v_dual_mov_b32 v22, v57 :: v_dual_mov_b32 v23, v56
	v_dual_mov_b32 v16, v2 :: v_dual_mov_b32 v15, v1
	s_mov_b32 s11, 0
	s_waitcnt lgkmcnt(0)
	s_barrier
	buffer_gl0_inv
	s_branch .LBB134_101
.LBB134_100:                            ;   in Loop: Header=BB134_101 Depth=2
	s_or_b32 exec_lo, exec_lo, s12
	v_add_co_u32 v15, vcc_lo, v15, 64
	v_add_co_ci_u32_e32 v16, vcc_lo, 0, v16, vcc_lo
	v_add_nc_u32_e32 v23, 0x800, v23
	s_delay_alu instid0(VALU_DEP_3) | instskip(SKIP_1) | instid1(VALU_DEP_2)
	v_subrev_nc_u32_e32 v24, 64, v15
	v_add_nc_u32_e32 v22, 0x100, v22
	v_cmp_lt_u32_e32 vcc_lo, 0xbf, v24
	s_or_b32 s11, vcc_lo, s11
	s_delay_alu instid0(SALU_CYCLE_1)
	s_and_not1_b32 exec_lo, exec_lo, s11
	s_cbranch_execz .LBB134_19
.LBB134_101:                            ;   Parent Loop BB134_20 Depth=1
                                        ; =>  This Inner Loop Header: Depth=2
	ds_load_b32 v24, v22
	s_mov_b32 s12, exec_lo
	s_waitcnt lgkmcnt(0)
	v_cmpx_ne_u32_e32 0, v24
	s_cbranch_execz .LBB134_100
; %bb.102:                              ;   in Loop: Header=BB134_101 Depth=2
	v_ashrrev_i32_e32 v25, 31, v24
	v_add_co_u32 v26, vcc_lo, v11, v24
	s_delay_alu instid0(VALU_DEP_2) | instskip(SKIP_2) | instid1(VALU_DEP_3)
	v_add_co_ci_u32_e32 v27, vcc_lo, v12, v25, vcc_lo
	v_add_co_u32 v28, vcc_lo, v20, v15
	v_add_co_ci_u32_e32 v29, vcc_lo, v21, v16, vcc_lo
	v_lshlrev_b64 v[26:27], 3, v[26:27]
	s_delay_alu instid0(VALU_DEP_1) | instskip(NEXT) | instid1(VALU_DEP_2)
	v_add_co_u32 v26, vcc_lo, s65, v26
	v_add_co_ci_u32_e32 v27, vcc_lo, s66, v27, vcc_lo
	global_store_b64 v[26:27], v[28:29], off
	s_and_b32 exec_lo, exec_lo, s62
	s_cbranch_execz .LBB134_100
; %bb.103:                              ;   in Loop: Header=BB134_101 Depth=2
	v_add_co_u32 v26, vcc_lo, v17, v24
	v_add_co_ci_u32_e32 v24, vcc_lo, v19, v25, vcc_lo
	s_delay_alu instid0(VALU_DEP_2) | instskip(NEXT) | instid1(VALU_DEP_2)
	v_mul_lo_u32 v29, v26, s45
	v_mul_lo_u32 v28, v24, s44
	v_mad_u64_u32 v[24:25], null, v26, s44, 0
	ds_load_b64 v[26:27], v23
	v_add3_u32 v25, v25, v29, v28
	s_delay_alu instid0(VALU_DEP_1) | instskip(NEXT) | instid1(VALU_DEP_1)
	v_lshlrev_b64 v[24:25], 3, v[24:25]
	v_add_co_u32 v24, vcc_lo, v51, v24
	s_delay_alu instid0(VALU_DEP_2)
	v_add_co_ci_u32_e32 v25, vcc_lo, v50, v25, vcc_lo
	s_waitcnt lgkmcnt(0)
	global_store_b64 v[24:25], v[26:27], off
	s_branch .LBB134_100
.LBB134_104:
	s_endpgm
	.section	.rodata,"a",@progbits
	.p2align	6, 0x0
	.amdhsa_kernel _ZN9rocsparseL38bsrgemm_block_per_row_atomic_multipassILj256ELj256ELj2Ell21rocsparse_complex_numIfEEEv20rocsparse_direction_T3_S4_PKS4_S6_NS_24const_host_device_scalarIT4_EEPKT2_S6_PKS8_SC_S6_SE_S9_SC_S6_SE_SC_PS4_PS8_PSA_21rocsparse_index_base_SI_SI_SI_bbb
		.amdhsa_group_segment_fixed_size 11272
		.amdhsa_private_segment_fixed_size 0
		.amdhsa_kernarg_size 180
		.amdhsa_user_sgpr_count 15
		.amdhsa_user_sgpr_dispatch_ptr 0
		.amdhsa_user_sgpr_queue_ptr 0
		.amdhsa_user_sgpr_kernarg_segment_ptr 1
		.amdhsa_user_sgpr_dispatch_id 0
		.amdhsa_user_sgpr_private_segment_size 0
		.amdhsa_wavefront_size32 1
		.amdhsa_uses_dynamic_stack 0
		.amdhsa_enable_private_segment 0
		.amdhsa_system_sgpr_workgroup_id_x 1
		.amdhsa_system_sgpr_workgroup_id_y 0
		.amdhsa_system_sgpr_workgroup_id_z 0
		.amdhsa_system_sgpr_workgroup_info 0
		.amdhsa_system_vgpr_workitem_id 0
		.amdhsa_next_free_vgpr 67
		.amdhsa_next_free_sgpr 72
		.amdhsa_reserve_vcc 1
		.amdhsa_float_round_mode_32 0
		.amdhsa_float_round_mode_16_64 0
		.amdhsa_float_denorm_mode_32 3
		.amdhsa_float_denorm_mode_16_64 3
		.amdhsa_dx10_clamp 1
		.amdhsa_ieee_mode 1
		.amdhsa_fp16_overflow 0
		.amdhsa_workgroup_processor_mode 1
		.amdhsa_memory_ordered 1
		.amdhsa_forward_progress 0
		.amdhsa_shared_vgpr_count 0
		.amdhsa_exception_fp_ieee_invalid_op 0
		.amdhsa_exception_fp_denorm_src 0
		.amdhsa_exception_fp_ieee_div_zero 0
		.amdhsa_exception_fp_ieee_overflow 0
		.amdhsa_exception_fp_ieee_underflow 0
		.amdhsa_exception_fp_ieee_inexact 0
		.amdhsa_exception_int_div_zero 0
	.end_amdhsa_kernel
	.section	.text._ZN9rocsparseL38bsrgemm_block_per_row_atomic_multipassILj256ELj256ELj2Ell21rocsparse_complex_numIfEEEv20rocsparse_direction_T3_S4_PKS4_S6_NS_24const_host_device_scalarIT4_EEPKT2_S6_PKS8_SC_S6_SE_S9_SC_S6_SE_SC_PS4_PS8_PSA_21rocsparse_index_base_SI_SI_SI_bbb,"axG",@progbits,_ZN9rocsparseL38bsrgemm_block_per_row_atomic_multipassILj256ELj256ELj2Ell21rocsparse_complex_numIfEEEv20rocsparse_direction_T3_S4_PKS4_S6_NS_24const_host_device_scalarIT4_EEPKT2_S6_PKS8_SC_S6_SE_S9_SC_S6_SE_SC_PS4_PS8_PSA_21rocsparse_index_base_SI_SI_SI_bbb,comdat
.Lfunc_end134:
	.size	_ZN9rocsparseL38bsrgemm_block_per_row_atomic_multipassILj256ELj256ELj2Ell21rocsparse_complex_numIfEEEv20rocsparse_direction_T3_S4_PKS4_S6_NS_24const_host_device_scalarIT4_EEPKT2_S6_PKS8_SC_S6_SE_S9_SC_S6_SE_SC_PS4_PS8_PSA_21rocsparse_index_base_SI_SI_SI_bbb, .Lfunc_end134-_ZN9rocsparseL38bsrgemm_block_per_row_atomic_multipassILj256ELj256ELj2Ell21rocsparse_complex_numIfEEEv20rocsparse_direction_T3_S4_PKS4_S6_NS_24const_host_device_scalarIT4_EEPKT2_S6_PKS8_SC_S6_SE_S9_SC_S6_SE_SC_PS4_PS8_PSA_21rocsparse_index_base_SI_SI_SI_bbb
                                        ; -- End function
	.section	.AMDGPU.csdata,"",@progbits
; Kernel info:
; codeLenInByte = 4328
; NumSgprs: 74
; NumVgprs: 67
; ScratchSize: 0
; MemoryBound: 0
; FloatMode: 240
; IeeeMode: 1
; LDSByteSize: 11272 bytes/workgroup (compile time only)
; SGPRBlocks: 9
; VGPRBlocks: 8
; NumSGPRsForWavesPerEU: 74
; NumVGPRsForWavesPerEU: 67
; Occupancy: 16
; WaveLimiterHint : 1
; COMPUTE_PGM_RSRC2:SCRATCH_EN: 0
; COMPUTE_PGM_RSRC2:USER_SGPR: 15
; COMPUTE_PGM_RSRC2:TRAP_HANDLER: 0
; COMPUTE_PGM_RSRC2:TGID_X_EN: 1
; COMPUTE_PGM_RSRC2:TGID_Y_EN: 0
; COMPUTE_PGM_RSRC2:TGID_Z_EN: 0
; COMPUTE_PGM_RSRC2:TIDIG_COMP_CNT: 0
	.section	.text._ZN9rocsparseL23bsrgemm_fill_wf_per_rowILj256ELj64ELj8ELj137ELj4Ell21rocsparse_complex_numIfEEEv20rocsparse_direction_T5_S4_S4_PKS4_S6_NS_24const_host_device_scalarIT6_EEPKT4_S6_PKS8_SC_S6_SE_S9_SC_S6_SE_SC_PS4_PS8_21rocsparse_index_base_SH_SH_SH_bbb,"axG",@progbits,_ZN9rocsparseL23bsrgemm_fill_wf_per_rowILj256ELj64ELj8ELj137ELj4Ell21rocsparse_complex_numIfEEEv20rocsparse_direction_T5_S4_S4_PKS4_S6_NS_24const_host_device_scalarIT6_EEPKT4_S6_PKS8_SC_S6_SE_S9_SC_S6_SE_SC_PS4_PS8_21rocsparse_index_base_SH_SH_SH_bbb,comdat
	.globl	_ZN9rocsparseL23bsrgemm_fill_wf_per_rowILj256ELj64ELj8ELj137ELj4Ell21rocsparse_complex_numIfEEEv20rocsparse_direction_T5_S4_S4_PKS4_S6_NS_24const_host_device_scalarIT6_EEPKT4_S6_PKS8_SC_S6_SE_S9_SC_S6_SE_SC_PS4_PS8_21rocsparse_index_base_SH_SH_SH_bbb ; -- Begin function _ZN9rocsparseL23bsrgemm_fill_wf_per_rowILj256ELj64ELj8ELj137ELj4Ell21rocsparse_complex_numIfEEEv20rocsparse_direction_T5_S4_S4_PKS4_S6_NS_24const_host_device_scalarIT6_EEPKT4_S6_PKS8_SC_S6_SE_S9_SC_S6_SE_SC_PS4_PS8_21rocsparse_index_base_SH_SH_SH_bbb
	.p2align	8
	.type	_ZN9rocsparseL23bsrgemm_fill_wf_per_rowILj256ELj64ELj8ELj137ELj4Ell21rocsparse_complex_numIfEEEv20rocsparse_direction_T5_S4_S4_PKS4_S6_NS_24const_host_device_scalarIT6_EEPKT4_S6_PKS8_SC_S6_SE_S9_SC_S6_SE_SC_PS4_PS8_21rocsparse_index_base_SH_SH_SH_bbb,@function
_ZN9rocsparseL23bsrgemm_fill_wf_per_rowILj256ELj64ELj8ELj137ELj4Ell21rocsparse_complex_numIfEEEv20rocsparse_direction_T5_S4_S4_PKS4_S6_NS_24const_host_device_scalarIT6_EEPKT4_S6_PKS8_SC_S6_SE_S9_SC_S6_SE_SC_PS4_PS8_21rocsparse_index_base_SH_SH_SH_bbb: ; @_ZN9rocsparseL23bsrgemm_fill_wf_per_rowILj256ELj64ELj8ELj137ELj4Ell21rocsparse_complex_numIfEEEv20rocsparse_direction_T5_S4_S4_PKS4_S6_NS_24const_host_device_scalarIT6_EEPKT4_S6_PKS8_SC_S6_SE_S9_SC_S6_SE_SC_PS4_PS8_21rocsparse_index_base_SH_SH_SH_bbb
; %bb.0:
	s_clause 0x6
	s_load_b32 s13, s[0:1], 0xb0
	s_load_b256 s[4:11], s[0:1], 0x78
	s_load_b256 s[16:23], s[0:1], 0x58
	s_load_b128 s[44:47], s[0:1], 0x20
	s_load_b256 s[24:31], s[0:1], 0x38
	s_load_b64 s[2:3], s[0:1], 0x98
	s_load_b128 s[36:39], s[0:1], 0xa0
	s_mov_b32 s35, 0
	s_mov_b32 s48, 0
	s_waitcnt lgkmcnt(0)
	s_bitcmp1_b32 s13, 0
	s_cselect_b32 s12, -1, 0
	s_bitcmp1_b32 s13, 16
	s_cselect_b32 s14, -1, 0
	s_delay_alu instid0(SALU_CYCLE_1) | instskip(SKIP_2) | instid1(VALU_DEP_1)
	s_xor_b32 s14, s14, -1
	s_bitcmp0_b32 s13, 0
	v_cndmask_b32_e64 v1, 0, 1, s14
	v_cmp_ne_u32_e32 vcc_lo, 1, v1
	s_cbranch_scc1 .LBB135_5
; %bb.1:
	s_load_b64 s[34:35], s[0:1], 0x30
	s_and_b32 vcc_lo, exec_lo, vcc_lo
	s_waitcnt lgkmcnt(0)
	s_mov_b32 s48, s34
	s_cbranch_vccnz .LBB135_3
; %bb.2:
	s_load_b32 s48, s[34:35], 0x0
.LBB135_3:
	s_and_not1_b32 vcc_lo, exec_lo, s14
	s_cbranch_vccnz .LBB135_5
; %bb.4:
	s_load_b32 s35, s[34:35], 0x4
.LBB135_5:
	s_bitcmp1_b32 s13, 8
	s_mov_b32 s34, 0
	s_cselect_b32 s49, -1, 0
	s_bfe_u32 s13, s13, 0x10008
	s_mov_b32 s33, 0
	s_cmp_eq_u32 s13, 0
	s_cbranch_scc1 .LBB135_11
; %bb.6:
	v_cmp_ne_u32_e32 vcc_lo, 1, v1
	s_mov_b32 s33, s20
	s_cbranch_vccnz .LBB135_8
; %bb.7:
	s_load_b32 s33, s[20:21], 0x0
.LBB135_8:
	v_cmp_ne_u32_e32 vcc_lo, 1, v1
	s_cbranch_vccnz .LBB135_10
; %bb.9:
	s_load_b32 s21, s[20:21], 0x4
.LBB135_10:
	s_waitcnt lgkmcnt(0)
	s_mov_b32 s34, s21
.LBB135_11:
	s_clause 0x1
	s_load_b128 s[40:43], s[0:1], 0x8
	s_load_b64 s[20:21], s[0:1], 0x18
	s_movk_i32 s13, 0xc0
	v_and_b32_e32 v3, 63, v0
	v_lshrrev_b32_e32 v33, 6, v0
	v_and_or_b32 v32, v0, s13, 0x1000
	s_mov_b32 s13, exec_lo
	s_delay_alu instid0(VALU_DEP_3)
	v_cmpx_gt_u32_e32 8, v3
	s_cbranch_execz .LBB135_13
; %bb.12:
	s_delay_alu instid0(VALU_DEP_2)
	v_lshl_add_u32 v4, v3, 3, v32
	s_waitcnt lgkmcnt(0)
	v_dual_mov_b32 v1, s42 :: v_dual_mov_b32 v2, s43
	ds_store_b64 v4, v[1:2]
.LBB135_13:
	s_or_b32 exec_lo, exec_lo, s13
	v_dual_mov_b32 v1, 0 :: v_dual_lshlrev_b32 v34, 10, v33
	v_or_b32_e32 v4, 0xffffffc0, v3
	s_mov_b32 s13, 0
	s_delay_alu instid0(VALU_DEP_2) | instskip(NEXT) | instid1(VALU_DEP_3)
	v_lshl_or_b32 v5, v3, 3, v34
	v_mov_b32_e32 v2, v1
.LBB135_14:                             ; =>This Inner Loop Header: Depth=1
	s_delay_alu instid0(VALU_DEP_3) | instskip(NEXT) | instid1(VALU_DEP_1)
	v_add_co_u32 v4, s14, v4, 64
	s_xor_b32 s14, s14, -1
	ds_store_b64 v5, v[1:2]
	v_add_nc_u32_e32 v5, 0x200, v5
	s_and_b32 s14, exec_lo, s14
	s_delay_alu instid0(SALU_CYCLE_1) | instskip(NEXT) | instid1(SALU_CYCLE_1)
	s_or_b32 s13, s14, s13
	s_and_not1_b32 exec_lo, exec_lo, s13
	s_cbranch_execnz .LBB135_14
; %bb.15:
	s_or_b32 exec_lo, exec_lo, s13
	v_lshl_or_b32 v1, s15, 2, v33
	v_mov_b32_e32 v2, 0
	s_waitcnt lgkmcnt(0)
	s_barrier
	buffer_gl0_inv
	s_mov_b32 s13, exec_lo
	v_cmpx_gt_i64_e64 s[40:41], v[1:2]
	s_cbranch_execz .LBB135_69
; %bb.16:
	s_cmp_eq_u64 s[46:47], 0
	s_cbranch_scc1 .LBB135_18
; %bb.17:
	s_load_b64 s[14:15], s[44:45], 0x0
	v_lshlrev_b64 v[1:2], 3, v[1:2]
	s_waitcnt lgkmcnt(0)
	s_lshl_b64 s[14:15], s[14:15], 3
	s_delay_alu instid0(SALU_CYCLE_1) | instskip(SKIP_1) | instid1(VALU_DEP_1)
	s_add_u32 s13, s46, s14
	s_addc_u32 s14, s47, s15
	v_add_co_u32 v1, vcc_lo, s13, v1
	v_add_co_ci_u32_e32 v2, vcc_lo, s14, v2, vcc_lo
	global_load_b64 v[1:2], v[1:2], off
.LBB135_18:
	s_load_b32 s44, s[0:1], 0x0
	s_waitcnt vmcnt(0)
	v_lshlrev_b64 v[8:9], 3, v[1:2]
	v_lshrrev_b32_e32 v35, 4, v3
	v_and_b32_e32 v6, 3, v0
	v_bfe_u32 v4, v0, 2, 2
	s_and_not1_b32 vcc_lo, exec_lo, s12
	s_mul_i32 s40, s20, s21
	s_mul_hi_u32 s41, s20, s20
	s_mul_i32 s12, s20, s20
	s_cbranch_vccnz .LBB135_46
; %bb.19:
	v_add_co_u32 v0, vcc_lo, s24, v8
	v_add_co_ci_u32_e32 v1, vcc_lo, s25, v9, vcc_lo
	v_sub_co_u32 v5, s0, v35, s36
	s_delay_alu instid0(VALU_DEP_1)
	v_sub_co_ci_u32_e64 v7, null, 0, 0, s0
	global_load_b128 v[0:3], v[0:1], off
	s_mov_b32 s46, 0
	s_mov_b32 s45, exec_lo
	s_waitcnt vmcnt(0)
	v_sub_co_u32 v10, vcc_lo, v2, s36
	v_subrev_co_ci_u32_e32 v11, vcc_lo, 0, v3, vcc_lo
	v_add_co_u32 v12, vcc_lo, v0, v5
	v_add_co_ci_u32_e32 v13, vcc_lo, v1, v7, vcc_lo
	s_delay_alu instid0(VALU_DEP_1)
	v_cmpx_lt_i64_e64 v[12:13], v[10:11]
	s_cbranch_execz .LBB135_45
; %bb.20:
	s_waitcnt lgkmcnt(0)
	s_cmp_lg_u32 s44, 0
	v_mul_lo_u32 v16, s12, v13
	s_cselect_b32 s47, -1, 0
	s_add_i32 s0, s41, s40
	v_mad_u64_u32 v[0:1], null, s12, v12, 0
	s_add_i32 s13, s0, s40
	v_dual_mov_b32 v7, 0 :: v_dual_lshlrev_b32 v14, 3, v6
	v_mul_lo_u32 v15, s13, v12
	v_mul_lo_u32 v17, s21, v12
	;; [unrolled: 1-line block ×3, first 2 shown]
	v_mad_u64_u32 v[2:3], null, s20, v12, 0
	v_mov_b32_e32 v5, v7
	v_cmp_gt_i64_e32 vcc_lo, s[20:21], v[6:7]
	s_lshl_b64 s[14:15], s[12:13], 5
	v_add3_u32 v1, v1, v16, v15
	v_lshlrev_b32_e32 v15, 3, v4
	v_cmp_gt_u64_e64 s0, s[20:21], v[4:5]
	v_add3_u32 v3, v3, v18, v17
	v_lshlrev_b32_e32 v5, 5, v4
	v_lshlrev_b64 v[0:1], 3, v[0:1]
	s_lshl_b64 s[24:25], s[20:21], 3
	s_delay_alu instid0(VALU_DEP_3) | instskip(SKIP_2) | instid1(VALU_DEP_2)
	v_lshlrev_b64 v[2:3], 3, v[2:3]
	s_and_b32 s50, vcc_lo, s0
	s_add_u32 s18, s18, 4
	v_add_co_u32 v0, vcc_lo, v0, v15
	v_add_co_ci_u32_e32 v1, vcc_lo, 0, v1, vcc_lo
	s_delay_alu instid0(VALU_DEP_3) | instskip(SKIP_1) | instid1(VALU_DEP_4)
	v_add_co_u32 v2, vcc_lo, v2, v15
	v_add_co_ci_u32_e32 v3, vcc_lo, 0, v3, vcc_lo
	v_add_co_u32 v15, vcc_lo, v0, s28
	s_delay_alu instid0(VALU_DEP_4) | instskip(NEXT) | instid1(VALU_DEP_3)
	v_add_co_ci_u32_e32 v17, vcc_lo, s29, v1, vcc_lo
	v_mul_lo_u32 v3, s20, v3
	v_mul_lo_u32 v18, s21, v2
	v_mad_u64_u32 v[0:1], null, s20, v2, s[28:29]
	v_add_co_u32 v16, vcc_lo, v15, 4
	v_add_co_ci_u32_e32 v17, vcc_lo, 0, v17, vcc_lo
	s_addc_u32 s19, s19, 0
	v_add3_u32 v5, v34, v14, v5
	s_delay_alu instid0(VALU_DEP_4)
	v_add3_u32 v1, v18, v1, v3
	v_add_co_u32 v18, s0, s18, v14
	v_add_co_u32 v20, vcc_lo, v0, 4
	v_mov_b32_e32 v15, v7
	v_add_co_ci_u32_e64 v19, null, s19, 0, s0
	v_add_co_ci_u32_e32 v21, vcc_lo, 0, v1, vcc_lo
	s_lshl_b64 s[28:29], s[12:13], 3
	s_branch .LBB135_22
.LBB135_21:                             ;   in Loop: Header=BB135_22 Depth=1
	s_or_b32 exec_lo, exec_lo, s13
	v_add_co_u32 v12, vcc_lo, v12, 4
	v_add_co_ci_u32_e32 v13, vcc_lo, 0, v13, vcc_lo
	v_add_co_u32 v16, vcc_lo, v16, s14
	v_add_co_ci_u32_e32 v17, vcc_lo, s15, v17, vcc_lo
	s_delay_alu instid0(VALU_DEP_3) | instskip(SKIP_1) | instid1(VALU_DEP_1)
	v_cmp_ge_i64_e32 vcc_lo, v[12:13], v[10:11]
	v_add_co_u32 v20, s0, v20, s14
	v_add_co_ci_u32_e64 v21, s0, s15, v21, s0
	s_or_b32 s46, vcc_lo, s46
	s_delay_alu instid0(SALU_CYCLE_1)
	s_and_not1_b32 exec_lo, exec_lo, s46
	s_cbranch_execz .LBB135_45
.LBB135_22:                             ; =>This Loop Header: Depth=1
                                        ;     Child Loop BB135_25 Depth 2
                                        ;       Child Loop BB135_32 Depth 3
                                        ;       Child Loop BB135_28 Depth 3
	;; [unrolled: 1-line block ×3, first 2 shown]
	v_lshlrev_b64 v[0:1], 3, v[12:13]
	s_mov_b32 s13, exec_lo
	s_delay_alu instid0(VALU_DEP_1) | instskip(NEXT) | instid1(VALU_DEP_2)
	v_add_co_u32 v0, vcc_lo, s26, v0
	v_add_co_ci_u32_e32 v1, vcc_lo, s27, v1, vcc_lo
	global_load_b64 v[0:1], v[0:1], off
	s_waitcnt vmcnt(0)
	v_sub_co_u32 v0, vcc_lo, v0, s36
	v_subrev_co_ci_u32_e32 v1, vcc_lo, 0, v1, vcc_lo
	s_delay_alu instid0(VALU_DEP_1) | instskip(NEXT) | instid1(VALU_DEP_1)
	v_lshlrev_b64 v[0:1], 3, v[0:1]
	v_add_co_u32 v0, vcc_lo, s30, v0
	s_delay_alu instid0(VALU_DEP_2)
	v_add_co_ci_u32_e32 v1, vcc_lo, s31, v1, vcc_lo
	global_load_b128 v[0:3], v[0:1], off
	s_waitcnt vmcnt(0)
	v_cmpx_lt_i64_e64 v[0:1], v[2:3]
	s_cbranch_execz .LBB135_21
; %bb.23:                               ;   in Loop: Header=BB135_22 Depth=1
	v_sub_co_u32 v0, vcc_lo, v0, s37
	v_subrev_co_ci_u32_e32 v1, vcc_lo, 0, v1, vcc_lo
	v_sub_co_u32 v2, vcc_lo, v2, s37
	s_delay_alu instid0(VALU_DEP_3) | instskip(NEXT) | instid1(VALU_DEP_3)
	v_mul_lo_u32 v22, s25, v0
	v_mul_lo_u32 v7, s24, v1
	v_mad_u64_u32 v[24:25], null, s24, v0, v[14:15]
	v_mul_lo_u32 v26, s28, v1
	v_mul_lo_u32 v27, s29, v0
	v_subrev_co_ci_u32_e32 v3, vcc_lo, 0, v3, vcc_lo
	s_mov_b32 s51, 0
	s_delay_alu instid0(VALU_DEP_4) | instskip(SKIP_3) | instid1(VALU_DEP_4)
	v_add3_u32 v7, v22, v25, v7
	v_mul_lo_u32 v28, s21, v24
	v_mad_u64_u32 v[22:23], null, s20, v24, s[18:19]
	v_mad_u64_u32 v[24:25], null, s28, v0, v[18:19]
	v_mul_lo_u32 v7, s20, v7
	s_delay_alu instid0(VALU_DEP_2) | instskip(NEXT) | instid1(VALU_DEP_2)
	v_add3_u32 v25, v27, v25, v26
	v_add3_u32 v23, v28, v23, v7
	s_branch .LBB135_25
.LBB135_24:                             ;   in Loop: Header=BB135_25 Depth=2
	s_or_b32 exec_lo, exec_lo, s52
	v_add_co_u32 v0, vcc_lo, v0, 1
	v_add_co_ci_u32_e32 v1, vcc_lo, 0, v1, vcc_lo
	v_add_co_u32 v22, vcc_lo, v22, s28
	v_add_co_ci_u32_e32 v23, vcc_lo, s29, v23, vcc_lo
	s_delay_alu instid0(VALU_DEP_3) | instskip(SKIP_1) | instid1(VALU_DEP_1)
	v_cmp_ge_i64_e32 vcc_lo, v[0:1], v[2:3]
	v_add_co_u32 v24, s0, v24, s28
	v_add_co_ci_u32_e64 v25, s0, s29, v25, s0
	s_or_b32 s51, vcc_lo, s51
	s_delay_alu instid0(SALU_CYCLE_1)
	s_and_not1_b32 exec_lo, exec_lo, s51
	s_cbranch_execz .LBB135_21
.LBB135_25:                             ;   Parent Loop BB135_22 Depth=1
                                        ; =>  This Loop Header: Depth=2
                                        ;       Child Loop BB135_32 Depth 3
                                        ;       Child Loop BB135_28 Depth 3
	;; [unrolled: 1-line block ×3, first 2 shown]
	s_and_saveexec_b32 s52, s50
	s_cbranch_execz .LBB135_24
; %bb.26:                               ;   in Loop: Header=BB135_25 Depth=2
	v_lshlrev_b64 v[26:27], 3, v[0:1]
	s_delay_alu instid0(VALU_DEP_1) | instskip(NEXT) | instid1(VALU_DEP_2)
	v_add_co_u32 v26, vcc_lo, s16, v26
	v_add_co_ci_u32_e32 v27, vcc_lo, s17, v27, vcc_lo
	s_and_not1_b32 vcc_lo, exec_lo, s47
	global_load_b64 v[26:27], v[26:27], off
	s_cbranch_vccnz .LBB135_30
; %bb.27:                               ;   in Loop: Header=BB135_25 Depth=2
	v_mov_b32_e32 v29, v23
	v_dual_mov_b32 v31, v17 :: v_dual_mov_b32 v36, 0
	v_dual_mov_b32 v7, 0 :: v_dual_mov_b32 v28, v22
	v_mov_b32_e32 v30, v16
	s_mov_b64 s[0:1], s[20:21]
	.p2align	6
.LBB135_28:                             ;   Parent Loop BB135_22 Depth=1
                                        ;     Parent Loop BB135_25 Depth=2
                                        ; =>    This Inner Loop Header: Depth=3
	global_load_b64 v[37:38], v[30:31], off offset:-4
	global_load_b64 v[39:40], v[28:29], off offset:-4
	v_add_co_u32 v30, vcc_lo, v30, s24
	v_add_co_ci_u32_e32 v31, vcc_lo, s25, v31, vcc_lo
	v_add_co_u32 v28, vcc_lo, v28, 8
	v_add_co_ci_u32_e32 v29, vcc_lo, 0, v29, vcc_lo
	s_add_u32 s0, s0, -1
	s_addc_u32 s1, s1, -1
	s_delay_alu instid0(SALU_CYCLE_1) | instskip(SKIP_3) | instid1(VALU_DEP_2)
	s_cmp_lg_u64 s[0:1], 0
	s_waitcnt vmcnt(0)
	v_fmac_f32_e32 v7, v37, v39
	v_fmac_f32_e32 v36, v38, v39
	v_fma_f32 v7, -v38, v40, v7
	s_delay_alu instid0(VALU_DEP_2)
	v_fmac_f32_e32 v36, v37, v40
	s_cbranch_scc1 .LBB135_28
; %bb.29:                               ;   in Loop: Header=BB135_25 Depth=2
	s_branch .LBB135_33
.LBB135_30:                             ;   in Loop: Header=BB135_25 Depth=2
                                        ; implicit-def: $vgpr7
                                        ; implicit-def: $vgpr36
	s_cbranch_execz .LBB135_33
; %bb.31:                               ;   in Loop: Header=BB135_25 Depth=2
	v_mov_b32_e32 v29, v21
	v_dual_mov_b32 v31, v25 :: v_dual_mov_b32 v36, 0
	v_dual_mov_b32 v7, 0 :: v_dual_mov_b32 v28, v20
	v_mov_b32_e32 v30, v24
	s_mov_b64 s[0:1], s[20:21]
	.p2align	6
.LBB135_32:                             ;   Parent Loop BB135_22 Depth=1
                                        ;     Parent Loop BB135_25 Depth=2
                                        ; =>    This Inner Loop Header: Depth=3
	global_load_b64 v[37:38], v[28:29], off offset:-4
	global_load_b64 v[39:40], v[30:31], off offset:-4
	v_add_co_u32 v30, vcc_lo, v30, s24
	v_add_co_ci_u32_e32 v31, vcc_lo, s25, v31, vcc_lo
	v_add_co_u32 v28, vcc_lo, v28, 8
	v_add_co_ci_u32_e32 v29, vcc_lo, 0, v29, vcc_lo
	s_add_u32 s0, s0, -1
	s_addc_u32 s1, s1, -1
	s_delay_alu instid0(SALU_CYCLE_1) | instskip(SKIP_3) | instid1(VALU_DEP_2)
	s_cmp_eq_u64 s[0:1], 0
	s_waitcnt vmcnt(0)
	v_fmac_f32_e32 v7, v37, v39
	v_fmac_f32_e32 v36, v38, v39
	v_fma_f32 v7, -v38, v40, v7
	s_delay_alu instid0(VALU_DEP_2)
	v_fmac_f32_e32 v36, v37, v40
	s_cbranch_scc0 .LBB135_32
.LBB135_33:                             ;   in Loop: Header=BB135_25 Depth=2
	s_delay_alu instid0(VALU_DEP_1)
	v_mul_f32_e64 v30, v36, -s35
	v_mul_f32_e32 v31, s48, v36
	s_waitcnt vmcnt(0)
	v_sub_co_u32 v26, vcc_lo, v26, s37
	v_subrev_co_ci_u32_e32 v27, vcc_lo, 0, v27, vcc_lo
	v_fmac_f32_e32 v30, s48, v7
	v_fmac_f32_e32 v31, s35, v7
	s_delay_alu instid0(VALU_DEP_4)
	v_and_b32_e32 v7, 7, v26
	s_mov_b32 s0, 0
	s_branch .LBB135_35
.LBB135_34:                             ;   in Loop: Header=BB135_35 Depth=3
	s_or_b32 exec_lo, exec_lo, s1
	s_xor_b32 s1, s53, -1
	s_delay_alu instid0(SALU_CYCLE_1) | instskip(NEXT) | instid1(SALU_CYCLE_1)
	s_and_b32 s1, exec_lo, s1
	s_or_b32 s0, s1, s0
	s_delay_alu instid0(SALU_CYCLE_1)
	s_and_not1_b32 exec_lo, exec_lo, s0
	s_cbranch_execz .LBB135_24
.LBB135_35:                             ;   Parent Loop BB135_22 Depth=1
                                        ;     Parent Loop BB135_25 Depth=2
                                        ; =>    This Inner Loop Header: Depth=3
	s_delay_alu instid0(VALU_DEP_1)
	v_lshl_add_u32 v36, v7, 3, v32
	s_mov_b32 s1, exec_lo
                                        ; implicit-def: $sgpr53
	ds_load_b64 v[28:29], v36
	s_waitcnt lgkmcnt(0)
	v_cmpx_ne_u64_e64 v[28:29], v[26:27]
	s_xor_b32 s1, exec_lo, s1
	s_cbranch_execz .LBB135_43
; %bb.36:                               ;   in Loop: Header=BB135_35 Depth=3
	s_mov_b32 s54, exec_lo
                                        ; implicit-def: $sgpr53
	v_cmpx_ne_u64_e64 s[42:43], v[28:29]
	s_xor_b32 s54, exec_lo, s54
; %bb.37:                               ;   in Loop: Header=BB135_35 Depth=3
	v_add_nc_u32_e32 v7, 1, v7
	s_mov_b32 s53, -1
                                        ; implicit-def: $vgpr36
	s_delay_alu instid0(VALU_DEP_1)
	v_and_b32_e32 v7, 7, v7
; %bb.38:                               ;   in Loop: Header=BB135_35 Depth=3
	s_and_not1_saveexec_b32 s54, s54
	s_cbranch_execz .LBB135_42
; %bb.39:                               ;   in Loop: Header=BB135_35 Depth=3
	v_dual_mov_b32 v28, s42 :: v_dual_mov_b32 v29, s43
	s_mov_b32 s55, -1
	s_mov_b32 s56, exec_lo
	ds_cmpstore_rtn_b64 v[28:29], v36, v[26:27], v[28:29]
	s_waitcnt lgkmcnt(0)
	v_cmpx_eq_u64_e64 s[42:43], v[28:29]
	s_cbranch_execz .LBB135_41
; %bb.40:                               ;   in Loop: Header=BB135_35 Depth=3
	v_lshl_add_u32 v28, v7, 7, v5
	s_xor_b32 s55, exec_lo, -1
	ds_add_f32 v28, v30
	ds_add_f32 v28, v31 offset:4
.LBB135_41:                             ;   in Loop: Header=BB135_35 Depth=3
	s_or_b32 exec_lo, exec_lo, s56
	s_delay_alu instid0(SALU_CYCLE_1) | instskip(SKIP_1) | instid1(SALU_CYCLE_1)
	s_and_not1_b32 s53, s53, exec_lo
	s_and_b32 s55, s55, exec_lo
	s_or_b32 s53, s53, s55
.LBB135_42:                             ;   in Loop: Header=BB135_35 Depth=3
	s_or_b32 exec_lo, exec_lo, s54
	s_delay_alu instid0(SALU_CYCLE_1)
	s_and_b32 s53, s53, exec_lo
.LBB135_43:                             ;   in Loop: Header=BB135_35 Depth=3
	s_and_not1_saveexec_b32 s1, s1
	s_cbranch_execz .LBB135_34
; %bb.44:                               ;   in Loop: Header=BB135_35 Depth=3
	v_lshl_add_u32 v28, v7, 7, v5
	s_and_not1_b32 s53, s53, exec_lo
	ds_add_f32 v28, v30
	ds_add_f32 v28, v31 offset:4
	s_branch .LBB135_34
.LBB135_45:
	s_or_b32 exec_lo, exec_lo, s45
.LBB135_46:
	s_delay_alu instid0(SALU_CYCLE_1)
	s_and_not1_b32 vcc_lo, exec_lo, s49
	s_waitcnt lgkmcnt(0)
	s_barrier
	buffer_gl0_inv
	s_cbranch_vccnz .LBB135_64
; %bb.47:
	v_add_co_u32 v0, vcc_lo, s22, v8
	v_add_co_ci_u32_e32 v1, vcc_lo, s23, v9, vcc_lo
	v_sub_co_u32 v2, s0, v35, s39
	s_delay_alu instid0(VALU_DEP_1)
	v_sub_co_ci_u32_e64 v3, null, 0, 0, s0
	global_load_b128 v[10:13], v[0:1], off
	s_mov_b32 s13, 0
	s_mov_b32 s14, exec_lo
	s_waitcnt vmcnt(0)
	v_sub_co_u32 v0, vcc_lo, v12, s39
	v_subrev_co_ci_u32_e32 v1, vcc_lo, 0, v13, vcc_lo
	v_add_co_u32 v2, vcc_lo, v10, v2
	v_add_co_ci_u32_e32 v3, vcc_lo, v11, v3, vcc_lo
	s_delay_alu instid0(VALU_DEP_1)
	v_cmpx_lt_i64_e64 v[2:3], v[0:1]
	s_cbranch_execz .LBB135_63
; %bb.48:
	v_mad_u64_u32 v[10:11], null, v6, s20, 0
	v_mad_u64_u32 v[12:13], null, v4, s20, 0
	v_lshlrev_b32_e32 v17, 5, v4
	s_cmp_eq_u32 s44, 0
	s_mov_b32 s15, s39
	s_cselect_b32 s1, -1, 0
	s_delay_alu instid0(VALU_DEP_3) | instskip(NEXT) | instid1(VALU_DEP_3)
	v_dual_mov_b32 v5, v11 :: v_dual_lshlrev_b32 v16, 3, v6
	v_mov_b32_e32 v7, v13
	s_delay_alu instid0(VALU_DEP_2) | instskip(NEXT) | instid1(VALU_DEP_2)
	v_mad_u64_u32 v[13:14], null, v6, s21, v[5:6]
	v_mad_u64_u32 v[14:15], null, v4, s21, v[7:8]
	v_mov_b32_e32 v7, 0
	s_delay_alu instid0(VALU_DEP_3) | instskip(NEXT) | instid1(VALU_DEP_2)
	v_mov_b32_e32 v11, v13
	v_mov_b32_e32 v5, v7
	s_delay_alu instid0(VALU_DEP_4) | instskip(SKIP_1) | instid1(VALU_DEP_4)
	v_mov_b32_e32 v13, v14
	v_cmp_gt_i64_e32 vcc_lo, s[20:21], v[6:7]
	v_lshlrev_b64 v[10:11], 3, v[10:11]
	s_delay_alu instid0(VALU_DEP_4) | instskip(NEXT) | instid1(VALU_DEP_4)
	v_lshlrev_b64 v[14:15], 3, v[4:5]
	v_lshlrev_b64 v[12:13], 3, v[12:13]
	s_delay_alu instid0(VALU_DEP_3) | instskip(NEXT) | instid1(VALU_DEP_1)
	v_add_co_u32 v7, s0, s6, v10
	v_add_co_ci_u32_e64 v10, s0, s7, v11, s0
	s_delay_alu instid0(VALU_DEP_3) | instskip(NEXT) | instid1(VALU_DEP_1)
	v_add_co_u32 v11, s0, s6, v12
	v_add_co_ci_u32_e64 v12, s0, s7, v13, s0
	s_delay_alu instid0(VALU_DEP_4) | instskip(NEXT) | instid1(VALU_DEP_1)
	v_add_co_u32 v13, s0, v7, v14
	v_add_co_ci_u32_e64 v10, s0, v10, v15, s0
	s_delay_alu instid0(VALU_DEP_4) | instskip(NEXT) | instid1(VALU_DEP_1)
	v_add_co_u32 v11, s0, v11, v16
	v_add_co_ci_u32_e64 v12, s0, 0, v12, s0
	v_cmp_gt_u64_e64 s0, s[20:21], v[4:5]
	v_add3_u32 v7, v34, v16, v17
	s_delay_alu instid0(VALU_DEP_4) | instskip(NEXT) | instid1(VALU_DEP_4)
	v_cndmask_b32_e64 v14, v13, v11, s1
	v_cndmask_b32_e64 v5, v10, v12, s1
	s_add_i32 s6, s41, s40
	s_delay_alu instid0(SALU_CYCLE_1)
	s_add_i32 s1, s6, s40
	s_and_b32 s0, vcc_lo, s0
	s_branch .LBB135_50
.LBB135_49:                             ;   in Loop: Header=BB135_50 Depth=1
	s_or_b32 exec_lo, exec_lo, s6
	v_add_co_u32 v2, vcc_lo, v2, 4
	v_add_co_ci_u32_e32 v3, vcc_lo, 0, v3, vcc_lo
	s_delay_alu instid0(VALU_DEP_1) | instskip(SKIP_1) | instid1(SALU_CYCLE_1)
	v_cmp_ge_i64_e32 vcc_lo, v[2:3], v[0:1]
	s_or_b32 s13, vcc_lo, s13
	s_and_not1_b32 exec_lo, exec_lo, s13
	s_cbranch_execz .LBB135_63
.LBB135_50:                             ; =>This Loop Header: Depth=1
                                        ;     Child Loop BB135_53 Depth 2
	s_and_saveexec_b32 s6, s0
	s_cbranch_execz .LBB135_49
; %bb.51:                               ;   in Loop: Header=BB135_50 Depth=1
	v_mul_lo_u32 v12, s1, v2
	v_mul_lo_u32 v13, s12, v3
	v_mad_u64_u32 v[10:11], null, s12, v2, 0
	s_mov_b32 s7, 0
	s_delay_alu instid0(VALU_DEP_1) | instskip(SKIP_1) | instid1(VALU_DEP_2)
	v_add3_u32 v11, v11, v13, v12
	v_lshlrev_b64 v[12:13], 3, v[2:3]
	v_lshlrev_b64 v[10:11], 3, v[10:11]
	s_delay_alu instid0(VALU_DEP_1) | instskip(NEXT) | instid1(VALU_DEP_2)
	v_add_co_u32 v10, vcc_lo, v14, v10
	v_add_co_ci_u32_e32 v11, vcc_lo, v5, v11, vcc_lo
	s_delay_alu instid0(VALU_DEP_4)
	v_add_co_u32 v12, vcc_lo, s4, v12
	v_add_co_ci_u32_e32 v13, vcc_lo, s5, v13, vcc_lo
	global_load_b64 v[17:18], v[10:11], off
	global_load_b64 v[10:11], v[12:13], off
	s_waitcnt vmcnt(1)
	v_mul_f32_e64 v15, v18, -s34
	v_mul_f32_e32 v16, s33, v18
	s_waitcnt vmcnt(0)
	v_sub_co_u32 v10, vcc_lo, v10, s15
	v_subrev_co_ci_u32_e32 v11, vcc_lo, 0, v11, vcc_lo
	v_fmac_f32_e32 v15, s33, v17
	s_delay_alu instid0(VALU_DEP_3)
	v_dual_fmac_f32 v16, s34, v17 :: v_dual_and_b32 v17, 7, v10
	s_branch .LBB135_53
.LBB135_52:                             ;   in Loop: Header=BB135_53 Depth=2
	s_or_b32 exec_lo, exec_lo, s16
	s_xor_b32 s16, s17, -1
	s_delay_alu instid0(SALU_CYCLE_1) | instskip(NEXT) | instid1(SALU_CYCLE_1)
	s_and_b32 s16, exec_lo, s16
	s_or_b32 s7, s16, s7
	s_delay_alu instid0(SALU_CYCLE_1)
	s_and_not1_b32 exec_lo, exec_lo, s7
	s_cbranch_execz .LBB135_49
.LBB135_53:                             ;   Parent Loop BB135_50 Depth=1
                                        ; =>  This Inner Loop Header: Depth=2
	s_delay_alu instid0(VALU_DEP_1)
	v_lshl_add_u32 v18, v17, 3, v32
	s_mov_b32 s16, exec_lo
                                        ; implicit-def: $sgpr17
	ds_load_b64 v[12:13], v18
	s_waitcnt lgkmcnt(0)
	v_cmpx_ne_u64_e64 v[12:13], v[10:11]
	s_xor_b32 s16, exec_lo, s16
	s_cbranch_execz .LBB135_61
; %bb.54:                               ;   in Loop: Header=BB135_53 Depth=2
	s_mov_b32 s18, exec_lo
                                        ; implicit-def: $sgpr17
	v_cmpx_ne_u64_e64 s[42:43], v[12:13]
	s_xor_b32 s18, exec_lo, s18
; %bb.55:                               ;   in Loop: Header=BB135_53 Depth=2
	v_add_nc_u32_e32 v12, 1, v17
	s_mov_b32 s17, -1
                                        ; implicit-def: $vgpr18
	s_delay_alu instid0(VALU_DEP_1)
	v_and_b32_e32 v17, 7, v12
; %bb.56:                               ;   in Loop: Header=BB135_53 Depth=2
	s_and_not1_saveexec_b32 s18, s18
	s_cbranch_execz .LBB135_60
; %bb.57:                               ;   in Loop: Header=BB135_53 Depth=2
	v_dual_mov_b32 v12, s42 :: v_dual_mov_b32 v13, s43
	s_mov_b32 s19, -1
	s_mov_b32 s22, exec_lo
	ds_cmpstore_rtn_b64 v[12:13], v18, v[10:11], v[12:13]
	s_waitcnt lgkmcnt(0)
	v_cmpx_eq_u64_e64 s[42:43], v[12:13]
	s_cbranch_execz .LBB135_59
; %bb.58:                               ;   in Loop: Header=BB135_53 Depth=2
	v_lshl_add_u32 v12, v17, 7, v7
	s_xor_b32 s19, exec_lo, -1
	ds_add_f32 v12, v15
	ds_add_f32 v12, v16 offset:4
.LBB135_59:                             ;   in Loop: Header=BB135_53 Depth=2
	s_or_b32 exec_lo, exec_lo, s22
	s_delay_alu instid0(SALU_CYCLE_1) | instskip(SKIP_1) | instid1(SALU_CYCLE_1)
	s_and_not1_b32 s17, s17, exec_lo
	s_and_b32 s19, s19, exec_lo
	s_or_b32 s17, s17, s19
.LBB135_60:                             ;   in Loop: Header=BB135_53 Depth=2
	s_or_b32 exec_lo, exec_lo, s18
	s_delay_alu instid0(SALU_CYCLE_1)
	s_and_b32 s17, s17, exec_lo
.LBB135_61:                             ;   in Loop: Header=BB135_53 Depth=2
	s_and_not1_saveexec_b32 s16, s16
	s_cbranch_execz .LBB135_52
; %bb.62:                               ;   in Loop: Header=BB135_53 Depth=2
	v_lshl_add_u32 v12, v17, 7, v7
	s_and_not1_b32 s17, s17, exec_lo
	ds_add_f32 v12, v15
	ds_add_f32 v12, v16 offset:4
	s_branch .LBB135_52
.LBB135_63:
	s_or_b32 exec_lo, exec_lo, s14
.LBB135_64:
	v_add_co_u32 v0, vcc_lo, s8, v8
	v_add_co_ci_u32_e32 v1, vcc_lo, s9, v9, vcc_lo
	s_waitcnt lgkmcnt(0)
	s_barrier
	buffer_gl0_inv
	global_load_b64 v[0:1], v[0:1], off
	v_mad_u64_u32 v[2:3], null, v4, s20, 0
	s_cmp_eq_u32 s44, 0
	v_lshlrev_b32_e32 v11, 3, v6
	s_cselect_b32 vcc_lo, -1, 0
	v_lshlrev_b32_e32 v13, 6, v33
	v_or_b32_e32 v8, -4, v35
	s_add_i32 s4, s41, s40
	s_delay_alu instid0(VALU_DEP_4) | instskip(SKIP_2) | instid1(VALU_DEP_2)
	v_mad_u64_u32 v[9:10], null, v4, s21, v[3:4]
	v_dual_cndmask_b32 v10, v6, v4 :: v_dual_cndmask_b32 v3, v4, v6
	v_dual_mov_b32 v7, 0 :: v_dual_lshlrev_b32 v14, 3, v35
	v_dual_mov_b32 v3, v9 :: v_dual_lshlrev_b32 v12, 3, v3
	s_delay_alu instid0(VALU_DEP_2) | instskip(SKIP_1) | instid1(VALU_DEP_3)
	v_mov_b32_e32 v5, v7
	v_cmp_gt_i64_e32 vcc_lo, s[20:21], v[6:7]
	v_lshl_or_b32 v9, v35, 7, v12
	s_delay_alu instid0(VALU_DEP_4) | instskip(NEXT) | instid1(VALU_DEP_4)
	v_lshlrev_b64 v[2:3], 3, v[2:3]
	v_cmp_gt_u64_e64 s0, s[20:21], v[4:5]
	s_delay_alu instid0(VALU_DEP_3) | instskip(SKIP_1) | instid1(VALU_DEP_4)
	v_lshl_or_b32 v4, v10, 5, v9
	v_or3_b32 v10, v13, v14, 0x1000
	v_add_co_u32 v2, s1, s2, v2
	s_delay_alu instid0(VALU_DEP_1) | instskip(NEXT) | instid1(VALU_DEP_4)
	v_add_co_ci_u32_e64 v3, s1, s3, v3, s1
	v_add_nc_u32_e32 v4, v34, v4
	s_delay_alu instid0(VALU_DEP_3) | instskip(NEXT) | instid1(VALU_DEP_1)
	v_add_co_u32 v5, s1, v2, v11
	v_add_co_ci_u32_e64 v6, s1, 0, v3, s1
	s_add_i32 s2, s4, s40
	s_and_b32 s0, vcc_lo, s0
	s_waitcnt vmcnt(0)
	v_sub_co_u32 v7, s1, v0, s38
	s_delay_alu instid0(VALU_DEP_1)
	v_subrev_co_ci_u32_e64 v9, s1, 0, v1, s1
	s_mov_b32 s1, 0
	s_branch .LBB135_66
.LBB135_65:                             ;   in Loop: Header=BB135_66 Depth=1
	s_or_b32 exec_lo, exec_lo, s3
	v_add_co_u32 v8, s3, v8, 4
	s_delay_alu instid0(VALU_DEP_1) | instskip(SKIP_3) | instid1(SALU_CYCLE_1)
	s_xor_b32 s3, s3, -1
	v_add_nc_u32_e32 v4, 0x200, v4
	v_add_nc_u32_e32 v10, 32, v10
	s_and_b32 s3, exec_lo, s3
	s_or_b32 s1, s3, s1
	s_delay_alu instid0(SALU_CYCLE_1)
	s_and_not1_b32 exec_lo, exec_lo, s1
	s_cbranch_execz .LBB135_69
.LBB135_66:                             ; =>This Inner Loop Header: Depth=1
	ds_load_b64 v[0:1], v10
	s_mov_b32 s3, exec_lo
	s_waitcnt lgkmcnt(0)
	v_cmpx_gt_i64_e64 s[42:43], v[0:1]
	s_cbranch_execz .LBB135_65
; %bb.67:                               ;   in Loop: Header=BB135_66 Depth=1
	ds_load_b128 v[11:14], v32
	ds_load_b128 v[15:18], v32 offset:16
	ds_load_b128 v[19:22], v32 offset:32
	;; [unrolled: 1-line block ×3, first 2 shown]
	s_waitcnt lgkmcnt(3)
	v_cmp_gt_i64_e32 vcc_lo, v[0:1], v[11:12]
	v_cndmask_b32_e64 v2, 0, 1, vcc_lo
	v_cmp_gt_i64_e32 vcc_lo, v[0:1], v[13:14]
	v_cndmask_b32_e64 v3, 0, 1, vcc_lo
	s_delay_alu instid0(VALU_DEP_3)
	v_add_co_u32 v2, vcc_lo, v7, v2
	v_add_co_ci_u32_e32 v11, vcc_lo, 0, v9, vcc_lo
	s_waitcnt lgkmcnt(2)
	v_cmp_gt_i64_e32 vcc_lo, v[0:1], v[15:16]
	v_cndmask_b32_e64 v12, 0, 1, vcc_lo
	v_add_co_u32 v2, vcc_lo, v2, v3
	v_add_co_ci_u32_e32 v3, vcc_lo, 0, v11, vcc_lo
	v_cmp_gt_i64_e32 vcc_lo, v[0:1], v[17:18]
	v_cndmask_b32_e64 v11, 0, 1, vcc_lo
	s_delay_alu instid0(VALU_DEP_4) | instskip(NEXT) | instid1(VALU_DEP_4)
	v_add_co_u32 v2, vcc_lo, v2, v12
	v_add_co_ci_u32_e32 v3, vcc_lo, 0, v3, vcc_lo
	s_waitcnt lgkmcnt(1)
	v_cmp_gt_i64_e32 vcc_lo, v[0:1], v[19:20]
	v_cndmask_b32_e64 v12, 0, 1, vcc_lo
	v_add_co_u32 v2, vcc_lo, v2, v11
	v_add_co_ci_u32_e32 v3, vcc_lo, 0, v3, vcc_lo
	v_cmp_gt_i64_e32 vcc_lo, v[0:1], v[21:22]
	v_cndmask_b32_e64 v11, 0, 1, vcc_lo
	s_delay_alu instid0(VALU_DEP_4) | instskip(NEXT) | instid1(VALU_DEP_4)
	;; [unrolled: 10-line block ×3, first 2 shown]
	v_add_co_u32 v2, vcc_lo, v2, v12
	v_add_co_ci_u32_e32 v3, vcc_lo, 0, v3, vcc_lo
	s_delay_alu instid0(VALU_DEP_2) | instskip(NEXT) | instid1(VALU_DEP_2)
	v_add_co_u32 v2, vcc_lo, v2, v11
	v_add_co_ci_u32_e32 v3, vcc_lo, 0, v3, vcc_lo
	v_add_co_u32 v0, vcc_lo, v0, s38
	v_add_co_ci_u32_e32 v1, vcc_lo, 0, v1, vcc_lo
	s_delay_alu instid0(VALU_DEP_3) | instskip(NEXT) | instid1(VALU_DEP_1)
	v_lshlrev_b64 v[11:12], 3, v[2:3]
	v_add_co_u32 v11, vcc_lo, s10, v11
	s_delay_alu instid0(VALU_DEP_2)
	v_add_co_ci_u32_e32 v12, vcc_lo, s11, v12, vcc_lo
	global_store_b64 v[11:12], v[0:1], off
	s_and_b32 exec_lo, exec_lo, s0
	s_cbranch_execz .LBB135_65
; %bb.68:                               ;   in Loop: Header=BB135_66 Depth=1
	v_mul_lo_u32 v11, s2, v2
	v_mul_lo_u32 v12, s12, v3
	v_mad_u64_u32 v[0:1], null, s12, v2, 0
	ds_load_b64 v[2:3], v4
	v_add3_u32 v1, v1, v12, v11
	s_delay_alu instid0(VALU_DEP_1) | instskip(NEXT) | instid1(VALU_DEP_1)
	v_lshlrev_b64 v[0:1], 3, v[0:1]
	v_add_co_u32 v0, vcc_lo, v5, v0
	s_delay_alu instid0(VALU_DEP_2)
	v_add_co_ci_u32_e32 v1, vcc_lo, v6, v1, vcc_lo
	s_waitcnt lgkmcnt(0)
	global_store_b64 v[0:1], v[2:3], off
	s_branch .LBB135_65
.LBB135_69:
	s_nop 0
	s_sendmsg sendmsg(MSG_DEALLOC_VGPRS)
	s_endpgm
	.section	.rodata,"a",@progbits
	.p2align	6, 0x0
	.amdhsa_kernel _ZN9rocsparseL23bsrgemm_fill_wf_per_rowILj256ELj64ELj8ELj137ELj4Ell21rocsparse_complex_numIfEEEv20rocsparse_direction_T5_S4_S4_PKS4_S6_NS_24const_host_device_scalarIT6_EEPKT4_S6_PKS8_SC_S6_SE_S9_SC_S6_SE_SC_PS4_PS8_21rocsparse_index_base_SH_SH_SH_bbb
		.amdhsa_group_segment_fixed_size 4352
		.amdhsa_private_segment_fixed_size 0
		.amdhsa_kernarg_size 180
		.amdhsa_user_sgpr_count 15
		.amdhsa_user_sgpr_dispatch_ptr 0
		.amdhsa_user_sgpr_queue_ptr 0
		.amdhsa_user_sgpr_kernarg_segment_ptr 1
		.amdhsa_user_sgpr_dispatch_id 0
		.amdhsa_user_sgpr_private_segment_size 0
		.amdhsa_wavefront_size32 1
		.amdhsa_uses_dynamic_stack 0
		.amdhsa_enable_private_segment 0
		.amdhsa_system_sgpr_workgroup_id_x 1
		.amdhsa_system_sgpr_workgroup_id_y 0
		.amdhsa_system_sgpr_workgroup_id_z 0
		.amdhsa_system_sgpr_workgroup_info 0
		.amdhsa_system_vgpr_workitem_id 0
		.amdhsa_next_free_vgpr 41
		.amdhsa_next_free_sgpr 57
		.amdhsa_reserve_vcc 1
		.amdhsa_float_round_mode_32 0
		.amdhsa_float_round_mode_16_64 0
		.amdhsa_float_denorm_mode_32 3
		.amdhsa_float_denorm_mode_16_64 3
		.amdhsa_dx10_clamp 1
		.amdhsa_ieee_mode 1
		.amdhsa_fp16_overflow 0
		.amdhsa_workgroup_processor_mode 1
		.amdhsa_memory_ordered 1
		.amdhsa_forward_progress 0
		.amdhsa_shared_vgpr_count 0
		.amdhsa_exception_fp_ieee_invalid_op 0
		.amdhsa_exception_fp_denorm_src 0
		.amdhsa_exception_fp_ieee_div_zero 0
		.amdhsa_exception_fp_ieee_overflow 0
		.amdhsa_exception_fp_ieee_underflow 0
		.amdhsa_exception_fp_ieee_inexact 0
		.amdhsa_exception_int_div_zero 0
	.end_amdhsa_kernel
	.section	.text._ZN9rocsparseL23bsrgemm_fill_wf_per_rowILj256ELj64ELj8ELj137ELj4Ell21rocsparse_complex_numIfEEEv20rocsparse_direction_T5_S4_S4_PKS4_S6_NS_24const_host_device_scalarIT6_EEPKT4_S6_PKS8_SC_S6_SE_S9_SC_S6_SE_SC_PS4_PS8_21rocsparse_index_base_SH_SH_SH_bbb,"axG",@progbits,_ZN9rocsparseL23bsrgemm_fill_wf_per_rowILj256ELj64ELj8ELj137ELj4Ell21rocsparse_complex_numIfEEEv20rocsparse_direction_T5_S4_S4_PKS4_S6_NS_24const_host_device_scalarIT6_EEPKT4_S6_PKS8_SC_S6_SE_S9_SC_S6_SE_SC_PS4_PS8_21rocsparse_index_base_SH_SH_SH_bbb,comdat
.Lfunc_end135:
	.size	_ZN9rocsparseL23bsrgemm_fill_wf_per_rowILj256ELj64ELj8ELj137ELj4Ell21rocsparse_complex_numIfEEEv20rocsparse_direction_T5_S4_S4_PKS4_S6_NS_24const_host_device_scalarIT6_EEPKT4_S6_PKS8_SC_S6_SE_S9_SC_S6_SE_SC_PS4_PS8_21rocsparse_index_base_SH_SH_SH_bbb, .Lfunc_end135-_ZN9rocsparseL23bsrgemm_fill_wf_per_rowILj256ELj64ELj8ELj137ELj4Ell21rocsparse_complex_numIfEEEv20rocsparse_direction_T5_S4_S4_PKS4_S6_NS_24const_host_device_scalarIT6_EEPKT4_S6_PKS8_SC_S6_SE_S9_SC_S6_SE_SC_PS4_PS8_21rocsparse_index_base_SH_SH_SH_bbb
                                        ; -- End function
	.section	.AMDGPU.csdata,"",@progbits
; Kernel info:
; codeLenInByte = 3548
; NumSgprs: 59
; NumVgprs: 41
; ScratchSize: 0
; MemoryBound: 0
; FloatMode: 240
; IeeeMode: 1
; LDSByteSize: 4352 bytes/workgroup (compile time only)
; SGPRBlocks: 7
; VGPRBlocks: 5
; NumSGPRsForWavesPerEU: 59
; NumVGPRsForWavesPerEU: 41
; Occupancy: 16
; WaveLimiterHint : 1
; COMPUTE_PGM_RSRC2:SCRATCH_EN: 0
; COMPUTE_PGM_RSRC2:USER_SGPR: 15
; COMPUTE_PGM_RSRC2:TRAP_HANDLER: 0
; COMPUTE_PGM_RSRC2:TGID_X_EN: 1
; COMPUTE_PGM_RSRC2:TGID_Y_EN: 0
; COMPUTE_PGM_RSRC2:TGID_Z_EN: 0
; COMPUTE_PGM_RSRC2:TIDIG_COMP_CNT: 0
	.section	.text._ZN9rocsparseL23bsrgemm_fill_wf_per_rowILj256ELj64ELj16ELj137ELj4Ell21rocsparse_complex_numIfEEEv20rocsparse_direction_T5_S4_S4_PKS4_S6_NS_24const_host_device_scalarIT6_EEPKT4_S6_PKS8_SC_S6_SE_S9_SC_S6_SE_SC_PS4_PS8_21rocsparse_index_base_SH_SH_SH_bbb,"axG",@progbits,_ZN9rocsparseL23bsrgemm_fill_wf_per_rowILj256ELj64ELj16ELj137ELj4Ell21rocsparse_complex_numIfEEEv20rocsparse_direction_T5_S4_S4_PKS4_S6_NS_24const_host_device_scalarIT6_EEPKT4_S6_PKS8_SC_S6_SE_S9_SC_S6_SE_SC_PS4_PS8_21rocsparse_index_base_SH_SH_SH_bbb,comdat
	.globl	_ZN9rocsparseL23bsrgemm_fill_wf_per_rowILj256ELj64ELj16ELj137ELj4Ell21rocsparse_complex_numIfEEEv20rocsparse_direction_T5_S4_S4_PKS4_S6_NS_24const_host_device_scalarIT6_EEPKT4_S6_PKS8_SC_S6_SE_S9_SC_S6_SE_SC_PS4_PS8_21rocsparse_index_base_SH_SH_SH_bbb ; -- Begin function _ZN9rocsparseL23bsrgemm_fill_wf_per_rowILj256ELj64ELj16ELj137ELj4Ell21rocsparse_complex_numIfEEEv20rocsparse_direction_T5_S4_S4_PKS4_S6_NS_24const_host_device_scalarIT6_EEPKT4_S6_PKS8_SC_S6_SE_S9_SC_S6_SE_SC_PS4_PS8_21rocsparse_index_base_SH_SH_SH_bbb
	.p2align	8
	.type	_ZN9rocsparseL23bsrgemm_fill_wf_per_rowILj256ELj64ELj16ELj137ELj4Ell21rocsparse_complex_numIfEEEv20rocsparse_direction_T5_S4_S4_PKS4_S6_NS_24const_host_device_scalarIT6_EEPKT4_S6_PKS8_SC_S6_SE_S9_SC_S6_SE_SC_PS4_PS8_21rocsparse_index_base_SH_SH_SH_bbb,@function
_ZN9rocsparseL23bsrgemm_fill_wf_per_rowILj256ELj64ELj16ELj137ELj4Ell21rocsparse_complex_numIfEEEv20rocsparse_direction_T5_S4_S4_PKS4_S6_NS_24const_host_device_scalarIT6_EEPKT4_S6_PKS8_SC_S6_SE_S9_SC_S6_SE_SC_PS4_PS8_21rocsparse_index_base_SH_SH_SH_bbb: ; @_ZN9rocsparseL23bsrgemm_fill_wf_per_rowILj256ELj64ELj16ELj137ELj4Ell21rocsparse_complex_numIfEEEv20rocsparse_direction_T5_S4_S4_PKS4_S6_NS_24const_host_device_scalarIT6_EEPKT4_S6_PKS8_SC_S6_SE_S9_SC_S6_SE_SC_PS4_PS8_21rocsparse_index_base_SH_SH_SH_bbb
; %bb.0:
	s_clause 0x6
	s_load_b32 s3, s[0:1], 0xb0
	s_load_b256 s[4:11], s[0:1], 0x78
	s_load_b256 s[16:23], s[0:1], 0x58
	s_load_b128 s[44:47], s[0:1], 0x20
	s_load_b256 s[24:31], s[0:1], 0x38
	s_load_b64 s[12:13], s[0:1], 0x98
	s_load_b128 s[36:39], s[0:1], 0xa0
	s_mov_b32 s35, 0
	s_mov_b32 s48, 0
	s_waitcnt lgkmcnt(0)
	s_bitcmp1_b32 s3, 0
	s_cselect_b32 s2, -1, 0
	s_bitcmp1_b32 s3, 16
	s_cselect_b32 s14, -1, 0
	s_delay_alu instid0(SALU_CYCLE_1) | instskip(SKIP_2) | instid1(VALU_DEP_1)
	s_xor_b32 s14, s14, -1
	s_bitcmp0_b32 s3, 0
	v_cndmask_b32_e64 v1, 0, 1, s14
	v_cmp_ne_u32_e32 vcc_lo, 1, v1
	s_cbranch_scc1 .LBB136_5
; %bb.1:
	s_load_b64 s[34:35], s[0:1], 0x30
	s_and_b32 vcc_lo, exec_lo, vcc_lo
	s_waitcnt lgkmcnt(0)
	s_mov_b32 s48, s34
	s_cbranch_vccnz .LBB136_3
; %bb.2:
	s_load_b32 s48, s[34:35], 0x0
.LBB136_3:
	s_and_not1_b32 vcc_lo, exec_lo, s14
	s_cbranch_vccnz .LBB136_5
; %bb.4:
	s_load_b32 s35, s[34:35], 0x4
.LBB136_5:
	s_bitcmp1_b32 s3, 8
	s_mov_b32 s34, 0
	s_cselect_b32 s49, -1, 0
	s_bfe_u32 s3, s3, 0x10008
	s_mov_b32 s33, 0
	s_cmp_eq_u32 s3, 0
	s_cbranch_scc1 .LBB136_11
; %bb.6:
	v_cmp_ne_u32_e32 vcc_lo, 1, v1
	s_mov_b32 s33, s20
	s_cbranch_vccnz .LBB136_8
; %bb.7:
	s_load_b32 s33, s[20:21], 0x0
.LBB136_8:
	v_cmp_ne_u32_e32 vcc_lo, 1, v1
	s_cbranch_vccnz .LBB136_10
; %bb.9:
	s_load_b32 s21, s[20:21], 0x4
.LBB136_10:
	s_waitcnt lgkmcnt(0)
	s_mov_b32 s34, s21
.LBB136_11:
	s_clause 0x1
	s_load_b128 s[40:43], s[0:1], 0x8
	s_load_b64 s[20:21], s[0:1], 0x18
	v_lshrrev_b32_e32 v33, 6, v0
	v_and_b32_e32 v3, 63, v0
	s_mov_b32 s3, exec_lo
	s_delay_alu instid0(VALU_DEP_2) | instskip(NEXT) | instid1(VALU_DEP_2)
	v_lshl_or_b32 v32, v33, 7, 0x2000
	v_cmpx_gt_u32_e32 16, v3
	s_cbranch_execz .LBB136_13
; %bb.12:
	s_delay_alu instid0(VALU_DEP_2)
	v_lshl_add_u32 v4, v3, 3, v32
	s_waitcnt lgkmcnt(0)
	v_dual_mov_b32 v1, s42 :: v_dual_mov_b32 v2, s43
	ds_store_b64 v4, v[1:2]
.LBB136_13:
	s_or_b32 exec_lo, exec_lo, s3
	v_dual_mov_b32 v1, 0 :: v_dual_lshlrev_b32 v34, 11, v33
	v_or_b32_e32 v4, 0xffffffc0, v3
	s_mov_b32 s3, 0
	s_delay_alu instid0(VALU_DEP_2) | instskip(NEXT) | instid1(VALU_DEP_3)
	v_lshl_or_b32 v5, v3, 3, v34
	v_mov_b32_e32 v2, v1
.LBB136_14:                             ; =>This Inner Loop Header: Depth=1
	s_delay_alu instid0(VALU_DEP_3) | instskip(SKIP_4) | instid1(SALU_CYCLE_1)
	v_add_nc_u32_e32 v4, 64, v4
	ds_store_b64 v5, v[1:2]
	v_add_nc_u32_e32 v5, 0x200, v5
	v_cmp_lt_u32_e32 vcc_lo, 0xbf, v4
	s_or_b32 s3, vcc_lo, s3
	s_and_not1_b32 exec_lo, exec_lo, s3
	s_cbranch_execnz .LBB136_14
; %bb.15:
	s_or_b32 exec_lo, exec_lo, s3
	v_lshl_or_b32 v1, s15, 2, v33
	v_mov_b32_e32 v2, 0
	s_waitcnt lgkmcnt(0)
	s_barrier
	buffer_gl0_inv
	s_mov_b32 s3, exec_lo
	v_cmpx_gt_i64_e64 s[40:41], v[1:2]
	s_cbranch_execz .LBB136_69
; %bb.16:
	s_cmp_eq_u64 s[46:47], 0
	s_cbranch_scc1 .LBB136_18
; %bb.17:
	s_load_b64 s[14:15], s[44:45], 0x0
	v_lshlrev_b64 v[1:2], 3, v[1:2]
	s_waitcnt lgkmcnt(0)
	s_lshl_b64 s[14:15], s[14:15], 3
	s_delay_alu instid0(SALU_CYCLE_1) | instskip(SKIP_1) | instid1(VALU_DEP_1)
	s_add_u32 s3, s46, s14
	s_addc_u32 s14, s47, s15
	v_add_co_u32 v1, vcc_lo, s3, v1
	v_add_co_ci_u32_e32 v2, vcc_lo, s14, v2, vcc_lo
	global_load_b64 v[1:2], v[1:2], off
.LBB136_18:
	s_load_b32 s44, s[0:1], 0x0
	s_waitcnt vmcnt(0)
	v_lshlrev_b64 v[8:9], 3, v[1:2]
	v_lshrrev_b32_e32 v35, 4, v3
	v_and_b32_e32 v6, 3, v0
	v_bfe_u32 v4, v0, 2, 2
	s_and_not1_b32 vcc_lo, exec_lo, s2
	s_mul_i32 s40, s20, s21
	s_mul_hi_u32 s41, s20, s20
	s_mul_i32 s2, s20, s20
	s_cbranch_vccnz .LBB136_46
; %bb.19:
	v_add_co_u32 v0, vcc_lo, s24, v8
	v_add_co_ci_u32_e32 v1, vcc_lo, s25, v9, vcc_lo
	v_sub_co_u32 v5, s0, v35, s36
	s_delay_alu instid0(VALU_DEP_1)
	v_sub_co_ci_u32_e64 v7, null, 0, 0, s0
	global_load_b128 v[0:3], v[0:1], off
	s_mov_b32 s46, 0
	s_mov_b32 s45, exec_lo
	s_waitcnt vmcnt(0)
	v_sub_co_u32 v10, vcc_lo, v2, s36
	v_subrev_co_ci_u32_e32 v11, vcc_lo, 0, v3, vcc_lo
	v_add_co_u32 v12, vcc_lo, v0, v5
	v_add_co_ci_u32_e32 v13, vcc_lo, v1, v7, vcc_lo
	s_delay_alu instid0(VALU_DEP_1)
	v_cmpx_lt_i64_e64 v[12:13], v[10:11]
	s_cbranch_execz .LBB136_45
; %bb.20:
	s_waitcnt lgkmcnt(0)
	s_cmp_lg_u32 s44, 0
	v_mul_lo_u32 v16, s2, v13
	s_cselect_b32 s47, -1, 0
	s_add_i32 s0, s41, s40
	v_mad_u64_u32 v[0:1], null, s2, v12, 0
	s_add_i32 s3, s0, s40
	v_dual_mov_b32 v7, 0 :: v_dual_lshlrev_b32 v14, 3, v6
	v_mul_lo_u32 v15, s3, v12
	v_mul_lo_u32 v17, s21, v12
	;; [unrolled: 1-line block ×3, first 2 shown]
	v_mad_u64_u32 v[2:3], null, s20, v12, 0
	v_mov_b32_e32 v5, v7
	v_cmp_gt_i64_e32 vcc_lo, s[20:21], v[6:7]
	s_lshl_b64 s[14:15], s[2:3], 5
	v_add3_u32 v1, v1, v16, v15
	v_lshlrev_b32_e32 v15, 3, v4
	v_cmp_gt_u64_e64 s0, s[20:21], v[4:5]
	v_add3_u32 v3, v3, v18, v17
	v_lshlrev_b32_e32 v5, 5, v4
	v_lshlrev_b64 v[0:1], 3, v[0:1]
	s_lshl_b64 s[24:25], s[20:21], 3
	s_delay_alu instid0(VALU_DEP_3) | instskip(SKIP_2) | instid1(VALU_DEP_2)
	v_lshlrev_b64 v[2:3], 3, v[2:3]
	s_and_b32 s50, vcc_lo, s0
	s_add_u32 s18, s18, 4
	v_add_co_u32 v0, vcc_lo, v0, v15
	v_add_co_ci_u32_e32 v1, vcc_lo, 0, v1, vcc_lo
	s_delay_alu instid0(VALU_DEP_3) | instskip(SKIP_1) | instid1(VALU_DEP_4)
	v_add_co_u32 v2, vcc_lo, v2, v15
	v_add_co_ci_u32_e32 v3, vcc_lo, 0, v3, vcc_lo
	v_add_co_u32 v15, vcc_lo, v0, s28
	s_delay_alu instid0(VALU_DEP_4) | instskip(NEXT) | instid1(VALU_DEP_3)
	v_add_co_ci_u32_e32 v17, vcc_lo, s29, v1, vcc_lo
	v_mul_lo_u32 v3, s20, v3
	v_mul_lo_u32 v18, s21, v2
	v_mad_u64_u32 v[0:1], null, s20, v2, s[28:29]
	v_add_co_u32 v16, vcc_lo, v15, 4
	v_add_co_ci_u32_e32 v17, vcc_lo, 0, v17, vcc_lo
	s_addc_u32 s19, s19, 0
	v_add3_u32 v5, v34, v14, v5
	s_delay_alu instid0(VALU_DEP_4)
	v_add3_u32 v1, v18, v1, v3
	v_add_co_u32 v18, s0, s18, v14
	v_add_co_u32 v20, vcc_lo, v0, 4
	v_mov_b32_e32 v15, v7
	v_add_co_ci_u32_e64 v19, null, s19, 0, s0
	v_add_co_ci_u32_e32 v21, vcc_lo, 0, v1, vcc_lo
	s_lshl_b64 s[28:29], s[2:3], 3
	s_branch .LBB136_22
.LBB136_21:                             ;   in Loop: Header=BB136_22 Depth=1
	s_or_b32 exec_lo, exec_lo, s3
	v_add_co_u32 v12, vcc_lo, v12, 4
	v_add_co_ci_u32_e32 v13, vcc_lo, 0, v13, vcc_lo
	v_add_co_u32 v16, vcc_lo, v16, s14
	v_add_co_ci_u32_e32 v17, vcc_lo, s15, v17, vcc_lo
	s_delay_alu instid0(VALU_DEP_3) | instskip(SKIP_1) | instid1(VALU_DEP_1)
	v_cmp_ge_i64_e32 vcc_lo, v[12:13], v[10:11]
	v_add_co_u32 v20, s0, v20, s14
	v_add_co_ci_u32_e64 v21, s0, s15, v21, s0
	s_or_b32 s46, vcc_lo, s46
	s_delay_alu instid0(SALU_CYCLE_1)
	s_and_not1_b32 exec_lo, exec_lo, s46
	s_cbranch_execz .LBB136_45
.LBB136_22:                             ; =>This Loop Header: Depth=1
                                        ;     Child Loop BB136_25 Depth 2
                                        ;       Child Loop BB136_32 Depth 3
                                        ;       Child Loop BB136_28 Depth 3
	;; [unrolled: 1-line block ×3, first 2 shown]
	v_lshlrev_b64 v[0:1], 3, v[12:13]
	s_mov_b32 s3, exec_lo
	s_delay_alu instid0(VALU_DEP_1) | instskip(NEXT) | instid1(VALU_DEP_2)
	v_add_co_u32 v0, vcc_lo, s26, v0
	v_add_co_ci_u32_e32 v1, vcc_lo, s27, v1, vcc_lo
	global_load_b64 v[0:1], v[0:1], off
	s_waitcnt vmcnt(0)
	v_sub_co_u32 v0, vcc_lo, v0, s36
	v_subrev_co_ci_u32_e32 v1, vcc_lo, 0, v1, vcc_lo
	s_delay_alu instid0(VALU_DEP_1) | instskip(NEXT) | instid1(VALU_DEP_1)
	v_lshlrev_b64 v[0:1], 3, v[0:1]
	v_add_co_u32 v0, vcc_lo, s30, v0
	s_delay_alu instid0(VALU_DEP_2)
	v_add_co_ci_u32_e32 v1, vcc_lo, s31, v1, vcc_lo
	global_load_b128 v[0:3], v[0:1], off
	s_waitcnt vmcnt(0)
	v_cmpx_lt_i64_e64 v[0:1], v[2:3]
	s_cbranch_execz .LBB136_21
; %bb.23:                               ;   in Loop: Header=BB136_22 Depth=1
	v_sub_co_u32 v0, vcc_lo, v0, s37
	v_subrev_co_ci_u32_e32 v1, vcc_lo, 0, v1, vcc_lo
	v_sub_co_u32 v2, vcc_lo, v2, s37
	s_delay_alu instid0(VALU_DEP_3) | instskip(NEXT) | instid1(VALU_DEP_3)
	v_mul_lo_u32 v22, s25, v0
	v_mul_lo_u32 v7, s24, v1
	v_mad_u64_u32 v[24:25], null, s24, v0, v[14:15]
	v_mul_lo_u32 v26, s28, v1
	v_mul_lo_u32 v27, s29, v0
	v_subrev_co_ci_u32_e32 v3, vcc_lo, 0, v3, vcc_lo
	s_mov_b32 s51, 0
	s_delay_alu instid0(VALU_DEP_4) | instskip(SKIP_3) | instid1(VALU_DEP_4)
	v_add3_u32 v7, v22, v25, v7
	v_mul_lo_u32 v28, s21, v24
	v_mad_u64_u32 v[22:23], null, s20, v24, s[18:19]
	v_mad_u64_u32 v[24:25], null, s28, v0, v[18:19]
	v_mul_lo_u32 v7, s20, v7
	s_delay_alu instid0(VALU_DEP_2) | instskip(NEXT) | instid1(VALU_DEP_2)
	v_add3_u32 v25, v27, v25, v26
	v_add3_u32 v23, v28, v23, v7
	s_branch .LBB136_25
.LBB136_24:                             ;   in Loop: Header=BB136_25 Depth=2
	s_or_b32 exec_lo, exec_lo, s52
	v_add_co_u32 v0, vcc_lo, v0, 1
	v_add_co_ci_u32_e32 v1, vcc_lo, 0, v1, vcc_lo
	v_add_co_u32 v22, vcc_lo, v22, s28
	v_add_co_ci_u32_e32 v23, vcc_lo, s29, v23, vcc_lo
	s_delay_alu instid0(VALU_DEP_3) | instskip(SKIP_1) | instid1(VALU_DEP_1)
	v_cmp_ge_i64_e32 vcc_lo, v[0:1], v[2:3]
	v_add_co_u32 v24, s0, v24, s28
	v_add_co_ci_u32_e64 v25, s0, s29, v25, s0
	s_or_b32 s51, vcc_lo, s51
	s_delay_alu instid0(SALU_CYCLE_1)
	s_and_not1_b32 exec_lo, exec_lo, s51
	s_cbranch_execz .LBB136_21
.LBB136_25:                             ;   Parent Loop BB136_22 Depth=1
                                        ; =>  This Loop Header: Depth=2
                                        ;       Child Loop BB136_32 Depth 3
                                        ;       Child Loop BB136_28 Depth 3
	;; [unrolled: 1-line block ×3, first 2 shown]
	s_and_saveexec_b32 s52, s50
	s_cbranch_execz .LBB136_24
; %bb.26:                               ;   in Loop: Header=BB136_25 Depth=2
	v_lshlrev_b64 v[26:27], 3, v[0:1]
	s_delay_alu instid0(VALU_DEP_1) | instskip(NEXT) | instid1(VALU_DEP_2)
	v_add_co_u32 v26, vcc_lo, s16, v26
	v_add_co_ci_u32_e32 v27, vcc_lo, s17, v27, vcc_lo
	s_and_not1_b32 vcc_lo, exec_lo, s47
	global_load_b64 v[26:27], v[26:27], off
	s_cbranch_vccnz .LBB136_30
; %bb.27:                               ;   in Loop: Header=BB136_25 Depth=2
	v_mov_b32_e32 v29, v23
	v_dual_mov_b32 v31, v17 :: v_dual_mov_b32 v36, 0
	v_dual_mov_b32 v7, 0 :: v_dual_mov_b32 v28, v22
	v_mov_b32_e32 v30, v16
	s_mov_b64 s[0:1], s[20:21]
	.p2align	6
.LBB136_28:                             ;   Parent Loop BB136_22 Depth=1
                                        ;     Parent Loop BB136_25 Depth=2
                                        ; =>    This Inner Loop Header: Depth=3
	global_load_b64 v[37:38], v[30:31], off offset:-4
	global_load_b64 v[39:40], v[28:29], off offset:-4
	v_add_co_u32 v30, vcc_lo, v30, s24
	v_add_co_ci_u32_e32 v31, vcc_lo, s25, v31, vcc_lo
	v_add_co_u32 v28, vcc_lo, v28, 8
	v_add_co_ci_u32_e32 v29, vcc_lo, 0, v29, vcc_lo
	s_add_u32 s0, s0, -1
	s_addc_u32 s1, s1, -1
	s_delay_alu instid0(SALU_CYCLE_1) | instskip(SKIP_3) | instid1(VALU_DEP_2)
	s_cmp_lg_u64 s[0:1], 0
	s_waitcnt vmcnt(0)
	v_fmac_f32_e32 v7, v37, v39
	v_fmac_f32_e32 v36, v38, v39
	v_fma_f32 v7, -v38, v40, v7
	s_delay_alu instid0(VALU_DEP_2)
	v_fmac_f32_e32 v36, v37, v40
	s_cbranch_scc1 .LBB136_28
; %bb.29:                               ;   in Loop: Header=BB136_25 Depth=2
	s_branch .LBB136_33
.LBB136_30:                             ;   in Loop: Header=BB136_25 Depth=2
                                        ; implicit-def: $vgpr7
                                        ; implicit-def: $vgpr36
	s_cbranch_execz .LBB136_33
; %bb.31:                               ;   in Loop: Header=BB136_25 Depth=2
	v_mov_b32_e32 v29, v21
	v_dual_mov_b32 v31, v25 :: v_dual_mov_b32 v36, 0
	v_dual_mov_b32 v7, 0 :: v_dual_mov_b32 v28, v20
	v_mov_b32_e32 v30, v24
	s_mov_b64 s[0:1], s[20:21]
	.p2align	6
.LBB136_32:                             ;   Parent Loop BB136_22 Depth=1
                                        ;     Parent Loop BB136_25 Depth=2
                                        ; =>    This Inner Loop Header: Depth=3
	global_load_b64 v[37:38], v[28:29], off offset:-4
	global_load_b64 v[39:40], v[30:31], off offset:-4
	v_add_co_u32 v30, vcc_lo, v30, s24
	v_add_co_ci_u32_e32 v31, vcc_lo, s25, v31, vcc_lo
	v_add_co_u32 v28, vcc_lo, v28, 8
	v_add_co_ci_u32_e32 v29, vcc_lo, 0, v29, vcc_lo
	s_add_u32 s0, s0, -1
	s_addc_u32 s1, s1, -1
	s_delay_alu instid0(SALU_CYCLE_1) | instskip(SKIP_3) | instid1(VALU_DEP_2)
	s_cmp_eq_u64 s[0:1], 0
	s_waitcnt vmcnt(0)
	v_fmac_f32_e32 v7, v37, v39
	v_fmac_f32_e32 v36, v38, v39
	v_fma_f32 v7, -v38, v40, v7
	s_delay_alu instid0(VALU_DEP_2)
	v_fmac_f32_e32 v36, v37, v40
	s_cbranch_scc0 .LBB136_32
.LBB136_33:                             ;   in Loop: Header=BB136_25 Depth=2
	s_waitcnt vmcnt(0)
	v_sub_co_u32 v26, vcc_lo, v26, s37
	s_delay_alu instid0(VALU_DEP_2) | instskip(SKIP_2) | instid1(VALU_DEP_4)
	v_mul_f32_e64 v30, v36, -s35
	v_mul_f32_e32 v31, s48, v36
	v_subrev_co_ci_u32_e32 v27, vcc_lo, 0, v27, vcc_lo
	v_lshl_add_u32 v28, v26, 3, v26
	s_delay_alu instid0(VALU_DEP_4) | instskip(NEXT) | instid1(VALU_DEP_4)
	v_fmac_f32_e32 v30, s48, v7
	v_fmac_f32_e32 v31, s35, v7
	s_mov_b32 s0, 0
	s_delay_alu instid0(VALU_DEP_3)
	v_and_b32_e32 v7, 15, v28
	s_branch .LBB136_35
.LBB136_34:                             ;   in Loop: Header=BB136_35 Depth=3
	s_or_b32 exec_lo, exec_lo, s1
	s_xor_b32 s1, s53, -1
	s_delay_alu instid0(SALU_CYCLE_1) | instskip(NEXT) | instid1(SALU_CYCLE_1)
	s_and_b32 s1, exec_lo, s1
	s_or_b32 s0, s1, s0
	s_delay_alu instid0(SALU_CYCLE_1)
	s_and_not1_b32 exec_lo, exec_lo, s0
	s_cbranch_execz .LBB136_24
.LBB136_35:                             ;   Parent Loop BB136_22 Depth=1
                                        ;     Parent Loop BB136_25 Depth=2
                                        ; =>    This Inner Loop Header: Depth=3
	s_delay_alu instid0(VALU_DEP_1)
	v_lshl_add_u32 v36, v7, 3, v32
	s_mov_b32 s1, exec_lo
                                        ; implicit-def: $sgpr53
	ds_load_b64 v[28:29], v36
	s_waitcnt lgkmcnt(0)
	v_cmpx_ne_u64_e64 v[28:29], v[26:27]
	s_xor_b32 s1, exec_lo, s1
	s_cbranch_execz .LBB136_43
; %bb.36:                               ;   in Loop: Header=BB136_35 Depth=3
	s_mov_b32 s54, exec_lo
                                        ; implicit-def: $sgpr53
	v_cmpx_ne_u64_e64 s[42:43], v[28:29]
	s_xor_b32 s54, exec_lo, s54
; %bb.37:                               ;   in Loop: Header=BB136_35 Depth=3
	v_add_nc_u32_e32 v7, 1, v7
	s_mov_b32 s53, -1
                                        ; implicit-def: $vgpr36
	s_delay_alu instid0(VALU_DEP_1)
	v_and_b32_e32 v7, 15, v7
; %bb.38:                               ;   in Loop: Header=BB136_35 Depth=3
	s_and_not1_saveexec_b32 s54, s54
	s_cbranch_execz .LBB136_42
; %bb.39:                               ;   in Loop: Header=BB136_35 Depth=3
	v_dual_mov_b32 v28, s42 :: v_dual_mov_b32 v29, s43
	s_mov_b32 s55, -1
	s_mov_b32 s56, exec_lo
	ds_cmpstore_rtn_b64 v[28:29], v36, v[26:27], v[28:29]
	s_waitcnt lgkmcnt(0)
	v_cmpx_eq_u64_e64 s[42:43], v[28:29]
	s_cbranch_execz .LBB136_41
; %bb.40:                               ;   in Loop: Header=BB136_35 Depth=3
	v_lshl_add_u32 v28, v7, 7, v5
	s_xor_b32 s55, exec_lo, -1
	ds_add_f32 v28, v30
	ds_add_f32 v28, v31 offset:4
.LBB136_41:                             ;   in Loop: Header=BB136_35 Depth=3
	s_or_b32 exec_lo, exec_lo, s56
	s_delay_alu instid0(SALU_CYCLE_1) | instskip(SKIP_1) | instid1(SALU_CYCLE_1)
	s_and_not1_b32 s53, s53, exec_lo
	s_and_b32 s55, s55, exec_lo
	s_or_b32 s53, s53, s55
.LBB136_42:                             ;   in Loop: Header=BB136_35 Depth=3
	s_or_b32 exec_lo, exec_lo, s54
	s_delay_alu instid0(SALU_CYCLE_1)
	s_and_b32 s53, s53, exec_lo
.LBB136_43:                             ;   in Loop: Header=BB136_35 Depth=3
	s_and_not1_saveexec_b32 s1, s1
	s_cbranch_execz .LBB136_34
; %bb.44:                               ;   in Loop: Header=BB136_35 Depth=3
	v_lshl_add_u32 v28, v7, 7, v5
	s_and_not1_b32 s53, s53, exec_lo
	ds_add_f32 v28, v30
	ds_add_f32 v28, v31 offset:4
	s_branch .LBB136_34
.LBB136_45:
	s_or_b32 exec_lo, exec_lo, s45
.LBB136_46:
	s_delay_alu instid0(SALU_CYCLE_1)
	s_and_not1_b32 vcc_lo, exec_lo, s49
	s_waitcnt lgkmcnt(0)
	s_barrier
	buffer_gl0_inv
	s_cbranch_vccnz .LBB136_64
; %bb.47:
	v_add_co_u32 v0, vcc_lo, s22, v8
	v_add_co_ci_u32_e32 v1, vcc_lo, s23, v9, vcc_lo
	v_sub_co_u32 v2, s0, v35, s39
	s_delay_alu instid0(VALU_DEP_1)
	v_sub_co_ci_u32_e64 v3, null, 0, 0, s0
	global_load_b128 v[10:13], v[0:1], off
	s_mov_b32 s3, 0
	s_mov_b32 s14, exec_lo
	s_waitcnt vmcnt(0)
	v_sub_co_u32 v0, vcc_lo, v12, s39
	v_subrev_co_ci_u32_e32 v1, vcc_lo, 0, v13, vcc_lo
	v_add_co_u32 v2, vcc_lo, v10, v2
	v_add_co_ci_u32_e32 v3, vcc_lo, v11, v3, vcc_lo
	s_delay_alu instid0(VALU_DEP_1)
	v_cmpx_lt_i64_e64 v[2:3], v[0:1]
	s_cbranch_execz .LBB136_63
; %bb.48:
	v_mad_u64_u32 v[10:11], null, v6, s20, 0
	v_mad_u64_u32 v[12:13], null, v4, s20, 0
	v_lshlrev_b32_e32 v17, 5, v4
	s_cmp_eq_u32 s44, 0
	s_mov_b32 s15, s39
	s_cselect_b32 s1, -1, 0
	s_delay_alu instid0(VALU_DEP_3) | instskip(NEXT) | instid1(VALU_DEP_3)
	v_dual_mov_b32 v5, v11 :: v_dual_lshlrev_b32 v16, 3, v6
	v_mov_b32_e32 v7, v13
	s_delay_alu instid0(VALU_DEP_2) | instskip(NEXT) | instid1(VALU_DEP_2)
	v_mad_u64_u32 v[13:14], null, v6, s21, v[5:6]
	v_mad_u64_u32 v[14:15], null, v4, s21, v[7:8]
	v_mov_b32_e32 v7, 0
	s_delay_alu instid0(VALU_DEP_3) | instskip(NEXT) | instid1(VALU_DEP_2)
	v_mov_b32_e32 v11, v13
	v_mov_b32_e32 v5, v7
	s_delay_alu instid0(VALU_DEP_4) | instskip(SKIP_1) | instid1(VALU_DEP_4)
	v_mov_b32_e32 v13, v14
	v_cmp_gt_i64_e32 vcc_lo, s[20:21], v[6:7]
	v_lshlrev_b64 v[10:11], 3, v[10:11]
	s_delay_alu instid0(VALU_DEP_4) | instskip(NEXT) | instid1(VALU_DEP_4)
	v_lshlrev_b64 v[14:15], 3, v[4:5]
	v_lshlrev_b64 v[12:13], 3, v[12:13]
	s_delay_alu instid0(VALU_DEP_3) | instskip(NEXT) | instid1(VALU_DEP_1)
	v_add_co_u32 v7, s0, s6, v10
	v_add_co_ci_u32_e64 v10, s0, s7, v11, s0
	s_delay_alu instid0(VALU_DEP_3) | instskip(NEXT) | instid1(VALU_DEP_1)
	v_add_co_u32 v11, s0, s6, v12
	v_add_co_ci_u32_e64 v12, s0, s7, v13, s0
	s_delay_alu instid0(VALU_DEP_4) | instskip(NEXT) | instid1(VALU_DEP_1)
	v_add_co_u32 v13, s0, v7, v14
	v_add_co_ci_u32_e64 v10, s0, v10, v15, s0
	s_delay_alu instid0(VALU_DEP_4) | instskip(NEXT) | instid1(VALU_DEP_1)
	v_add_co_u32 v11, s0, v11, v16
	v_add_co_ci_u32_e64 v12, s0, 0, v12, s0
	v_cmp_gt_u64_e64 s0, s[20:21], v[4:5]
	v_add3_u32 v7, v34, v16, v17
	s_delay_alu instid0(VALU_DEP_4) | instskip(NEXT) | instid1(VALU_DEP_4)
	v_cndmask_b32_e64 v14, v13, v11, s1
	v_cndmask_b32_e64 v5, v10, v12, s1
	s_add_i32 s6, s41, s40
	s_delay_alu instid0(SALU_CYCLE_1)
	s_add_i32 s1, s6, s40
	s_and_b32 s0, vcc_lo, s0
	s_branch .LBB136_50
.LBB136_49:                             ;   in Loop: Header=BB136_50 Depth=1
	s_or_b32 exec_lo, exec_lo, s6
	v_add_co_u32 v2, vcc_lo, v2, 4
	v_add_co_ci_u32_e32 v3, vcc_lo, 0, v3, vcc_lo
	s_delay_alu instid0(VALU_DEP_1) | instskip(SKIP_1) | instid1(SALU_CYCLE_1)
	v_cmp_ge_i64_e32 vcc_lo, v[2:3], v[0:1]
	s_or_b32 s3, vcc_lo, s3
	s_and_not1_b32 exec_lo, exec_lo, s3
	s_cbranch_execz .LBB136_63
.LBB136_50:                             ; =>This Loop Header: Depth=1
                                        ;     Child Loop BB136_53 Depth 2
	s_and_saveexec_b32 s6, s0
	s_cbranch_execz .LBB136_49
; %bb.51:                               ;   in Loop: Header=BB136_50 Depth=1
	v_mul_lo_u32 v12, s1, v2
	v_mul_lo_u32 v13, s2, v3
	v_mad_u64_u32 v[10:11], null, s2, v2, 0
	s_mov_b32 s7, 0
	s_delay_alu instid0(VALU_DEP_1) | instskip(SKIP_1) | instid1(VALU_DEP_2)
	v_add3_u32 v11, v11, v13, v12
	v_lshlrev_b64 v[12:13], 3, v[2:3]
	v_lshlrev_b64 v[10:11], 3, v[10:11]
	s_delay_alu instid0(VALU_DEP_2) | instskip(NEXT) | instid1(VALU_DEP_3)
	v_add_co_u32 v12, vcc_lo, s4, v12
	v_add_co_ci_u32_e32 v13, vcc_lo, s5, v13, vcc_lo
	s_delay_alu instid0(VALU_DEP_3) | instskip(NEXT) | instid1(VALU_DEP_4)
	v_add_co_u32 v10, vcc_lo, v14, v10
	v_add_co_ci_u32_e32 v11, vcc_lo, v5, v11, vcc_lo
	global_load_b64 v[12:13], v[12:13], off
	global_load_b64 v[17:18], v[10:11], off
	s_waitcnt vmcnt(1)
	v_sub_co_u32 v10, vcc_lo, v12, s15
	s_waitcnt vmcnt(0)
	v_mul_f32_e64 v15, v18, -s34
	v_mul_f32_e32 v16, s33, v18
	v_subrev_co_ci_u32_e32 v11, vcc_lo, 0, v13, vcc_lo
	v_lshl_add_u32 v12, v10, 3, v10
	s_delay_alu instid0(VALU_DEP_4) | instskip(NEXT) | instid1(VALU_DEP_2)
	v_fmac_f32_e32 v15, s33, v17
	v_dual_fmac_f32 v16, s34, v17 :: v_dual_and_b32 v17, 15, v12
	s_branch .LBB136_53
.LBB136_52:                             ;   in Loop: Header=BB136_53 Depth=2
	s_or_b32 exec_lo, exec_lo, s16
	s_xor_b32 s16, s17, -1
	s_delay_alu instid0(SALU_CYCLE_1) | instskip(NEXT) | instid1(SALU_CYCLE_1)
	s_and_b32 s16, exec_lo, s16
	s_or_b32 s7, s16, s7
	s_delay_alu instid0(SALU_CYCLE_1)
	s_and_not1_b32 exec_lo, exec_lo, s7
	s_cbranch_execz .LBB136_49
.LBB136_53:                             ;   Parent Loop BB136_50 Depth=1
                                        ; =>  This Inner Loop Header: Depth=2
	s_delay_alu instid0(VALU_DEP_1)
	v_lshl_add_u32 v18, v17, 3, v32
	s_mov_b32 s16, exec_lo
                                        ; implicit-def: $sgpr17
	ds_load_b64 v[12:13], v18
	s_waitcnt lgkmcnt(0)
	v_cmpx_ne_u64_e64 v[12:13], v[10:11]
	s_xor_b32 s16, exec_lo, s16
	s_cbranch_execz .LBB136_61
; %bb.54:                               ;   in Loop: Header=BB136_53 Depth=2
	s_mov_b32 s18, exec_lo
                                        ; implicit-def: $sgpr17
	v_cmpx_ne_u64_e64 s[42:43], v[12:13]
	s_xor_b32 s18, exec_lo, s18
; %bb.55:                               ;   in Loop: Header=BB136_53 Depth=2
	v_add_nc_u32_e32 v12, 1, v17
	s_mov_b32 s17, -1
                                        ; implicit-def: $vgpr18
	s_delay_alu instid0(VALU_DEP_1)
	v_and_b32_e32 v17, 15, v12
; %bb.56:                               ;   in Loop: Header=BB136_53 Depth=2
	s_and_not1_saveexec_b32 s18, s18
	s_cbranch_execz .LBB136_60
; %bb.57:                               ;   in Loop: Header=BB136_53 Depth=2
	v_dual_mov_b32 v12, s42 :: v_dual_mov_b32 v13, s43
	s_mov_b32 s19, -1
	s_mov_b32 s22, exec_lo
	ds_cmpstore_rtn_b64 v[12:13], v18, v[10:11], v[12:13]
	s_waitcnt lgkmcnt(0)
	v_cmpx_eq_u64_e64 s[42:43], v[12:13]
	s_cbranch_execz .LBB136_59
; %bb.58:                               ;   in Loop: Header=BB136_53 Depth=2
	v_lshl_add_u32 v12, v17, 7, v7
	s_xor_b32 s19, exec_lo, -1
	ds_add_f32 v12, v15
	ds_add_f32 v12, v16 offset:4
.LBB136_59:                             ;   in Loop: Header=BB136_53 Depth=2
	s_or_b32 exec_lo, exec_lo, s22
	s_delay_alu instid0(SALU_CYCLE_1) | instskip(SKIP_1) | instid1(SALU_CYCLE_1)
	s_and_not1_b32 s17, s17, exec_lo
	s_and_b32 s19, s19, exec_lo
	s_or_b32 s17, s17, s19
.LBB136_60:                             ;   in Loop: Header=BB136_53 Depth=2
	s_or_b32 exec_lo, exec_lo, s18
	s_delay_alu instid0(SALU_CYCLE_1)
	s_and_b32 s17, s17, exec_lo
.LBB136_61:                             ;   in Loop: Header=BB136_53 Depth=2
	s_and_not1_saveexec_b32 s16, s16
	s_cbranch_execz .LBB136_52
; %bb.62:                               ;   in Loop: Header=BB136_53 Depth=2
	v_lshl_add_u32 v12, v17, 7, v7
	s_and_not1_b32 s17, s17, exec_lo
	ds_add_f32 v12, v15
	ds_add_f32 v12, v16 offset:4
	s_branch .LBB136_52
.LBB136_63:
	s_or_b32 exec_lo, exec_lo, s14
.LBB136_64:
	v_add_co_u32 v0, vcc_lo, s8, v8
	v_add_co_ci_u32_e32 v1, vcc_lo, s9, v9, vcc_lo
	s_waitcnt lgkmcnt(0)
	s_barrier
	buffer_gl0_inv
	global_load_b64 v[0:1], v[0:1], off
	v_mad_u64_u32 v[2:3], null, v4, s20, 0
	s_cmp_eq_u32 s44, 0
	v_lshlrev_b32_e32 v11, 3, v6
	s_cselect_b32 vcc_lo, -1, 0
	v_lshlrev_b32_e32 v13, 7, v33
	v_or_b32_e32 v8, -4, v35
	s_add_i32 s3, s41, s40
	s_delay_alu instid0(VALU_DEP_4) | instskip(SKIP_3) | instid1(VALU_DEP_2)
	v_mad_u64_u32 v[9:10], null, v4, s21, v[3:4]
	v_dual_cndmask_b32 v10, v6, v4 :: v_dual_cndmask_b32 v3, v4, v6
	v_dual_mov_b32 v7, 0 :: v_dual_lshlrev_b32 v14, 3, v35
	s_add_i32 s3, s3, s40
	v_dual_mov_b32 v3, v9 :: v_dual_lshlrev_b32 v12, 3, v3
	s_delay_alu instid0(VALU_DEP_2) | instskip(SKIP_1) | instid1(VALU_DEP_3)
	v_mov_b32_e32 v5, v7
	v_cmp_gt_i64_e32 vcc_lo, s[20:21], v[6:7]
	v_lshl_or_b32 v9, v35, 7, v12
	s_delay_alu instid0(VALU_DEP_4) | instskip(NEXT) | instid1(VALU_DEP_4)
	v_lshlrev_b64 v[2:3], 3, v[2:3]
	v_cmp_gt_u64_e64 s0, s[20:21], v[4:5]
	s_delay_alu instid0(VALU_DEP_3) | instskip(SKIP_1) | instid1(VALU_DEP_4)
	v_lshl_or_b32 v4, v10, 5, v9
	v_or3_b32 v10, v13, v14, 0x2000
	v_add_co_u32 v2, s1, s12, v2
	s_delay_alu instid0(VALU_DEP_1) | instskip(NEXT) | instid1(VALU_DEP_4)
	v_add_co_ci_u32_e64 v3, s1, s13, v3, s1
	v_add_nc_u32_e32 v4, v34, v4
	s_delay_alu instid0(VALU_DEP_3) | instskip(NEXT) | instid1(VALU_DEP_1)
	v_add_co_u32 v5, s1, v2, v11
	v_add_co_ci_u32_e64 v6, s1, 0, v3, s1
	s_and_b32 s0, vcc_lo, s0
	s_waitcnt vmcnt(0)
	v_sub_co_u32 v7, s1, v0, s38
	s_delay_alu instid0(VALU_DEP_1)
	v_subrev_co_ci_u32_e64 v9, s1, 0, v1, s1
	s_mov_b32 s1, 0
	s_branch .LBB136_66
.LBB136_65:                             ;   in Loop: Header=BB136_66 Depth=1
	s_or_b32 exec_lo, exec_lo, s4
	v_add_nc_u32_e32 v8, 4, v8
	v_add_nc_u32_e32 v4, 0x200, v4
	;; [unrolled: 1-line block ×3, first 2 shown]
	s_delay_alu instid0(VALU_DEP_3) | instskip(SKIP_1) | instid1(SALU_CYCLE_1)
	v_cmp_lt_u32_e32 vcc_lo, 11, v8
	s_or_b32 s1, vcc_lo, s1
	s_and_not1_b32 exec_lo, exec_lo, s1
	s_cbranch_execz .LBB136_69
.LBB136_66:                             ; =>This Inner Loop Header: Depth=1
	ds_load_b64 v[0:1], v10
	s_mov_b32 s4, exec_lo
	s_waitcnt lgkmcnt(0)
	v_cmpx_gt_i64_e64 s[42:43], v[0:1]
	s_cbranch_execz .LBB136_65
; %bb.67:                               ;   in Loop: Header=BB136_66 Depth=1
	ds_load_b128 v[11:14], v32
	ds_load_b128 v[15:18], v32 offset:16
	ds_load_b128 v[19:22], v32 offset:32
	;; [unrolled: 1-line block ×7, first 2 shown]
	s_waitcnt lgkmcnt(7)
	v_cmp_gt_i64_e32 vcc_lo, v[0:1], v[11:12]
	v_cndmask_b32_e64 v2, 0, 1, vcc_lo
	v_cmp_gt_i64_e32 vcc_lo, v[0:1], v[13:14]
	v_cndmask_b32_e64 v3, 0, 1, vcc_lo
	s_delay_alu instid0(VALU_DEP_3)
	v_add_co_u32 v2, vcc_lo, v7, v2
	v_add_co_ci_u32_e32 v11, vcc_lo, 0, v9, vcc_lo
	s_waitcnt lgkmcnt(6)
	v_cmp_gt_i64_e32 vcc_lo, v[0:1], v[15:16]
	v_cndmask_b32_e64 v12, 0, 1, vcc_lo
	v_add_co_u32 v2, vcc_lo, v2, v3
	v_add_co_ci_u32_e32 v3, vcc_lo, 0, v11, vcc_lo
	v_cmp_gt_i64_e32 vcc_lo, v[0:1], v[17:18]
	v_cndmask_b32_e64 v11, 0, 1, vcc_lo
	s_delay_alu instid0(VALU_DEP_4) | instskip(NEXT) | instid1(VALU_DEP_4)
	v_add_co_u32 v2, vcc_lo, v2, v12
	v_add_co_ci_u32_e32 v3, vcc_lo, 0, v3, vcc_lo
	s_waitcnt lgkmcnt(5)
	v_cmp_gt_i64_e32 vcc_lo, v[0:1], v[19:20]
	v_cndmask_b32_e64 v12, 0, 1, vcc_lo
	v_add_co_u32 v2, vcc_lo, v2, v11
	v_add_co_ci_u32_e32 v3, vcc_lo, 0, v3, vcc_lo
	v_cmp_gt_i64_e32 vcc_lo, v[0:1], v[21:22]
	v_cndmask_b32_e64 v11, 0, 1, vcc_lo
	s_delay_alu instid0(VALU_DEP_4) | instskip(NEXT) | instid1(VALU_DEP_4)
	;; [unrolled: 10-line block ×7, first 2 shown]
	v_add_co_u32 v2, vcc_lo, v2, v12
	v_add_co_ci_u32_e32 v3, vcc_lo, 0, v3, vcc_lo
	s_delay_alu instid0(VALU_DEP_2) | instskip(NEXT) | instid1(VALU_DEP_2)
	v_add_co_u32 v2, vcc_lo, v2, v11
	v_add_co_ci_u32_e32 v3, vcc_lo, 0, v3, vcc_lo
	v_add_co_u32 v0, vcc_lo, v0, s38
	v_add_co_ci_u32_e32 v1, vcc_lo, 0, v1, vcc_lo
	s_delay_alu instid0(VALU_DEP_3) | instskip(NEXT) | instid1(VALU_DEP_1)
	v_lshlrev_b64 v[11:12], 3, v[2:3]
	v_add_co_u32 v11, vcc_lo, s10, v11
	s_delay_alu instid0(VALU_DEP_2)
	v_add_co_ci_u32_e32 v12, vcc_lo, s11, v12, vcc_lo
	global_store_b64 v[11:12], v[0:1], off
	s_and_b32 exec_lo, exec_lo, s0
	s_cbranch_execz .LBB136_65
; %bb.68:                               ;   in Loop: Header=BB136_66 Depth=1
	v_mul_lo_u32 v11, s3, v2
	v_mul_lo_u32 v12, s2, v3
	v_mad_u64_u32 v[0:1], null, s2, v2, 0
	ds_load_b64 v[2:3], v4
	v_add3_u32 v1, v1, v12, v11
	s_delay_alu instid0(VALU_DEP_1) | instskip(NEXT) | instid1(VALU_DEP_1)
	v_lshlrev_b64 v[0:1], 3, v[0:1]
	v_add_co_u32 v0, vcc_lo, v5, v0
	s_delay_alu instid0(VALU_DEP_2)
	v_add_co_ci_u32_e32 v1, vcc_lo, v6, v1, vcc_lo
	s_waitcnt lgkmcnt(0)
	global_store_b64 v[0:1], v[2:3], off
	s_branch .LBB136_65
.LBB136_69:
	s_nop 0
	s_sendmsg sendmsg(MSG_DEALLOC_VGPRS)
	s_endpgm
	.section	.rodata,"a",@progbits
	.p2align	6, 0x0
	.amdhsa_kernel _ZN9rocsparseL23bsrgemm_fill_wf_per_rowILj256ELj64ELj16ELj137ELj4Ell21rocsparse_complex_numIfEEEv20rocsparse_direction_T5_S4_S4_PKS4_S6_NS_24const_host_device_scalarIT6_EEPKT4_S6_PKS8_SC_S6_SE_S9_SC_S6_SE_SC_PS4_PS8_21rocsparse_index_base_SH_SH_SH_bbb
		.amdhsa_group_segment_fixed_size 8704
		.amdhsa_private_segment_fixed_size 0
		.amdhsa_kernarg_size 180
		.amdhsa_user_sgpr_count 15
		.amdhsa_user_sgpr_dispatch_ptr 0
		.amdhsa_user_sgpr_queue_ptr 0
		.amdhsa_user_sgpr_kernarg_segment_ptr 1
		.amdhsa_user_sgpr_dispatch_id 0
		.amdhsa_user_sgpr_private_segment_size 0
		.amdhsa_wavefront_size32 1
		.amdhsa_uses_dynamic_stack 0
		.amdhsa_enable_private_segment 0
		.amdhsa_system_sgpr_workgroup_id_x 1
		.amdhsa_system_sgpr_workgroup_id_y 0
		.amdhsa_system_sgpr_workgroup_id_z 0
		.amdhsa_system_sgpr_workgroup_info 0
		.amdhsa_system_vgpr_workitem_id 0
		.amdhsa_next_free_vgpr 45
		.amdhsa_next_free_sgpr 57
		.amdhsa_reserve_vcc 1
		.amdhsa_float_round_mode_32 0
		.amdhsa_float_round_mode_16_64 0
		.amdhsa_float_denorm_mode_32 3
		.amdhsa_float_denorm_mode_16_64 3
		.amdhsa_dx10_clamp 1
		.amdhsa_ieee_mode 1
		.amdhsa_fp16_overflow 0
		.amdhsa_workgroup_processor_mode 1
		.amdhsa_memory_ordered 1
		.amdhsa_forward_progress 0
		.amdhsa_shared_vgpr_count 0
		.amdhsa_exception_fp_ieee_invalid_op 0
		.amdhsa_exception_fp_denorm_src 0
		.amdhsa_exception_fp_ieee_div_zero 0
		.amdhsa_exception_fp_ieee_overflow 0
		.amdhsa_exception_fp_ieee_underflow 0
		.amdhsa_exception_fp_ieee_inexact 0
		.amdhsa_exception_int_div_zero 0
	.end_amdhsa_kernel
	.section	.text._ZN9rocsparseL23bsrgemm_fill_wf_per_rowILj256ELj64ELj16ELj137ELj4Ell21rocsparse_complex_numIfEEEv20rocsparse_direction_T5_S4_S4_PKS4_S6_NS_24const_host_device_scalarIT6_EEPKT4_S6_PKS8_SC_S6_SE_S9_SC_S6_SE_SC_PS4_PS8_21rocsparse_index_base_SH_SH_SH_bbb,"axG",@progbits,_ZN9rocsparseL23bsrgemm_fill_wf_per_rowILj256ELj64ELj16ELj137ELj4Ell21rocsparse_complex_numIfEEEv20rocsparse_direction_T5_S4_S4_PKS4_S6_NS_24const_host_device_scalarIT6_EEPKT4_S6_PKS8_SC_S6_SE_S9_SC_S6_SE_SC_PS4_PS8_21rocsparse_index_base_SH_SH_SH_bbb,comdat
.Lfunc_end136:
	.size	_ZN9rocsparseL23bsrgemm_fill_wf_per_rowILj256ELj64ELj16ELj137ELj4Ell21rocsparse_complex_numIfEEEv20rocsparse_direction_T5_S4_S4_PKS4_S6_NS_24const_host_device_scalarIT6_EEPKT4_S6_PKS8_SC_S6_SE_S9_SC_S6_SE_SC_PS4_PS8_21rocsparse_index_base_SH_SH_SH_bbb, .Lfunc_end136-_ZN9rocsparseL23bsrgemm_fill_wf_per_rowILj256ELj64ELj16ELj137ELj4Ell21rocsparse_complex_numIfEEEv20rocsparse_direction_T5_S4_S4_PKS4_S6_NS_24const_host_device_scalarIT6_EEPKT4_S6_PKS8_SC_S6_SE_S9_SC_S6_SE_SC_PS4_PS8_21rocsparse_index_base_SH_SH_SH_bbb
                                        ; -- End function
	.section	.AMDGPU.csdata,"",@progbits
; Kernel info:
; codeLenInByte = 3800
; NumSgprs: 59
; NumVgprs: 45
; ScratchSize: 0
; MemoryBound: 0
; FloatMode: 240
; IeeeMode: 1
; LDSByteSize: 8704 bytes/workgroup (compile time only)
; SGPRBlocks: 7
; VGPRBlocks: 5
; NumSGPRsForWavesPerEU: 59
; NumVGPRsForWavesPerEU: 45
; Occupancy: 16
; WaveLimiterHint : 1
; COMPUTE_PGM_RSRC2:SCRATCH_EN: 0
; COMPUTE_PGM_RSRC2:USER_SGPR: 15
; COMPUTE_PGM_RSRC2:TRAP_HANDLER: 0
; COMPUTE_PGM_RSRC2:TGID_X_EN: 1
; COMPUTE_PGM_RSRC2:TGID_Y_EN: 0
; COMPUTE_PGM_RSRC2:TGID_Z_EN: 0
; COMPUTE_PGM_RSRC2:TIDIG_COMP_CNT: 0
	.section	.text._ZN9rocsparseL38bsrgemm_block_per_row_atomic_multipassILj256ELj32ELj4Ell21rocsparse_complex_numIfEEEv20rocsparse_direction_T3_S4_PKS4_S6_NS_24const_host_device_scalarIT4_EEPKT2_S6_PKS8_SC_S6_SE_S9_SC_S6_SE_SC_PS4_PS8_PSA_21rocsparse_index_base_SI_SI_SI_bbb,"axG",@progbits,_ZN9rocsparseL38bsrgemm_block_per_row_atomic_multipassILj256ELj32ELj4Ell21rocsparse_complex_numIfEEEv20rocsparse_direction_T3_S4_PKS4_S6_NS_24const_host_device_scalarIT4_EEPKT2_S6_PKS8_SC_S6_SE_S9_SC_S6_SE_SC_PS4_PS8_PSA_21rocsparse_index_base_SI_SI_SI_bbb,comdat
	.globl	_ZN9rocsparseL38bsrgemm_block_per_row_atomic_multipassILj256ELj32ELj4Ell21rocsparse_complex_numIfEEEv20rocsparse_direction_T3_S4_PKS4_S6_NS_24const_host_device_scalarIT4_EEPKT2_S6_PKS8_SC_S6_SE_S9_SC_S6_SE_SC_PS4_PS8_PSA_21rocsparse_index_base_SI_SI_SI_bbb ; -- Begin function _ZN9rocsparseL38bsrgemm_block_per_row_atomic_multipassILj256ELj32ELj4Ell21rocsparse_complex_numIfEEEv20rocsparse_direction_T3_S4_PKS4_S6_NS_24const_host_device_scalarIT4_EEPKT2_S6_PKS8_SC_S6_SE_S9_SC_S6_SE_SC_PS4_PS8_PSA_21rocsparse_index_base_SI_SI_SI_bbb
	.p2align	8
	.type	_ZN9rocsparseL38bsrgemm_block_per_row_atomic_multipassILj256ELj32ELj4Ell21rocsparse_complex_numIfEEEv20rocsparse_direction_T3_S4_PKS4_S6_NS_24const_host_device_scalarIT4_EEPKT2_S6_PKS8_SC_S6_SE_S9_SC_S6_SE_SC_PS4_PS8_PSA_21rocsparse_index_base_SI_SI_SI_bbb,@function
_ZN9rocsparseL38bsrgemm_block_per_row_atomic_multipassILj256ELj32ELj4Ell21rocsparse_complex_numIfEEEv20rocsparse_direction_T3_S4_PKS4_S6_NS_24const_host_device_scalarIT4_EEPKT2_S6_PKS8_SC_S6_SE_S9_SC_S6_SE_SC_PS4_PS8_PSA_21rocsparse_index_base_SI_SI_SI_bbb: ; @_ZN9rocsparseL38bsrgemm_block_per_row_atomic_multipassILj256ELj32ELj4Ell21rocsparse_complex_numIfEEEv20rocsparse_direction_T3_S4_PKS4_S6_NS_24const_host_device_scalarIT4_EEPKT2_S6_PKS8_SC_S6_SE_S9_SC_S6_SE_SC_PS4_PS8_PSA_21rocsparse_index_base_SI_SI_SI_bbb
; %bb.0:
	s_mov_b32 s2, s15
	s_clause 0x5
	s_load_b32 s9, s[0:1], 0xb0
	s_load_b256 s[12:19], s[0:1], 0x90
	s_load_b256 s[20:27], s[0:1], 0x70
	;; [unrolled: 1-line block ×3, first 2 shown]
	s_load_b128 s[4:7], s[0:1], 0x18
	s_load_b256 s[44:51], s[0:1], 0x30
	s_mov_b32 s35, 0
	s_mov_b32 s33, 0
	s_waitcnt lgkmcnt(0)
	s_bitcmp1_b32 s9, 0
	s_cselect_b32 s8, -1, 0
	s_bitcmp1_b32 s9, 16
	s_cselect_b32 s3, -1, 0
	s_delay_alu instid0(SALU_CYCLE_1)
	s_xor_b32 s3, s3, -1
	s_bitcmp0_b32 s9, 0
	s_cbranch_scc1 .LBB137_5
; %bb.1:
	s_load_b64 s[34:35], s[0:1], 0x28
	s_and_not1_b32 vcc_lo, exec_lo, s3
	s_waitcnt lgkmcnt(0)
	s_mov_b32 s33, s34
	s_cbranch_vccnz .LBB137_3
; %bb.2:
	s_load_b32 s33, s[34:35], 0x0
.LBB137_3:
	s_and_not1_b32 vcc_lo, exec_lo, s3
	s_cbranch_vccnz .LBB137_5
; %bb.4:
	s_load_b32 s35, s[34:35], 0x4
.LBB137_5:
	s_bitcmp1_b32 s9, 8
	s_mov_b32 s55, 0
	s_cselect_b32 s34, -1, 0
	s_bfe_u32 s9, s9, 0x10008
	s_mov_b32 s54, 0
	s_cmp_eq_u32 s9, 0
	s_cbranch_scc1 .LBB137_11
; %bb.6:
	v_cndmask_b32_e64 v1, 0, 1, s3
	s_and_not1_b32 vcc_lo, exec_lo, s3
	s_mov_b32 s54, s40
	s_cbranch_vccnz .LBB137_8
; %bb.7:
	s_load_b32 s54, s[40:41], 0x0
.LBB137_8:
	s_delay_alu instid0(VALU_DEP_1)
	v_cmp_ne_u32_e32 vcc_lo, 1, v1
	s_cbranch_vccnz .LBB137_10
; %bb.9:
	s_load_b32 s41, s[40:41], 0x4
.LBB137_10:
	s_waitcnt lgkmcnt(0)
	s_mov_b32 s55, s41
.LBB137_11:
	s_mov_b64 s[40:41], 0
	s_cmp_eq_u64 s[6:7], 0
	s_mov_b32 s3, 0
	s_cbranch_scc1 .LBB137_13
; %bb.12:
	s_load_b64 s[4:5], s[4:5], 0x0
	s_waitcnt lgkmcnt(0)
	s_lshl_b64 s[4:5], s[4:5], 3
	s_delay_alu instid0(SALU_CYCLE_1) | instskip(SKIP_2) | instid1(SALU_CYCLE_1)
	s_add_u32 s4, s6, s4
	s_addc_u32 s5, s7, s5
	s_lshl_b64 s[2:3], s[2:3], 3
	s_add_u32 s2, s4, s2
	s_addc_u32 s3, s5, s3
	s_load_b64 s[2:3], s[2:3], 0x0
.LBB137_13:
	s_and_not1_b32 vcc_lo, exec_lo, s8
	s_cbranch_vccz .LBB137_16
; %bb.14:
	s_and_not1_b32 vcc_lo, exec_lo, s8
	s_mov_b64 s[52:53], 0
	s_cbranch_vccz .LBB137_17
.LBB137_15:
	s_load_b128 s[28:31], s[0:1], 0x8
	s_waitcnt lgkmcnt(0)
	v_cmp_lt_i64_e64 s4, s[28:29], 1
	s_delay_alu instid0(VALU_DEP_1)
	s_and_b32 vcc_lo, exec_lo, s4
	s_cbranch_vccz .LBB137_18
	s_branch .LBB137_100
.LBB137_16:
	s_waitcnt lgkmcnt(0)
	s_lshl_b64 s[4:5], s[2:3], 3
	s_delay_alu instid0(SALU_CYCLE_1)
	s_add_u32 s4, s44, s4
	s_addc_u32 s5, s45, s5
	s_load_b64 s[4:5], s[4:5], 0x0
	s_waitcnt lgkmcnt(0)
	s_sub_u32 s40, s4, s16
	s_subb_u32 s41, s5, 0
	s_and_not1_b32 vcc_lo, exec_lo, s8
	s_mov_b64 s[52:53], 0
	s_cbranch_vccnz .LBB137_15
.LBB137_17:
	s_waitcnt lgkmcnt(0)
	s_lshl_b64 s[4:5], s[2:3], 3
	s_delay_alu instid0(SALU_CYCLE_1)
	s_add_u32 s4, s44, s4
	s_addc_u32 s5, s45, s5
	s_load_b64 s[4:5], s[4:5], 0x8
	s_waitcnt lgkmcnt(0)
	s_sub_u32 s52, s4, s16
	s_subb_u32 s53, s5, 0
	s_load_b128 s[28:31], s[0:1], 0x8
	s_waitcnt lgkmcnt(0)
	v_cmp_lt_i64_e64 s4, s[28:29], 1
	s_delay_alu instid0(VALU_DEP_1)
	s_and_b32 vcc_lo, exec_lo, s4
	s_cbranch_vccnz .LBB137_100
.LBB137_18:
	v_bfe_u32 v9, v0, 2, 2
	s_lshl_b64 s[6:7], s[2:3], 3
	v_mov_b32_e32 v5, 0
	v_and_b32_e32 v3, 3, v0
	s_add_u32 s2, s24, s6
	v_mad_u64_u32 v[6:7], null, v9, s30, 0
	s_delay_alu instid0(VALU_DEP_3) | instskip(SKIP_4) | instid1(VALU_DEP_4)
	v_mov_b32_e32 v2, v5
	s_addc_u32 s3, s25, s7
	v_and_b32_e32 v17, 15, v0
	s_load_b64 s[4:5], s[2:3], 0x0
	v_mad_u64_u32 v[11:12], null, v3, s30, 0
	v_mov_b32_e32 v4, v7
	s_mul_i32 s3, s30, s31
	v_and_b32_e32 v20, 31, v0
	s_load_b32 s24, s[0:1], 0x0
	v_lshrrev_b32_e32 v1, 4, v0
	v_mad_u64_u32 v[7:8], null, v9, s31, v[4:5]
	v_mov_b32_e32 v8, v12
	v_dual_mov_b32 v10, v5 :: v_dual_lshlrev_b32 v35, 3, v0
	v_mov_b32_e32 v4, v5
	v_cmp_lt_i64_e64 s25, s[40:41], s[52:53]
	s_mov_b32 s58, s19
	v_lshlrev_b64 v[13:14], 3, v[6:7]
	v_mad_u64_u32 v[6:7], null, v3, s31, v[8:9]
	v_lshlrev_b32_e32 v7, 3, v3
	s_waitcnt lgkmcnt(0)
	s_sub_u32 s10, s4, s18
	s_mul_hi_u32 s4, s30, s30
	s_subb_u32 s11, s5, 0
	s_add_i32 s4, s4, s3
	s_delay_alu instid0(VALU_DEP_2) | instskip(SKIP_2) | instid1(VALU_DEP_1)
	v_dual_mov_b32 v12, v6 :: v_dual_lshlrev_b32 v21, 2, v20
	s_add_i32 s45, s4, s3
	v_add_co_u32 v15, s3, s48, v13
	v_add_co_ci_u32_e64 v16, s3, s49, v14, s3
	v_cmp_gt_i64_e64 s4, s[30:31], v[3:4]
	v_cmp_gt_i64_e64 s3, s[30:31], v[9:10]
	v_lshlrev_b64 v[11:12], 3, v[11:12]
	v_add_co_u32 v4, s5, v15, v7
	s_delay_alu instid0(VALU_DEP_1) | instskip(NEXT) | instid1(VALU_DEP_4)
	v_add_co_ci_u32_e64 v37, s5, 0, v16, s5
	s_and_b32 s56, s4, s3
	s_delay_alu instid0(VALU_DEP_3) | instskip(SKIP_4) | instid1(VALU_DEP_1)
	v_add_co_u32 v6, s3, s22, v11
	v_lshlrev_b64 v[15:16], 3, v[9:10]
	v_add_co_ci_u32_e64 v18, s3, s23, v12, s3
	v_cmp_gt_u64_e32 vcc_lo, s[30:31], v[9:10]
	v_add_co_u32 v10, s3, s22, v13
	v_add_co_ci_u32_e64 v19, s3, s23, v14, s3
	v_add_co_u32 v11, s5, s12, v11
	v_add_co_u32 v6, s3, v6, v15
	v_add_co_ci_u32_e64 v12, s5, s13, v12, s5
	v_add_co_ci_u32_e64 v18, s3, v18, v16, s3
	v_add_co_u32 v13, s5, s12, v13
	v_add_co_u32 v10, s3, v10, v7
	s_cmp_eq_u32 s24, 0
	v_add_co_ci_u32_e64 v14, s5, s13, v14, s5
	v_add_co_ci_u32_e64 v19, s3, 0, v19, s3
	v_add_co_u32 v11, s5, v11, v15
	s_cselect_b32 s9, -1, 0
	v_add_co_ci_u32_e64 v12, s5, v12, v16, s5
	s_cmp_lg_u32 s24, 0
	v_add_co_u32 v13, s5, v13, v7
	v_cndmask_b32_e64 v6, v6, v10, s9
	v_lshlrev_b32_e32 v9, 3, v9
	s_cselect_b32 s57, -1, 0
	s_add_u32 s22, s42, s6
	v_sub_co_u32 v39, s3, v1, s19
	v_add_co_ci_u32_e64 v14, s5, 0, v14, s5
	v_cndmask_b32_e64 v15, v18, v19, s9
	s_addc_u32 s23, s43, s7
	s_and_b32 s19, s8, s25
	s_and_b32 s60, s4, vcc_lo
	v_and_b32_e32 v38, 12, v0
	v_sub_co_ci_u32_e64 v40, null, 0, 0, s3
	v_cmp_eq_u32_e64 s3, 15, v17
	v_mov_b32_e32 v17, 32
	s_add_u32 s61, s50, 8
	v_cndmask_b32_e64 v49, v11, v13, s9
	s_addc_u32 s62, s51, 0
	v_add_co_u32 v11, vcc_lo, v6, 4
	v_mov_b32_e32 v18, 0
	v_lshl_or_b32 v9, v1, 7, v9
	s_add_u32 s63, s26, -8
	v_cndmask_b32_e64 v48, v12, v14, s9
	s_addc_u32 s64, s27, -1
	v_add_co_ci_u32_e32 v12, vcc_lo, 0, v15, vcc_lo
	v_mov_b32_e32 v15, 0
	v_add_co_u32 v22, s59, v20, -1
	s_add_u32 s12, s38, 4
	s_addc_u32 s13, s39, 0
	v_add_nc_u32_e32 v50, 0x1000, v9
	s_movk_i32 s9, 0x7e0
	v_add_co_u32 v9, s24, s12, v7
	v_add_co_u32 v52, vcc_lo, v39, 16
	v_mov_b32_e32 v14, s11
	v_cmp_gt_u32_e64 s0, 32, v0
	v_cmp_gt_u32_e64 s1, 0x200, v0
	v_cmp_eq_u32_e64 s2, 0, v0
	v_or_b32_e32 v36, 0x1000, v35
	v_dual_mov_b32 v8, v5 :: v_dual_add_nc_u32 v45, 0x17f0, v21
	v_or_b32_e32 v41, 0x1800, v21
	v_lshl_add_u32 v42, v22, 2, 0x1800
	v_lshl_or_b32 v43, v0, 2, 0x1800
	v_cmp_ne_u32_e64 s4, 0, v20
	v_cmp_lt_u32_e64 s5, 1, v20
	v_dual_mov_b32 v13, s10 :: v_dual_add_nc_u32 v44, 0x17f8, v21
	v_cmp_lt_u32_e64 s6, 3, v20
	v_cmp_lt_u32_e64 s7, 7, v20
	v_dual_mov_b32 v55, 1 :: v_dual_add_nc_u32 v46, 0x17e0, v21
	v_cmp_lt_u32_e64 s8, 15, v20
	v_dual_mov_b32 v16, 0 :: v_dual_add_nc_u32 v47, 0x17c0, v21
	v_or_b32_e32 v0, 0xffffff00, v0
	v_add_co_ci_u32_e64 v10, null, s13, 0, s24
	v_and_or_b32 v51, v35, s9, 0x1000
	v_add_co_ci_u32_e32 v53, vcc_lo, 0, v40, vcc_lo
	v_lshl_or_b32 v54, v1, 2, 0x1800
	s_mul_i32 s44, s30, s30
	s_lshl_b64 s[38:39], s[30:31], 3
	s_lshl_b64 s[42:43], s[44:45], 3
	;; [unrolled: 1-line block ×3, first 2 shown]
	s_branch .LBB137_20
.LBB137_19:                             ;   in Loop: Header=BB137_20 Depth=1
	s_or_b32 exec_lo, exec_lo, s9
	s_waitcnt_vscnt null, 0x0
	s_barrier
	buffer_gl0_inv
	ds_load_b64 v[15:16], v5 offset:6272
	v_ashrrev_i32_e32 v17, 31, v6
	v_add_co_u32 v13, vcc_lo, v13, v6
	s_waitcnt lgkmcnt(0)
	s_barrier
	s_delay_alu instid0(VALU_DEP_2) | instskip(SKIP_3) | instid1(VALU_DEP_1)
	v_add_co_ci_u32_e32 v14, vcc_lo, v14, v17, vcc_lo
	buffer_gl0_inv
	v_cmp_le_i64_e32 vcc_lo, s[28:29], v[15:16]
	v_add_co_u32 v17, s9, v15, 32
	v_add_co_ci_u32_e64 v18, s9, 0, v16, s9
	s_cbranch_vccnz .LBB137_100
.LBB137_20:                             ; =>This Loop Header: Depth=1
                                        ;     Child Loop BB137_24 Depth 2
                                        ;     Child Loop BB137_30 Depth 2
                                        ;       Child Loop BB137_46 Depth 3
                                        ;         Child Loop BB137_58 Depth 4
                                        ;         Child Loop BB137_54 Depth 4
                                        ;     Child Loop BB137_68 Depth 2
                                        ;     Child Loop BB137_77 Depth 2
	;; [unrolled: 1-line block ×3, first 2 shown]
	s_and_saveexec_b32 s9, s0
	s_cbranch_execz .LBB137_22
; %bb.21:                               ;   in Loop: Header=BB137_20 Depth=1
	ds_store_b32 v43, v5
.LBB137_22:                             ;   in Loop: Header=BB137_20 Depth=1
	s_or_b32 exec_lo, exec_lo, s9
	s_and_saveexec_b32 s9, s1
	s_cbranch_execz .LBB137_25
; %bb.23:                               ;   in Loop: Header=BB137_20 Depth=1
	v_dual_mov_b32 v19, v35 :: v_dual_mov_b32 v20, v0
	s_mov_b32 s10, 0
.LBB137_24:                             ;   Parent Loop BB137_20 Depth=1
                                        ; =>  This Inner Loop Header: Depth=2
	v_mov_b32_e32 v6, v5
	s_delay_alu instid0(VALU_DEP_2) | instskip(NEXT) | instid1(VALU_DEP_1)
	v_add_co_u32 v20, s11, 0x100, v20
	s_xor_b32 s11, s11, -1
	s_delay_alu instid0(SALU_CYCLE_1) | instskip(SKIP_3) | instid1(SALU_CYCLE_1)
	s_and_b32 s11, exec_lo, s11
	ds_store_b64 v19, v[5:6]
	v_add_nc_u32_e32 v19, 0x800, v19
	s_or_b32 s10, s11, s10
	s_and_not1_b32 exec_lo, exec_lo, s10
	s_cbranch_execnz .LBB137_24
.LBB137_25:                             ;   in Loop: Header=BB137_20 Depth=1
	s_or_b32 exec_lo, exec_lo, s9
	s_and_saveexec_b32 s9, s2
	s_cbranch_execz .LBB137_27
; %bb.26:                               ;   in Loop: Header=BB137_20 Depth=1
	v_dual_mov_b32 v19, s28 :: v_dual_mov_b32 v20, s29
	ds_store_b64 v5, v[19:20] offset:6272
.LBB137_27:                             ;   in Loop: Header=BB137_20 Depth=1
	s_or_b32 exec_lo, exec_lo, s9
	v_dual_mov_b32 v19, s28 :: v_dual_mov_b32 v20, s29
	s_and_not1_b32 vcc_lo, exec_lo, s19
	s_waitcnt lgkmcnt(0)
	s_barrier
	buffer_gl0_inv
	s_cbranch_vccnz .LBB137_63
; %bb.28:                               ;   in Loop: Header=BB137_20 Depth=1
	v_cmp_ne_u64_e64 s9, 0, v[15:16]
	v_dual_mov_b32 v19, s28 :: v_dual_mov_b32 v20, s29
	s_mov_b64 s[24:25], s[40:41]
	s_branch .LBB137_30
.LBB137_29:                             ;   in Loop: Header=BB137_30 Depth=2
	s_or_b32 exec_lo, exec_lo, s11
	s_add_u32 s24, s24, 16
	s_addc_u32 s25, s25, 0
	s_delay_alu instid0(SALU_CYCLE_1) | instskip(NEXT) | instid1(VALU_DEP_1)
	v_cmp_lt_i64_e64 s10, s[24:25], s[52:53]
	s_and_b32 vcc_lo, exec_lo, s10
	s_cbranch_vccz .LBB137_63
.LBB137_30:                             ;   Parent Loop BB137_20 Depth=1
                                        ; =>  This Loop Header: Depth=2
                                        ;       Child Loop BB137_46 Depth 3
                                        ;         Child Loop BB137_58 Depth 4
                                        ;         Child Loop BB137_54 Depth 4
	v_add_co_u32 v21, s10, s24, v1
	s_delay_alu instid0(VALU_DEP_1) | instskip(NEXT) | instid1(VALU_DEP_1)
	v_add_co_ci_u32_e64 v22, null, s25, 0, s10
	s_waitcnt_vscnt null, 0x0
	s_barrier
	buffer_gl0_inv
	v_cmp_gt_i64_e64 s10, s[52:53], v[21:22]
	s_delay_alu instid0(VALU_DEP_1)
	s_and_saveexec_b32 s11, s10
	s_cbranch_execz .LBB137_35
; %bb.31:                               ;   in Loop: Header=BB137_30 Depth=2
	s_and_saveexec_b32 s26, s60
	s_delay_alu instid0(SALU_CYCLE_1)
	s_xor_b32 s26, exec_lo, s26
	s_cbranch_execz .LBB137_33
; %bb.32:                               ;   in Loop: Header=BB137_30 Depth=2
	v_mul_lo_u32 v6, v22, s44
	v_mul_lo_u32 v25, v21, s45
	v_mad_u64_u32 v[23:24], null, v21, s44, 0
	s_delay_alu instid0(VALU_DEP_1) | instskip(NEXT) | instid1(VALU_DEP_1)
	v_add3_u32 v24, v24, v25, v6
	v_lshlrev_b64 v[23:24], 3, v[23:24]
	s_delay_alu instid0(VALU_DEP_1) | instskip(NEXT) | instid1(VALU_DEP_2)
	v_add_co_u32 v23, vcc_lo, v4, v23
	v_add_co_ci_u32_e32 v24, vcc_lo, v37, v24, vcc_lo
	global_load_b64 v[23:24], v[23:24], off
	s_waitcnt vmcnt(0)
	ds_store_b64 v36, v[23:24]
.LBB137_33:                             ;   in Loop: Header=BB137_30 Depth=2
	s_and_not1_saveexec_b32 s26, s26
	s_cbranch_execz .LBB137_35
; %bb.34:                               ;   in Loop: Header=BB137_30 Depth=2
	v_mov_b32_e32 v6, v5
	ds_store_b64 v36, v[5:6]
.LBB137_35:                             ;   in Loop: Header=BB137_30 Depth=2
	s_or_b32 exec_lo, exec_lo, s11
	v_mov_b32_e32 v23, 0
	v_lshlrev_b64 v[21:22], 3, v[21:22]
	v_mov_b32_e32 v24, 0
	s_waitcnt lgkmcnt(0)
	s_barrier
	buffer_gl0_inv
	s_and_saveexec_b32 s65, s10
	s_cbranch_execz .LBB137_61
; %bb.36:                               ;   in Loop: Header=BB137_30 Depth=2
	v_add_co_u32 v23, vcc_lo, s46, v21
	v_add_co_ci_u32_e32 v24, vcc_lo, s47, v22, vcc_lo
	s_and_b32 vcc_lo, exec_lo, s9
	global_load_b64 v[25:26], v[23:24], off
	s_cbranch_vccz .LBB137_38
; %bb.37:                               ;   in Loop: Header=BB137_30 Depth=2
	v_add_co_u32 v23, vcc_lo, s14, v21
	v_add_co_ci_u32_e32 v24, vcc_lo, s15, v22, vcc_lo
	s_mov_b32 s11, 0
	global_load_b64 v[23:24], v[23:24], off
	s_branch .LBB137_39
.LBB137_38:                             ;   in Loop: Header=BB137_30 Depth=2
	s_mov_b32 s11, -1
                                        ; implicit-def: $vgpr23_vgpr24
.LBB137_39:                             ;   in Loop: Header=BB137_30 Depth=2
	s_waitcnt vmcnt(0)
	v_sub_co_u32 v25, vcc_lo, v25, s16
	v_subrev_co_ci_u32_e32 v26, vcc_lo, 0, v26, vcc_lo
	s_and_not1_b32 vcc_lo, exec_lo, s11
	s_delay_alu instid0(VALU_DEP_1)
	v_lshlrev_b64 v[25:26], 3, v[25:26]
	s_cbranch_vccnz .LBB137_41
; %bb.40:                               ;   in Loop: Header=BB137_30 Depth=2
	s_delay_alu instid0(VALU_DEP_1) | instskip(NEXT) | instid1(VALU_DEP_2)
	v_add_co_u32 v23, vcc_lo, s50, v25
	v_add_co_ci_u32_e32 v24, vcc_lo, s51, v26, vcc_lo
	global_load_b64 v[23:24], v[23:24], off
	s_waitcnt vmcnt(0)
	v_sub_co_u32 v23, vcc_lo, v23, s17
	v_subrev_co_ci_u32_e32 v24, vcc_lo, 0, v24, vcc_lo
.LBB137_41:                             ;   in Loop: Header=BB137_30 Depth=2
	s_delay_alu instid0(VALU_DEP_1) | instskip(NEXT) | instid1(VALU_DEP_2)
	v_add_co_u32 v25, vcc_lo, s61, v25
	v_add_co_ci_u32_e32 v26, vcc_lo, s62, v26, vcc_lo
	s_mov_b32 s66, exec_lo
	global_load_b64 v[25:26], v[25:26], off
	s_waitcnt vmcnt(0)
	v_sub_co_u32 v25, vcc_lo, v25, s17
	v_subrev_co_ci_u32_e32 v26, vcc_lo, 0, v26, vcc_lo
	s_delay_alu instid0(VALU_DEP_1)
	v_cmpx_lt_i64_e64 v[23:24], v[25:26]
	s_cbranch_execz .LBB137_60
; %bb.42:                               ;   in Loop: Header=BB137_30 Depth=2
	v_mad_u64_u32 v[31:32], null, s38, v23, v[7:8]
	v_mul_lo_u32 v6, s38, v24
	v_mul_lo_u32 v29, s39, v23
	v_mad_u64_u32 v[27:28], null, s42, v23, v[9:10]
	v_mul_lo_u32 v33, s42, v24
	s_mov_b32 s67, 0
	v_mul_lo_u32 v34, s31, v31
	s_delay_alu instid0(VALU_DEP_4) | instskip(SKIP_2) | instid1(VALU_DEP_3)
	v_add3_u32 v6, v29, v32, v6
	v_mul_lo_u32 v32, s43, v23
	v_mad_u64_u32 v[29:30], null, s30, v31, s[12:13]
	v_mul_lo_u32 v6, s30, v6
	s_delay_alu instid0(VALU_DEP_3) | instskip(SKIP_1) | instid1(VALU_DEP_3)
	v_add3_u32 v28, v32, v28, v33
	v_dual_mov_b32 v32, v24 :: v_dual_mov_b32 v31, v23
	v_add3_u32 v30, v34, v30, v6
	s_branch .LBB137_46
.LBB137_43:                             ;   in Loop: Header=BB137_46 Depth=3
	s_delay_alu instid0(VALU_DEP_1) | instskip(SKIP_1) | instid1(VALU_DEP_2)
	v_mul_f32_e64 v33, v57, -s35
	v_lshlrev_b32_e32 v6, 4, v6
	v_dual_mul_f32 v34, s33, v57 :: v_dual_fmac_f32 v33, s33, v56
	s_delay_alu instid0(VALU_DEP_2) | instskip(NEXT) | instid1(VALU_DEP_2)
	v_or3_b32 v6, v6, v38, v3
	v_fmac_f32_e32 v34, s35, v56
	s_delay_alu instid0(VALU_DEP_2)
	v_lshlrev_b32_e32 v6, 3, v6
	ds_add_f32 v6, v33
	ds_add_f32 v6, v34 offset:4
.LBB137_44:                             ;   in Loop: Header=BB137_46 Depth=3
	s_or_b32 exec_lo, exec_lo, s69
	s_delay_alu instid0(SALU_CYCLE_1)
	s_or_b32 s11, s11, exec_lo
.LBB137_45:                             ;   in Loop: Header=BB137_46 Depth=3
	s_or_b32 exec_lo, exec_lo, s68
	v_add_co_u32 v31, vcc_lo, v31, 1
	v_add_co_ci_u32_e32 v32, vcc_lo, 0, v32, vcc_lo
	s_xor_b32 s26, s11, -1
	v_add_co_u32 v29, s11, v29, s42
	s_delay_alu instid0(VALU_DEP_2)
	v_cmp_ge_i64_e32 vcc_lo, v[31:32], v[25:26]
	v_add_co_ci_u32_e64 v30, s11, s43, v30, s11
	s_or_b32 s11, s26, vcc_lo
	v_add_co_u32 v27, vcc_lo, v27, s42
	v_add_co_ci_u32_e32 v28, vcc_lo, s43, v28, vcc_lo
	s_and_b32 s11, exec_lo, s11
	s_delay_alu instid0(SALU_CYCLE_1) | instskip(NEXT) | instid1(SALU_CYCLE_1)
	s_or_b32 s67, s11, s67
	s_and_not1_b32 exec_lo, exec_lo, s67
	s_cbranch_execz .LBB137_59
.LBB137_46:                             ;   Parent Loop BB137_20 Depth=1
                                        ;     Parent Loop BB137_30 Depth=2
                                        ; =>    This Loop Header: Depth=3
                                        ;         Child Loop BB137_58 Depth 4
                                        ;         Child Loop BB137_54 Depth 4
	s_delay_alu instid0(VALU_DEP_2) | instskip(NEXT) | instid1(VALU_DEP_1)
	v_lshlrev_b64 v[33:34], 3, v[31:32]
	v_add_co_u32 v33, vcc_lo, s36, v33
	s_delay_alu instid0(VALU_DEP_2) | instskip(SKIP_4) | instid1(VALU_DEP_1)
	v_add_co_ci_u32_e32 v34, vcc_lo, s37, v34, vcc_lo
	global_load_b64 v[33:34], v[33:34], off
	s_waitcnt vmcnt(0)
	v_sub_co_u32 v33, vcc_lo, v33, s17
	v_subrev_co_ci_u32_e32 v34, vcc_lo, 0, v34, vcc_lo
	v_cmp_lt_i64_e64 s11, v[33:34], v[15:16]
	v_cmp_ge_i64_e32 vcc_lo, v[33:34], v[17:18]
	s_delay_alu instid0(VALU_DEP_2) | instskip(NEXT) | instid1(SALU_CYCLE_1)
	s_or_b32 s26, s11, vcc_lo
                                        ; implicit-def: $sgpr11
	s_and_saveexec_b32 s27, s26
	s_delay_alu instid0(SALU_CYCLE_1)
	s_xor_b32 s26, exec_lo, s27
	s_cbranch_execz .LBB137_50
; %bb.47:                               ;   in Loop: Header=BB137_46 Depth=3
	s_mov_b32 s27, -1
	s_and_saveexec_b32 s11, vcc_lo
; %bb.48:                               ;   in Loop: Header=BB137_46 Depth=3
	v_cmp_lt_i64_e32 vcc_lo, v[33:34], v[19:20]
	v_dual_mov_b32 v23, v31 :: v_dual_mov_b32 v24, v32
	s_xor_b32 s27, exec_lo, -1
	v_dual_cndmask_b32 v20, v20, v34 :: v_dual_cndmask_b32 v19, v19, v33
; %bb.49:                               ;   in Loop: Header=BB137_46 Depth=3
	s_or_b32 exec_lo, exec_lo, s11
	s_delay_alu instid0(SALU_CYCLE_1)
	s_and_b32 s11, s27, exec_lo
                                        ; implicit-def: $vgpr33_vgpr34
.LBB137_50:                             ;   in Loop: Header=BB137_46 Depth=3
	s_and_not1_saveexec_b32 s68, s26
	s_cbranch_execz .LBB137_45
; %bb.51:                               ;   in Loop: Header=BB137_46 Depth=3
	v_sub_nc_u32_e32 v6, v33, v15
	s_delay_alu instid0(VALU_DEP_1)
	v_lshlrev_b32_e32 v33, 2, v6
	ds_store_b32 v33, v55 offset:6144
	s_and_saveexec_b32 s69, s56
	s_cbranch_execz .LBB137_44
; %bb.52:                               ;   in Loop: Header=BB137_46 Depth=3
	s_and_not1_b32 vcc_lo, exec_lo, s57
	s_cbranch_vccnz .LBB137_56
; %bb.53:                               ;   in Loop: Header=BB137_46 Depth=3
	v_mov_b32_e32 v34, v30
	v_dual_mov_b32 v56, 0 :: v_dual_mov_b32 v33, v29
	v_dual_mov_b32 v58, v50 :: v_dual_mov_b32 v57, 0
	s_mov_b64 s[26:27], s[30:31]
	.p2align	6
.LBB137_54:                             ;   Parent Loop BB137_20 Depth=1
                                        ;     Parent Loop BB137_30 Depth=2
                                        ;       Parent Loop BB137_46 Depth=3
                                        ; =>      This Inner Loop Header: Depth=4
	global_load_b64 v[59:60], v[33:34], off offset:-4
	ds_load_b64 v[61:62], v58
	v_add_co_u32 v33, vcc_lo, v33, 8
	v_add_co_ci_u32_e32 v34, vcc_lo, 0, v34, vcc_lo
	s_add_u32 s26, s26, -1
	s_addc_u32 s27, s27, -1
	v_add_nc_u32_e32 v58, 32, v58
	s_cmp_lg_u64 s[26:27], 0
	s_waitcnt vmcnt(0) lgkmcnt(0)
	v_fmac_f32_e32 v56, v61, v59
	v_fmac_f32_e32 v57, v62, v59
	s_delay_alu instid0(VALU_DEP_2) | instskip(NEXT) | instid1(VALU_DEP_2)
	v_fma_f32 v56, -v62, v60, v56
	v_fmac_f32_e32 v57, v61, v60
	s_cbranch_scc1 .LBB137_54
; %bb.55:                               ;   in Loop: Header=BB137_46 Depth=3
	s_branch .LBB137_43
.LBB137_56:                             ;   in Loop: Header=BB137_46 Depth=3
                                        ; implicit-def: $vgpr56
                                        ; implicit-def: $vgpr57
	s_cbranch_execz .LBB137_43
; %bb.57:                               ;   in Loop: Header=BB137_46 Depth=3
	v_mov_b32_e32 v34, v28
	v_dual_mov_b32 v56, 0 :: v_dual_mov_b32 v33, v27
	v_dual_mov_b32 v58, v51 :: v_dual_mov_b32 v57, 0
	s_mov_b64 s[26:27], s[30:31]
	.p2align	6
.LBB137_58:                             ;   Parent Loop BB137_20 Depth=1
                                        ;     Parent Loop BB137_30 Depth=2
                                        ;       Parent Loop BB137_46 Depth=3
                                        ; =>      This Inner Loop Header: Depth=4
	global_load_b64 v[59:60], v[33:34], off offset:-4
	ds_load_b64 v[61:62], v58
	v_add_co_u32 v33, vcc_lo, v33, s38
	s_add_u32 s26, s26, -1
	v_add_co_ci_u32_e32 v34, vcc_lo, s39, v34, vcc_lo
	s_addc_u32 s27, s27, -1
	v_add_nc_u32_e32 v58, 8, v58
	s_cmp_eq_u64 s[26:27], 0
	s_waitcnt vmcnt(0) lgkmcnt(0)
	v_fmac_f32_e32 v56, v61, v59
	v_fmac_f32_e32 v57, v62, v59
	s_delay_alu instid0(VALU_DEP_2) | instskip(NEXT) | instid1(VALU_DEP_2)
	v_fma_f32 v56, -v62, v60, v56
	v_fmac_f32_e32 v57, v61, v60
	s_cbranch_scc0 .LBB137_58
	s_branch .LBB137_43
.LBB137_59:                             ;   in Loop: Header=BB137_30 Depth=2
	s_or_b32 exec_lo, exec_lo, s67
.LBB137_60:                             ;   in Loop: Header=BB137_30 Depth=2
	s_delay_alu instid0(SALU_CYCLE_1)
	s_or_b32 exec_lo, exec_lo, s66
.LBB137_61:                             ;   in Loop: Header=BB137_30 Depth=2
	s_delay_alu instid0(SALU_CYCLE_1)
	s_or_b32 exec_lo, exec_lo, s65
	s_waitcnt lgkmcnt(0)
	s_barrier
	buffer_gl0_inv
	s_and_saveexec_b32 s11, s10
	s_cbranch_execz .LBB137_29
; %bb.62:                               ;   in Loop: Header=BB137_30 Depth=2
	v_add_co_u32 v21, vcc_lo, s14, v21
	v_add_co_ci_u32_e32 v22, vcc_lo, s15, v22, vcc_lo
	global_store_b64 v[21:22], v[23:24], off
	s_branch .LBB137_29
.LBB137_63:                             ;   in Loop: Header=BB137_20 Depth=1
	s_and_not1_b32 vcc_lo, exec_lo, s34
	s_cbranch_vccnz .LBB137_75
; %bb.64:                               ;   in Loop: Header=BB137_20 Depth=1
	s_load_b128 s[24:27], s[22:23], 0x0
	s_waitcnt lgkmcnt(0)
	v_add_co_u32 v23, vcc_lo, s24, v39
	v_add_co_ci_u32_e32 v24, vcc_lo, s25, v40, vcc_lo
	s_sub_u32 s10, s26, s58
	s_subb_u32 s11, s27, 0
	s_mov_b32 s26, exec_lo
	s_delay_alu instid0(VALU_DEP_1)
	v_cmpx_gt_i64_e64 s[10:11], v[23:24]
	s_cbranch_execz .LBB137_74
; %bb.65:                               ;   in Loop: Header=BB137_20 Depth=1
	v_lshlrev_b64 v[25:26], 3, v[23:24]
	v_mad_u64_u32 v[21:22], null, s42, v23, v[11:12]
	v_mul_lo_u32 v6, s42, v24
	v_mul_lo_u32 v27, s43, v23
	s_delay_alu instid0(VALU_DEP_4) | instskip(SKIP_2) | instid1(VALU_DEP_4)
	v_add_co_u32 v23, vcc_lo, s20, v25
	v_add_co_ci_u32_e32 v24, vcc_lo, s21, v26, vcc_lo
	v_add_co_u32 v25, vcc_lo, v52, s24
	v_add3_u32 v22, v27, v22, v6
	v_add_co_ci_u32_e32 v26, vcc_lo, s25, v53, vcc_lo
	s_mov_b32 s24, 0
	s_branch .LBB137_68
.LBB137_66:                             ;   in Loop: Header=BB137_68 Depth=2
	s_or_b32 exec_lo, exec_lo, s27
	s_delay_alu instid0(SALU_CYCLE_1)
	s_or_b32 s9, s9, exec_lo
.LBB137_67:                             ;   in Loop: Header=BB137_68 Depth=2
	s_or_b32 exec_lo, exec_lo, s25
	v_cmp_le_i64_e32 vcc_lo, s[10:11], v[25:26]
	s_xor_b32 s25, s9, -1
	v_add_co_u32 v23, s9, 0x80, v23
	s_delay_alu instid0(VALU_DEP_1)
	v_add_co_ci_u32_e64 v24, s9, 0, v24, s9
	s_or_b32 s9, s25, vcc_lo
	v_add_co_u32 v21, vcc_lo, v21, s48
	v_add_co_ci_u32_e32 v22, vcc_lo, s49, v22, vcc_lo
	v_add_co_u32 v25, vcc_lo, v25, 16
	v_add_co_ci_u32_e32 v26, vcc_lo, 0, v26, vcc_lo
	s_and_b32 s9, exec_lo, s9
	s_delay_alu instid0(SALU_CYCLE_1) | instskip(NEXT) | instid1(SALU_CYCLE_1)
	s_or_b32 s24, s9, s24
	s_and_not1_b32 exec_lo, exec_lo, s24
	s_cbranch_execz .LBB137_73
.LBB137_68:                             ;   Parent Loop BB137_20 Depth=1
                                        ; =>  This Inner Loop Header: Depth=2
	global_load_b64 v[27:28], v[23:24], off
	s_waitcnt vmcnt(0)
	v_sub_co_u32 v27, vcc_lo, v27, s58
	v_subrev_co_ci_u32_e32 v28, vcc_lo, 0, v28, vcc_lo
	s_delay_alu instid0(VALU_DEP_1)
	v_cmp_lt_i64_e32 vcc_lo, v[27:28], v[17:18]
	v_cmp_lt_i64_e64 s9, v[27:28], v[15:16]
	s_xor_b32 s25, vcc_lo, -1
	s_delay_alu instid0(VALU_DEP_1) | instid1(SALU_CYCLE_1)
	s_or_b32 s25, s9, s25
                                        ; implicit-def: $sgpr9
	s_delay_alu instid0(SALU_CYCLE_1) | instskip(NEXT) | instid1(SALU_CYCLE_1)
	s_and_saveexec_b32 s27, s25
	s_xor_b32 s25, exec_lo, s27
; %bb.69:                               ;   in Loop: Header=BB137_68 Depth=2
	v_cmp_lt_i64_e64 s9, v[27:28], v[19:20]
	s_delay_alu instid0(VALU_DEP_1) | instskip(SKIP_2) | instid1(VALU_DEP_1)
	v_cndmask_b32_e64 v6, v19, v27, s9
	v_cndmask_b32_e64 v27, v20, v28, s9
	s_and_b32 s9, vcc_lo, exec_lo
	v_dual_cndmask_b32 v19, v6, v19 :: v_dual_cndmask_b32 v20, v27, v20
                                        ; implicit-def: $vgpr27
; %bb.70:                               ;   in Loop: Header=BB137_68 Depth=2
	s_and_not1_saveexec_b32 s25, s25
	s_cbranch_execz .LBB137_67
; %bb.71:                               ;   in Loop: Header=BB137_68 Depth=2
	v_sub_nc_u32_e32 v6, v27, v15
	s_delay_alu instid0(VALU_DEP_1)
	v_lshlrev_b32_e32 v27, 2, v6
	ds_store_b32 v27, v55 offset:6144
	s_and_saveexec_b32 s27, s60
	s_cbranch_execz .LBB137_66
; %bb.72:                               ;   in Loop: Header=BB137_68 Depth=2
	global_load_b64 v[27:28], v[21:22], off offset:-4
	s_waitcnt vmcnt(0)
	v_mul_f32_e64 v29, v28, -s55
	v_lshlrev_b32_e32 v6, 4, v6
	s_delay_alu instid0(VALU_DEP_2) | instskip(NEXT) | instid1(VALU_DEP_2)
	v_dual_mul_f32 v28, s54, v28 :: v_dual_fmac_f32 v29, s54, v27
	v_or3_b32 v6, v6, v38, v3
	s_delay_alu instid0(VALU_DEP_2) | instskip(NEXT) | instid1(VALU_DEP_2)
	v_fmac_f32_e32 v28, s55, v27
	v_lshlrev_b32_e32 v6, 3, v6
	ds_add_f32 v6, v29
	ds_add_f32 v6, v28 offset:4
	s_branch .LBB137_66
.LBB137_73:                             ;   in Loop: Header=BB137_20 Depth=1
	s_or_b32 exec_lo, exec_lo, s24
.LBB137_74:                             ;   in Loop: Header=BB137_20 Depth=1
	s_delay_alu instid0(SALU_CYCLE_1)
	s_or_b32 exec_lo, exec_lo, s26
.LBB137_75:                             ;   in Loop: Header=BB137_20 Depth=1
	s_and_saveexec_b32 s9, s3
	s_cbranch_execz .LBB137_80
; %bb.76:                               ;   in Loop: Header=BB137_20 Depth=1
	s_mov_b32 s24, exec_lo
	s_mov_b64 s[10:11], -1
.LBB137_77:                             ;   Parent Loop BB137_20 Depth=1
                                        ; =>  This Inner Loop Header: Depth=2
	s_ctz_i32_b32 s25, s24
	s_delay_alu instid0(SALU_CYCLE_1) | instskip(SKIP_1) | instid1(VALU_DEP_1)
	v_readlane_b32 s27, v20, s25
	v_readlane_b32 s26, v19, s25
	v_cmp_lt_u64_e64 s65, s[10:11], s[26:27]
	s_delay_alu instid0(VALU_DEP_1) | instskip(SKIP_3) | instid1(SALU_CYCLE_1)
	s_and_b32 s65, s65, exec_lo
	s_cselect_b32 s11, s11, s27
	s_cselect_b32 s10, s10, s26
	s_lshl_b32 s25, 1, s25
	s_and_not1_b32 s24, s24, s25
	s_delay_alu instid0(SALU_CYCLE_1)
	s_cmp_lg_u32 s24, 0
	s_cbranch_scc1 .LBB137_77
; %bb.78:                               ;   in Loop: Header=BB137_20 Depth=1
	v_mbcnt_lo_u32_b32 v6, exec_lo, 0
	s_mov_b32 s24, exec_lo
	s_delay_alu instid0(VALU_DEP_1)
	v_cmpx_eq_u32_e32 0, v6
	s_xor_b32 s24, exec_lo, s24
	s_cbranch_execz .LBB137_80
; %bb.79:                               ;   in Loop: Header=BB137_20 Depth=1
	v_dual_mov_b32 v18, s11 :: v_dual_mov_b32 v17, s10
	ds_min_u64 v5, v[17:18] offset:6272
.LBB137_80:                             ;   in Loop: Header=BB137_20 Depth=1
	s_or_b32 exec_lo, exec_lo, s9
	s_waitcnt lgkmcnt(0)
	s_waitcnt_vscnt null, 0x0
	s_barrier
	buffer_gl0_inv
	ds_load_b32 v17, v41
	s_waitcnt lgkmcnt(0)
	s_barrier
	buffer_gl0_inv
	s_and_saveexec_b32 s9, s4
	s_cbranch_execz .LBB137_82
; %bb.81:                               ;   in Loop: Header=BB137_20 Depth=1
	ds_load_b32 v6, v42
	s_waitcnt lgkmcnt(0)
	v_add_nc_u32_e32 v17, v6, v17
.LBB137_82:                             ;   in Loop: Header=BB137_20 Depth=1
	s_or_b32 exec_lo, exec_lo, s9
	s_barrier
	buffer_gl0_inv
	ds_store_b32 v41, v17
	s_waitcnt lgkmcnt(0)
	s_barrier
	buffer_gl0_inv
	s_and_saveexec_b32 s9, s5
	s_cbranch_execz .LBB137_84
; %bb.83:                               ;   in Loop: Header=BB137_20 Depth=1
	ds_load_b32 v6, v44
	s_waitcnt lgkmcnt(0)
	v_add_nc_u32_e32 v17, v6, v17
.LBB137_84:                             ;   in Loop: Header=BB137_20 Depth=1
	s_or_b32 exec_lo, exec_lo, s9
	s_barrier
	buffer_gl0_inv
	ds_store_b32 v41, v17
	;; [unrolled: 14-line block ×5, first 2 shown]
	s_waitcnt lgkmcnt(0)
	s_barrier
	buffer_gl0_inv
	ds_load_b32 v6, v5 offset:6268
	v_mov_b32_e32 v18, 0
	s_and_saveexec_b32 s9, s59
	s_cbranch_execz .LBB137_92
; %bb.91:                               ;   in Loop: Header=BB137_20 Depth=1
	ds_load_b32 v18, v42
.LBB137_92:                             ;   in Loop: Header=BB137_20 Depth=1
	s_or_b32 exec_lo, exec_lo, s9
	s_waitcnt lgkmcnt(0)
	v_cmp_eq_u32_e32 vcc_lo, v17, v18
	s_barrier
	buffer_gl0_inv
	s_and_b32 s10, s59, vcc_lo
	s_delay_alu instid0(SALU_CYCLE_1)
	s_and_saveexec_b32 s9, s10
	s_cbranch_execz .LBB137_94
; %bb.93:                               ;   in Loop: Header=BB137_20 Depth=1
	ds_store_b32 v41, v5
.LBB137_94:                             ;   in Loop: Header=BB137_20 Depth=1
	s_or_b32 exec_lo, exec_lo, s9
	s_waitcnt lgkmcnt(0)
	s_barrier
	buffer_gl0_inv
	s_and_saveexec_b32 s9, s1
	s_cbranch_execz .LBB137_19
; %bb.95:                               ;   in Loop: Header=BB137_20 Depth=1
	v_add_co_u32 v17, vcc_lo, v13, -1
	v_add_co_ci_u32_e32 v18, vcc_lo, -1, v14, vcc_lo
	v_add_co_u32 v19, vcc_lo, s18, v15
	v_add_co_ci_u32_e32 v20, vcc_lo, 0, v16, vcc_lo
	v_dual_mov_b32 v21, v54 :: v_dual_mov_b32 v22, v35
	v_dual_mov_b32 v16, v2 :: v_dual_mov_b32 v15, v1
	s_mov_b32 s10, 0
	s_branch .LBB137_97
.LBB137_96:                             ;   in Loop: Header=BB137_97 Depth=2
	s_or_b32 exec_lo, exec_lo, s11
	v_add_co_u32 v15, vcc_lo, v15, 16
	v_add_co_ci_u32_e32 v16, vcc_lo, 0, v16, vcc_lo
	v_add_nc_u32_e32 v22, 0x800, v22
	s_delay_alu instid0(VALU_DEP_3) | instskip(SKIP_1) | instid1(VALU_DEP_2)
	v_add_nc_u32_e32 v23, -16, v15
	v_add_nc_u32_e32 v21, 64, v21
	v_cmp_lt_u32_e32 vcc_lo, 15, v23
	s_or_b32 s10, vcc_lo, s10
	s_delay_alu instid0(SALU_CYCLE_1)
	s_and_not1_b32 exec_lo, exec_lo, s10
	s_cbranch_execz .LBB137_19
.LBB137_97:                             ;   Parent Loop BB137_20 Depth=1
                                        ; =>  This Inner Loop Header: Depth=2
	ds_load_b32 v23, v21
	s_mov_b32 s11, exec_lo
	s_waitcnt lgkmcnt(0)
	v_cmpx_ne_u32_e32 0, v23
	s_cbranch_execz .LBB137_96
; %bb.98:                               ;   in Loop: Header=BB137_97 Depth=2
	v_ashrrev_i32_e32 v24, 31, v23
	v_add_co_u32 v25, vcc_lo, v13, v23
	s_delay_alu instid0(VALU_DEP_2) | instskip(SKIP_2) | instid1(VALU_DEP_3)
	v_add_co_ci_u32_e32 v26, vcc_lo, v14, v24, vcc_lo
	v_add_co_u32 v27, vcc_lo, v19, v15
	v_add_co_ci_u32_e32 v28, vcc_lo, v20, v16, vcc_lo
	v_lshlrev_b64 v[25:26], 3, v[25:26]
	s_delay_alu instid0(VALU_DEP_1) | instskip(NEXT) | instid1(VALU_DEP_2)
	v_add_co_u32 v25, vcc_lo, s63, v25
	v_add_co_ci_u32_e32 v26, vcc_lo, s64, v26, vcc_lo
	global_store_b64 v[25:26], v[27:28], off
	s_and_b32 exec_lo, exec_lo, s60
	s_cbranch_execz .LBB137_96
; %bb.99:                               ;   in Loop: Header=BB137_97 Depth=2
	v_add_co_u32 v25, vcc_lo, v17, v23
	v_add_co_ci_u32_e32 v23, vcc_lo, v18, v24, vcc_lo
	s_delay_alu instid0(VALU_DEP_2) | instskip(NEXT) | instid1(VALU_DEP_2)
	v_mul_lo_u32 v28, v25, s45
	v_mul_lo_u32 v27, v23, s44
	v_mad_u64_u32 v[23:24], null, v25, s44, 0
	ds_load_b64 v[25:26], v22
	v_add3_u32 v24, v24, v28, v27
	s_delay_alu instid0(VALU_DEP_1) | instskip(NEXT) | instid1(VALU_DEP_1)
	v_lshlrev_b64 v[23:24], 3, v[23:24]
	v_add_co_u32 v23, vcc_lo, v49, v23
	s_delay_alu instid0(VALU_DEP_2)
	v_add_co_ci_u32_e32 v24, vcc_lo, v48, v24, vcc_lo
	s_waitcnt lgkmcnt(0)
	global_store_b64 v[23:24], v[25:26], off
	s_branch .LBB137_96
.LBB137_100:
	s_endpgm
	.section	.rodata,"a",@progbits
	.p2align	6, 0x0
	.amdhsa_kernel _ZN9rocsparseL38bsrgemm_block_per_row_atomic_multipassILj256ELj32ELj4Ell21rocsparse_complex_numIfEEEv20rocsparse_direction_T3_S4_PKS4_S6_NS_24const_host_device_scalarIT4_EEPKT2_S6_PKS8_SC_S6_SE_S9_SC_S6_SE_SC_PS4_PS8_PSA_21rocsparse_index_base_SI_SI_SI_bbb
		.amdhsa_group_segment_fixed_size 6280
		.amdhsa_private_segment_fixed_size 0
		.amdhsa_kernarg_size 180
		.amdhsa_user_sgpr_count 15
		.amdhsa_user_sgpr_dispatch_ptr 0
		.amdhsa_user_sgpr_queue_ptr 0
		.amdhsa_user_sgpr_kernarg_segment_ptr 1
		.amdhsa_user_sgpr_dispatch_id 0
		.amdhsa_user_sgpr_private_segment_size 0
		.amdhsa_wavefront_size32 1
		.amdhsa_uses_dynamic_stack 0
		.amdhsa_enable_private_segment 0
		.amdhsa_system_sgpr_workgroup_id_x 1
		.amdhsa_system_sgpr_workgroup_id_y 0
		.amdhsa_system_sgpr_workgroup_id_z 0
		.amdhsa_system_sgpr_workgroup_info 0
		.amdhsa_system_vgpr_workitem_id 0
		.amdhsa_next_free_vgpr 63
		.amdhsa_next_free_sgpr 70
		.amdhsa_reserve_vcc 1
		.amdhsa_float_round_mode_32 0
		.amdhsa_float_round_mode_16_64 0
		.amdhsa_float_denorm_mode_32 3
		.amdhsa_float_denorm_mode_16_64 3
		.amdhsa_dx10_clamp 1
		.amdhsa_ieee_mode 1
		.amdhsa_fp16_overflow 0
		.amdhsa_workgroup_processor_mode 1
		.amdhsa_memory_ordered 1
		.amdhsa_forward_progress 0
		.amdhsa_shared_vgpr_count 0
		.amdhsa_exception_fp_ieee_invalid_op 0
		.amdhsa_exception_fp_denorm_src 0
		.amdhsa_exception_fp_ieee_div_zero 0
		.amdhsa_exception_fp_ieee_overflow 0
		.amdhsa_exception_fp_ieee_underflow 0
		.amdhsa_exception_fp_ieee_inexact 0
		.amdhsa_exception_int_div_zero 0
	.end_amdhsa_kernel
	.section	.text._ZN9rocsparseL38bsrgemm_block_per_row_atomic_multipassILj256ELj32ELj4Ell21rocsparse_complex_numIfEEEv20rocsparse_direction_T3_S4_PKS4_S6_NS_24const_host_device_scalarIT4_EEPKT2_S6_PKS8_SC_S6_SE_S9_SC_S6_SE_SC_PS4_PS8_PSA_21rocsparse_index_base_SI_SI_SI_bbb,"axG",@progbits,_ZN9rocsparseL38bsrgemm_block_per_row_atomic_multipassILj256ELj32ELj4Ell21rocsparse_complex_numIfEEEv20rocsparse_direction_T3_S4_PKS4_S6_NS_24const_host_device_scalarIT4_EEPKT2_S6_PKS8_SC_S6_SE_S9_SC_S6_SE_SC_PS4_PS8_PSA_21rocsparse_index_base_SI_SI_SI_bbb,comdat
.Lfunc_end137:
	.size	_ZN9rocsparseL38bsrgemm_block_per_row_atomic_multipassILj256ELj32ELj4Ell21rocsparse_complex_numIfEEEv20rocsparse_direction_T3_S4_PKS4_S6_NS_24const_host_device_scalarIT4_EEPKT2_S6_PKS8_SC_S6_SE_S9_SC_S6_SE_SC_PS4_PS8_PSA_21rocsparse_index_base_SI_SI_SI_bbb, .Lfunc_end137-_ZN9rocsparseL38bsrgemm_block_per_row_atomic_multipassILj256ELj32ELj4Ell21rocsparse_complex_numIfEEEv20rocsparse_direction_T3_S4_PKS4_S6_NS_24const_host_device_scalarIT4_EEPKT2_S6_PKS8_SC_S6_SE_S9_SC_S6_SE_SC_PS4_PS8_PSA_21rocsparse_index_base_SI_SI_SI_bbb
                                        ; -- End function
	.section	.AMDGPU.csdata,"",@progbits
; Kernel info:
; codeLenInByte = 4096
; NumSgprs: 72
; NumVgprs: 63
; ScratchSize: 0
; MemoryBound: 0
; FloatMode: 240
; IeeeMode: 1
; LDSByteSize: 6280 bytes/workgroup (compile time only)
; SGPRBlocks: 8
; VGPRBlocks: 7
; NumSGPRsForWavesPerEU: 72
; NumVGPRsForWavesPerEU: 63
; Occupancy: 16
; WaveLimiterHint : 1
; COMPUTE_PGM_RSRC2:SCRATCH_EN: 0
; COMPUTE_PGM_RSRC2:USER_SGPR: 15
; COMPUTE_PGM_RSRC2:TRAP_HANDLER: 0
; COMPUTE_PGM_RSRC2:TGID_X_EN: 1
; COMPUTE_PGM_RSRC2:TGID_Y_EN: 0
; COMPUTE_PGM_RSRC2:TGID_Z_EN: 0
; COMPUTE_PGM_RSRC2:TIDIG_COMP_CNT: 0
	.section	.text._ZN9rocsparseL38bsrgemm_block_per_row_atomic_multipassILj256ELj64ELj4Ell21rocsparse_complex_numIfEEEv20rocsparse_direction_T3_S4_PKS4_S6_NS_24const_host_device_scalarIT4_EEPKT2_S6_PKS8_SC_S6_SE_S9_SC_S6_SE_SC_PS4_PS8_PSA_21rocsparse_index_base_SI_SI_SI_bbb,"axG",@progbits,_ZN9rocsparseL38bsrgemm_block_per_row_atomic_multipassILj256ELj64ELj4Ell21rocsparse_complex_numIfEEEv20rocsparse_direction_T3_S4_PKS4_S6_NS_24const_host_device_scalarIT4_EEPKT2_S6_PKS8_SC_S6_SE_S9_SC_S6_SE_SC_PS4_PS8_PSA_21rocsparse_index_base_SI_SI_SI_bbb,comdat
	.globl	_ZN9rocsparseL38bsrgemm_block_per_row_atomic_multipassILj256ELj64ELj4Ell21rocsparse_complex_numIfEEEv20rocsparse_direction_T3_S4_PKS4_S6_NS_24const_host_device_scalarIT4_EEPKT2_S6_PKS8_SC_S6_SE_S9_SC_S6_SE_SC_PS4_PS8_PSA_21rocsparse_index_base_SI_SI_SI_bbb ; -- Begin function _ZN9rocsparseL38bsrgemm_block_per_row_atomic_multipassILj256ELj64ELj4Ell21rocsparse_complex_numIfEEEv20rocsparse_direction_T3_S4_PKS4_S6_NS_24const_host_device_scalarIT4_EEPKT2_S6_PKS8_SC_S6_SE_S9_SC_S6_SE_SC_PS4_PS8_PSA_21rocsparse_index_base_SI_SI_SI_bbb
	.p2align	8
	.type	_ZN9rocsparseL38bsrgemm_block_per_row_atomic_multipassILj256ELj64ELj4Ell21rocsparse_complex_numIfEEEv20rocsparse_direction_T3_S4_PKS4_S6_NS_24const_host_device_scalarIT4_EEPKT2_S6_PKS8_SC_S6_SE_S9_SC_S6_SE_SC_PS4_PS8_PSA_21rocsparse_index_base_SI_SI_SI_bbb,@function
_ZN9rocsparseL38bsrgemm_block_per_row_atomic_multipassILj256ELj64ELj4Ell21rocsparse_complex_numIfEEEv20rocsparse_direction_T3_S4_PKS4_S6_NS_24const_host_device_scalarIT4_EEPKT2_S6_PKS8_SC_S6_SE_S9_SC_S6_SE_SC_PS4_PS8_PSA_21rocsparse_index_base_SI_SI_SI_bbb: ; @_ZN9rocsparseL38bsrgemm_block_per_row_atomic_multipassILj256ELj64ELj4Ell21rocsparse_complex_numIfEEEv20rocsparse_direction_T3_S4_PKS4_S6_NS_24const_host_device_scalarIT4_EEPKT2_S6_PKS8_SC_S6_SE_S9_SC_S6_SE_SC_PS4_PS8_PSA_21rocsparse_index_base_SI_SI_SI_bbb
; %bb.0:
	s_mov_b32 s2, s15
	s_clause 0x5
	s_load_b32 s9, s[0:1], 0xb0
	s_load_b256 s[12:19], s[0:1], 0x90
	s_load_b256 s[20:27], s[0:1], 0x70
	;; [unrolled: 1-line block ×3, first 2 shown]
	s_load_b128 s[4:7], s[0:1], 0x18
	s_load_b256 s[44:51], s[0:1], 0x30
	s_mov_b32 s35, 0
	s_mov_b32 s33, 0
	s_waitcnt lgkmcnt(0)
	s_bitcmp1_b32 s9, 0
	s_cselect_b32 s8, -1, 0
	s_bitcmp1_b32 s9, 16
	s_cselect_b32 s3, -1, 0
	s_delay_alu instid0(SALU_CYCLE_1)
	s_xor_b32 s3, s3, -1
	s_bitcmp0_b32 s9, 0
	s_cbranch_scc1 .LBB138_5
; %bb.1:
	s_load_b64 s[34:35], s[0:1], 0x28
	s_and_not1_b32 vcc_lo, exec_lo, s3
	s_waitcnt lgkmcnt(0)
	s_mov_b32 s33, s34
	s_cbranch_vccnz .LBB138_3
; %bb.2:
	s_load_b32 s33, s[34:35], 0x0
.LBB138_3:
	s_and_not1_b32 vcc_lo, exec_lo, s3
	s_cbranch_vccnz .LBB138_5
; %bb.4:
	s_load_b32 s35, s[34:35], 0x4
.LBB138_5:
	s_bitcmp1_b32 s9, 8
	s_mov_b32 s55, 0
	s_cselect_b32 s34, -1, 0
	s_bfe_u32 s9, s9, 0x10008
	s_mov_b32 s54, 0
	s_cmp_eq_u32 s9, 0
	s_cbranch_scc1 .LBB138_11
; %bb.6:
	v_cndmask_b32_e64 v1, 0, 1, s3
	s_and_not1_b32 vcc_lo, exec_lo, s3
	s_mov_b32 s54, s40
	s_cbranch_vccnz .LBB138_8
; %bb.7:
	s_load_b32 s54, s[40:41], 0x0
.LBB138_8:
	s_delay_alu instid0(VALU_DEP_1)
	v_cmp_ne_u32_e32 vcc_lo, 1, v1
	s_cbranch_vccnz .LBB138_10
; %bb.9:
	s_load_b32 s41, s[40:41], 0x4
.LBB138_10:
	s_waitcnt lgkmcnt(0)
	s_mov_b32 s55, s41
.LBB138_11:
	s_mov_b64 s[40:41], 0
	s_cmp_eq_u64 s[6:7], 0
	s_mov_b32 s3, 0
	s_cbranch_scc1 .LBB138_13
; %bb.12:
	s_load_b64 s[4:5], s[4:5], 0x0
	s_waitcnt lgkmcnt(0)
	s_lshl_b64 s[4:5], s[4:5], 3
	s_delay_alu instid0(SALU_CYCLE_1) | instskip(SKIP_2) | instid1(SALU_CYCLE_1)
	s_add_u32 s4, s6, s4
	s_addc_u32 s5, s7, s5
	s_lshl_b64 s[2:3], s[2:3], 3
	s_add_u32 s2, s4, s2
	s_addc_u32 s3, s5, s3
	s_load_b64 s[2:3], s[2:3], 0x0
.LBB138_13:
	s_and_not1_b32 vcc_lo, exec_lo, s8
	s_cbranch_vccz .LBB138_16
; %bb.14:
	s_and_not1_b32 vcc_lo, exec_lo, s8
	s_mov_b64 s[52:53], 0
	s_cbranch_vccz .LBB138_17
.LBB138_15:
	s_load_b128 s[28:31], s[0:1], 0x8
	s_waitcnt lgkmcnt(0)
	v_cmp_lt_i64_e64 s4, s[28:29], 1
	s_delay_alu instid0(VALU_DEP_1)
	s_and_b32 vcc_lo, exec_lo, s4
	s_cbranch_vccz .LBB138_18
	s_branch .LBB138_100
.LBB138_16:
	s_waitcnt lgkmcnt(0)
	s_lshl_b64 s[4:5], s[2:3], 3
	s_delay_alu instid0(SALU_CYCLE_1)
	s_add_u32 s4, s44, s4
	s_addc_u32 s5, s45, s5
	s_load_b64 s[4:5], s[4:5], 0x0
	s_waitcnt lgkmcnt(0)
	s_sub_u32 s40, s4, s16
	s_subb_u32 s41, s5, 0
	s_and_not1_b32 vcc_lo, exec_lo, s8
	s_mov_b64 s[52:53], 0
	s_cbranch_vccnz .LBB138_15
.LBB138_17:
	s_waitcnt lgkmcnt(0)
	s_lshl_b64 s[4:5], s[2:3], 3
	s_delay_alu instid0(SALU_CYCLE_1)
	s_add_u32 s4, s44, s4
	s_addc_u32 s5, s45, s5
	s_load_b64 s[4:5], s[4:5], 0x8
	s_waitcnt lgkmcnt(0)
	s_sub_u32 s52, s4, s16
	s_subb_u32 s53, s5, 0
	s_load_b128 s[28:31], s[0:1], 0x8
	s_waitcnt lgkmcnt(0)
	v_cmp_lt_i64_e64 s4, s[28:29], 1
	s_delay_alu instid0(VALU_DEP_1)
	s_and_b32 vcc_lo, exec_lo, s4
	s_cbranch_vccnz .LBB138_100
.LBB138_18:
	v_bfe_u32 v7, v0, 2, 2
	s_lshl_b64 s[6:7], s[2:3], 3
	v_dual_mov_b32 v2, 0 :: v_dual_lshlrev_b32 v35, 3, v0
	s_add_u32 s2, s24, s6
	s_delay_alu instid0(VALU_DEP_2)
	v_mad_u64_u32 v[5:6], null, v7, s30, 0
	v_and_b32_e32 v3, 3, v0
	s_addc_u32 s3, s25, s7
	s_mul_i32 s4, s30, s31
	s_load_b64 s[2:3], s[2:3], 0x0
	s_mul_hi_u32 s9, s30, s30
	s_load_b32 s5, s[0:1], 0x0
	s_delay_alu instid0(VALU_DEP_2)
	v_mov_b32_e32 v4, v6
	v_lshrrev_b32_e32 v1, 4, v0
	v_cmp_lt_i64_e64 s24, s[40:41], s[52:53]
	s_mov_b32 s58, s19
	v_and_b32_e32 v38, 12, v0
	v_mad_u64_u32 v[9:10], null, v7, s31, v[4:5]
	v_mad_u64_u32 v[10:11], null, v3, s30, 0
	v_and_b32_e32 v16, 15, v0
	v_mov_b32_e32 v4, v2
	v_cmp_gt_u32_e64 s0, 64, v0
	v_cmp_eq_u32_e64 s1, 0, v0
	v_mov_b32_e32 v6, v9
	v_or_b32_e32 v36, 0x2000, v35
	v_mov_b32_e32 v9, v11
	v_lshl_or_b32 v43, v0, 2, 0x2800
	s_waitcnt lgkmcnt(0)
	s_sub_u32 s10, s2, s18
	v_lshlrev_b64 v[12:13], 3, v[5:6]
	s_subb_u32 s11, s3, 0
	v_mad_u64_u32 v[5:6], null, v3, s31, v[9:10]
	v_mov_b32_e32 v8, v2
	s_add_i32 s2, s9, s4
	v_lshl_or_b32 v55, v1, 2, 0x2800
	s_add_i32 s45, s2, s4
	v_add_co_u32 v14, s2, s48, v12
	s_delay_alu instid0(VALU_DEP_4)
	v_mov_b32_e32 v11, v5
	v_add_co_ci_u32_e64 v15, s2, s49, v13, s2
	v_lshlrev_b32_e32 v5, 3, v3
	v_cmp_gt_i64_e64 s3, s[30:31], v[3:4]
	v_cmp_gt_i64_e64 s2, s[30:31], v[7:8]
	v_lshlrev_b64 v[9:10], 3, v[10:11]
	v_cmp_gt_u64_e32 vcc_lo, s[30:31], v[7:8]
	v_add_co_u32 v4, s4, v14, v5
	s_delay_alu instid0(VALU_DEP_1) | instskip(SKIP_3) | instid1(VALU_DEP_1)
	v_add_co_ci_u32_e64 v37, s4, 0, v15, s4
	s_and_b32 s56, s3, s2
	v_lshlrev_b64 v[14:15], 3, v[7:8]
	v_add_co_u32 v8, s2, s12, v9
	v_add_co_ci_u32_e64 v11, s2, s13, v10, s2
	v_add_co_u32 v17, s2, s12, v12
	s_delay_alu instid0(VALU_DEP_1) | instskip(NEXT) | instid1(VALU_DEP_4)
	v_add_co_ci_u32_e64 v18, s2, s13, v13, s2
	v_add_co_u32 v8, s2, v8, v14
	s_delay_alu instid0(VALU_DEP_1) | instskip(NEXT) | instid1(VALU_DEP_4)
	v_add_co_ci_u32_e64 v11, s2, v11, v15, s2
	v_add_co_u32 v17, s2, v17, v5
	s_delay_alu instid0(VALU_DEP_1) | instskip(SKIP_1) | instid1(VALU_DEP_1)
	v_add_co_ci_u32_e64 v18, s2, 0, v18, s2
	v_add_co_u32 v9, s2, s22, v9
	v_add_co_ci_u32_e64 v10, s2, s23, v10, s2
	v_sub_co_u32 v39, s2, v1, s19
	s_delay_alu instid0(VALU_DEP_1) | instskip(NEXT) | instid1(VALU_DEP_4)
	v_sub_co_ci_u32_e64 v40, null, 0, 0, s2
	v_add_co_u32 v9, s2, v9, v14
	s_delay_alu instid0(VALU_DEP_1) | instskip(SKIP_1) | instid1(VALU_DEP_1)
	v_add_co_ci_u32_e64 v10, s2, v10, v15, s2
	v_add_co_u32 v12, s2, s22, v12
	v_add_co_ci_u32_e64 v13, s2, s23, v13, s2
	s_cmp_eq_u32 s5, 0
	s_delay_alu instid0(VALU_DEP_2) | instskip(NEXT) | instid1(VALU_DEP_1)
	v_add_co_u32 v12, s2, v12, v5
	v_add_co_ci_u32_e64 v13, s2, 0, v13, s2
	s_cselect_b32 s9, -1, 0
	s_cmp_lg_u32 s5, 0
	v_lshlrev_b32_e32 v7, 3, v7
	v_and_b32_e32 v14, 63, v0
	s_cselect_b32 s57, -1, 0
	s_add_u32 s12, s42, s6
	v_cndmask_b32_e64 v9, v9, v12, s9
	s_addc_u32 s13, s43, s7
	s_and_b32 s59, s8, s24
	s_and_b32 s60, s3, vcc_lo
	v_cndmask_b32_e64 v49, v11, v18, s9
	v_cndmask_b32_e64 v50, v8, v17, s9
	v_mov_b32_e32 v17, 64
	v_cndmask_b32_e64 v10, v10, v13, s9
	s_add_u32 s61, s50, 8
	s_addc_u32 s62, s51, 0
	v_mov_b32_e32 v18, 0
	v_lshl_or_b32 v7, v1, 7, v7
	v_lshlrev_b32_e32 v15, 2, v14
	s_add_u32 s63, s26, -8
	v_add_co_u32 v19, s19, v14, -1
	s_addc_u32 s64, s27, -1
	v_add_co_u32 v9, vcc_lo, v9, 4
	s_add_u32 s22, s38, 4
	v_add_co_ci_u32_e32 v10, vcc_lo, 0, v10, vcc_lo
	s_addc_u32 s23, s39, 0
	v_dual_mov_b32 v12, s11 :: v_dual_add_nc_u32 v51, 0x2000, v7
	s_movk_i32 s9, 0x7e0
	v_add_co_u32 v7, s24, s22, v5
	v_add_co_u32 v53, vcc_lo, v39, 16
	v_dual_mov_b32 v6, v2 :: v_dual_add_nc_u32 v45, 0x27f0, v15
	v_cmp_eq_u32_e64 s2, 15, v16
	v_or_b32_e32 v41, 0x2800, v15
	v_dual_mov_b32 v11, s10 :: v_dual_add_nc_u32 v44, 0x27f8, v15
	v_dual_mov_b32 v13, v2 :: v_dual_add_nc_u32 v46, 0x27e0, v15
	v_add_nc_u32_e32 v47, 0x27c0, v15
	v_dual_mov_b32 v15, 0 :: v_dual_add_nc_u32 v48, 0x2780, v15
	v_mov_b32_e32 v16, 0
	v_lshl_add_u32 v42, v19, 2, 0x2800
	v_cmp_ne_u32_e64 s3, 0, v14
	v_cmp_lt_u32_e64 s4, 1, v14
	v_cmp_lt_u32_e64 s5, 3, v14
	;; [unrolled: 1-line block ×5, first 2 shown]
	v_or_b32_e32 v0, 0xffffff00, v0
	v_add_co_ci_u32_e64 v8, null, s23, 0, s24
	v_and_or_b32 v52, v35, s9, 0x2000
	v_add_co_ci_u32_e32 v54, vcc_lo, 0, v40, vcc_lo
	v_mov_b32_e32 v56, 1
	v_mov_b32_e32 v14, v2
	s_mul_i32 s44, s30, s30
	s_lshl_b64 s[38:39], s[30:31], 3
	s_lshl_b64 s[42:43], s[44:45], 3
	s_lshl_b64 s[48:49], s[44:45], 7
	s_branch .LBB138_20
.LBB138_19:                             ;   in Loop: Header=BB138_20 Depth=1
	s_or_b32 exec_lo, exec_lo, s9
	s_waitcnt_vscnt null, 0x0
	s_barrier
	buffer_gl0_inv
	ds_load_b64 v[15:16], v2 offset:10496
	v_ashrrev_i32_e32 v17, 31, v18
	v_add_co_u32 v11, vcc_lo, v11, v18
	s_waitcnt lgkmcnt(0)
	s_barrier
	s_delay_alu instid0(VALU_DEP_2) | instskip(SKIP_3) | instid1(VALU_DEP_1)
	v_add_co_ci_u32_e32 v12, vcc_lo, v12, v17, vcc_lo
	buffer_gl0_inv
	v_cmp_le_i64_e32 vcc_lo, s[28:29], v[15:16]
	v_add_co_u32 v17, s9, v15, 64
	v_add_co_ci_u32_e64 v18, s9, 0, v16, s9
	s_cbranch_vccnz .LBB138_100
.LBB138_20:                             ; =>This Loop Header: Depth=1
                                        ;     Child Loop BB138_23 Depth 2
                                        ;     Child Loop BB138_29 Depth 2
                                        ;       Child Loop BB138_45 Depth 3
                                        ;         Child Loop BB138_57 Depth 4
                                        ;         Child Loop BB138_53 Depth 4
                                        ;     Child Loop BB138_67 Depth 2
                                        ;     Child Loop BB138_76 Depth 2
	;; [unrolled: 1-line block ×3, first 2 shown]
	s_and_saveexec_b32 s9, s0
	s_cbranch_execz .LBB138_22
; %bb.21:                               ;   in Loop: Header=BB138_20 Depth=1
	ds_store_b32 v43, v2
.LBB138_22:                             ;   in Loop: Header=BB138_20 Depth=1
	s_or_b32 exec_lo, exec_lo, s9
	v_dual_mov_b32 v19, v35 :: v_dual_mov_b32 v20, v0
	s_mov_b32 s9, 0
.LBB138_23:                             ;   Parent Loop BB138_20 Depth=1
                                        ; =>  This Inner Loop Header: Depth=2
	s_delay_alu instid0(VALU_DEP_1) | instskip(SKIP_4) | instid1(SALU_CYCLE_1)
	v_add_nc_u32_e32 v20, 0x100, v20
	ds_store_b64 v19, v[13:14]
	v_add_nc_u32_e32 v19, 0x800, v19
	v_cmp_lt_u32_e32 vcc_lo, 0x2ff, v20
	s_or_b32 s9, vcc_lo, s9
	s_and_not1_b32 exec_lo, exec_lo, s9
	s_cbranch_execnz .LBB138_23
; %bb.24:                               ;   in Loop: Header=BB138_20 Depth=1
	s_or_b32 exec_lo, exec_lo, s9
	s_and_saveexec_b32 s9, s1
	s_cbranch_execz .LBB138_26
; %bb.25:                               ;   in Loop: Header=BB138_20 Depth=1
	v_dual_mov_b32 v19, s28 :: v_dual_mov_b32 v20, s29
	ds_store_b64 v2, v[19:20] offset:10496
.LBB138_26:                             ;   in Loop: Header=BB138_20 Depth=1
	s_or_b32 exec_lo, exec_lo, s9
	v_dual_mov_b32 v19, s28 :: v_dual_mov_b32 v20, s29
	s_and_not1_b32 vcc_lo, exec_lo, s59
	s_waitcnt lgkmcnt(0)
	s_barrier
	buffer_gl0_inv
	s_cbranch_vccnz .LBB138_62
; %bb.27:                               ;   in Loop: Header=BB138_20 Depth=1
	v_cmp_ne_u64_e64 s9, 0, v[15:16]
	v_dual_mov_b32 v19, s28 :: v_dual_mov_b32 v20, s29
	s_mov_b64 s[24:25], s[40:41]
	s_branch .LBB138_29
.LBB138_28:                             ;   in Loop: Header=BB138_29 Depth=2
	s_or_b32 exec_lo, exec_lo, s11
	s_add_u32 s24, s24, 16
	s_addc_u32 s25, s25, 0
	s_delay_alu instid0(SALU_CYCLE_1) | instskip(NEXT) | instid1(VALU_DEP_1)
	v_cmp_lt_i64_e64 s10, s[24:25], s[52:53]
	s_and_b32 vcc_lo, exec_lo, s10
	s_cbranch_vccz .LBB138_62
.LBB138_29:                             ;   Parent Loop BB138_20 Depth=1
                                        ; =>  This Loop Header: Depth=2
                                        ;       Child Loop BB138_45 Depth 3
                                        ;         Child Loop BB138_57 Depth 4
                                        ;         Child Loop BB138_53 Depth 4
	v_add_co_u32 v21, s10, s24, v1
	s_delay_alu instid0(VALU_DEP_1) | instskip(NEXT) | instid1(VALU_DEP_1)
	v_add_co_ci_u32_e64 v22, null, s25, 0, s10
	s_waitcnt_vscnt null, 0x0
	s_barrier
	buffer_gl0_inv
	v_cmp_gt_i64_e64 s10, s[52:53], v[21:22]
	s_delay_alu instid0(VALU_DEP_1)
	s_and_saveexec_b32 s11, s10
	s_cbranch_execz .LBB138_34
; %bb.30:                               ;   in Loop: Header=BB138_29 Depth=2
	s_and_saveexec_b32 s26, s60
	s_delay_alu instid0(SALU_CYCLE_1)
	s_xor_b32 s26, exec_lo, s26
	s_cbranch_execz .LBB138_32
; %bb.31:                               ;   in Loop: Header=BB138_29 Depth=2
	v_mul_lo_u32 v25, v22, s44
	v_mul_lo_u32 v26, v21, s45
	v_mad_u64_u32 v[23:24], null, v21, s44, 0
	s_delay_alu instid0(VALU_DEP_1) | instskip(NEXT) | instid1(VALU_DEP_1)
	v_add3_u32 v24, v24, v26, v25
	v_lshlrev_b64 v[23:24], 3, v[23:24]
	s_delay_alu instid0(VALU_DEP_1) | instskip(NEXT) | instid1(VALU_DEP_2)
	v_add_co_u32 v23, vcc_lo, v4, v23
	v_add_co_ci_u32_e32 v24, vcc_lo, v37, v24, vcc_lo
	global_load_b64 v[23:24], v[23:24], off
	s_waitcnt vmcnt(0)
	ds_store_b64 v36, v[23:24]
.LBB138_32:                             ;   in Loop: Header=BB138_29 Depth=2
	s_and_not1_saveexec_b32 s26, s26
	s_cbranch_execz .LBB138_34
; %bb.33:                               ;   in Loop: Header=BB138_29 Depth=2
	ds_store_b64 v36, v[13:14]
.LBB138_34:                             ;   in Loop: Header=BB138_29 Depth=2
	s_or_b32 exec_lo, exec_lo, s11
	v_mov_b32_e32 v23, 0
	v_lshlrev_b64 v[21:22], 3, v[21:22]
	v_mov_b32_e32 v24, 0
	s_waitcnt lgkmcnt(0)
	s_barrier
	buffer_gl0_inv
	s_and_saveexec_b32 s65, s10
	s_cbranch_execz .LBB138_60
; %bb.35:                               ;   in Loop: Header=BB138_29 Depth=2
	v_add_co_u32 v23, vcc_lo, s46, v21
	v_add_co_ci_u32_e32 v24, vcc_lo, s47, v22, vcc_lo
	s_and_b32 vcc_lo, exec_lo, s9
	global_load_b64 v[25:26], v[23:24], off
	s_cbranch_vccz .LBB138_37
; %bb.36:                               ;   in Loop: Header=BB138_29 Depth=2
	v_add_co_u32 v23, vcc_lo, s14, v21
	v_add_co_ci_u32_e32 v24, vcc_lo, s15, v22, vcc_lo
	s_mov_b32 s11, 0
	global_load_b64 v[23:24], v[23:24], off
	s_branch .LBB138_38
.LBB138_37:                             ;   in Loop: Header=BB138_29 Depth=2
	s_mov_b32 s11, -1
                                        ; implicit-def: $vgpr23_vgpr24
.LBB138_38:                             ;   in Loop: Header=BB138_29 Depth=2
	s_waitcnt vmcnt(0)
	v_sub_co_u32 v25, vcc_lo, v25, s16
	v_subrev_co_ci_u32_e32 v26, vcc_lo, 0, v26, vcc_lo
	s_and_not1_b32 vcc_lo, exec_lo, s11
	s_delay_alu instid0(VALU_DEP_1)
	v_lshlrev_b64 v[25:26], 3, v[25:26]
	s_cbranch_vccnz .LBB138_40
; %bb.39:                               ;   in Loop: Header=BB138_29 Depth=2
	s_delay_alu instid0(VALU_DEP_1) | instskip(NEXT) | instid1(VALU_DEP_2)
	v_add_co_u32 v23, vcc_lo, s50, v25
	v_add_co_ci_u32_e32 v24, vcc_lo, s51, v26, vcc_lo
	global_load_b64 v[23:24], v[23:24], off
	s_waitcnt vmcnt(0)
	v_sub_co_u32 v23, vcc_lo, v23, s17
	v_subrev_co_ci_u32_e32 v24, vcc_lo, 0, v24, vcc_lo
.LBB138_40:                             ;   in Loop: Header=BB138_29 Depth=2
	s_delay_alu instid0(VALU_DEP_1) | instskip(NEXT) | instid1(VALU_DEP_2)
	v_add_co_u32 v25, vcc_lo, s61, v25
	v_add_co_ci_u32_e32 v26, vcc_lo, s62, v26, vcc_lo
	s_mov_b32 s66, exec_lo
	global_load_b64 v[25:26], v[25:26], off
	s_waitcnt vmcnt(0)
	v_sub_co_u32 v25, vcc_lo, v25, s17
	v_subrev_co_ci_u32_e32 v26, vcc_lo, 0, v26, vcc_lo
	s_delay_alu instid0(VALU_DEP_1)
	v_cmpx_lt_i64_e64 v[23:24], v[25:26]
	s_cbranch_execz .LBB138_59
; %bb.41:                               ;   in Loop: Header=BB138_29 Depth=2
	v_mad_u64_u32 v[31:32], null, s38, v23, v[5:6]
	v_mul_lo_u32 v29, s38, v24
	v_mul_lo_u32 v30, s39, v23
	v_mad_u64_u32 v[27:28], null, s42, v23, v[7:8]
	v_mul_lo_u32 v33, s42, v24
	v_mul_lo_u32 v34, s43, v23
	v_mul_lo_u32 v57, s31, v31
	s_mov_b32 s67, 0
	v_add3_u32 v32, v30, v32, v29
	v_mad_u64_u32 v[29:30], null, s30, v31, s[22:23]
	s_delay_alu instid0(VALU_DEP_4) | instskip(NEXT) | instid1(VALU_DEP_3)
	v_add3_u32 v28, v34, v28, v33
	v_mul_lo_u32 v31, s30, v32
	s_delay_alu instid0(VALU_DEP_1)
	v_add3_u32 v30, v57, v30, v31
	v_dual_mov_b32 v32, v24 :: v_dual_mov_b32 v31, v23
	s_branch .LBB138_45
.LBB138_42:                             ;   in Loop: Header=BB138_45 Depth=3
	s_delay_alu instid0(VALU_DEP_1) | instskip(SKIP_1) | instid1(VALU_DEP_2)
	v_mul_f32_e64 v34, v59, -s35
	v_lshlrev_b32_e32 v33, 4, v57
	v_dual_mul_f32 v57, s33, v59 :: v_dual_fmac_f32 v34, s33, v58
	s_delay_alu instid0(VALU_DEP_2) | instskip(NEXT) | instid1(VALU_DEP_2)
	v_or3_b32 v33, v33, v38, v3
	v_fmac_f32_e32 v57, s35, v58
	s_delay_alu instid0(VALU_DEP_2)
	v_lshlrev_b32_e32 v33, 3, v33
	ds_add_f32 v33, v34
	ds_add_f32 v33, v57 offset:4
.LBB138_43:                             ;   in Loop: Header=BB138_45 Depth=3
	s_or_b32 exec_lo, exec_lo, s69
	s_delay_alu instid0(SALU_CYCLE_1)
	s_or_b32 s11, s11, exec_lo
.LBB138_44:                             ;   in Loop: Header=BB138_45 Depth=3
	s_or_b32 exec_lo, exec_lo, s68
	v_add_co_u32 v31, vcc_lo, v31, 1
	v_add_co_ci_u32_e32 v32, vcc_lo, 0, v32, vcc_lo
	s_xor_b32 s26, s11, -1
	v_add_co_u32 v29, s11, v29, s42
	s_delay_alu instid0(VALU_DEP_2)
	v_cmp_ge_i64_e32 vcc_lo, v[31:32], v[25:26]
	v_add_co_ci_u32_e64 v30, s11, s43, v30, s11
	s_or_b32 s11, s26, vcc_lo
	v_add_co_u32 v27, vcc_lo, v27, s42
	v_add_co_ci_u32_e32 v28, vcc_lo, s43, v28, vcc_lo
	s_and_b32 s11, exec_lo, s11
	s_delay_alu instid0(SALU_CYCLE_1) | instskip(NEXT) | instid1(SALU_CYCLE_1)
	s_or_b32 s67, s11, s67
	s_and_not1_b32 exec_lo, exec_lo, s67
	s_cbranch_execz .LBB138_58
.LBB138_45:                             ;   Parent Loop BB138_20 Depth=1
                                        ;     Parent Loop BB138_29 Depth=2
                                        ; =>    This Loop Header: Depth=3
                                        ;         Child Loop BB138_57 Depth 4
                                        ;         Child Loop BB138_53 Depth 4
	s_delay_alu instid0(VALU_DEP_1) | instskip(NEXT) | instid1(VALU_DEP_1)
	v_lshlrev_b64 v[33:34], 3, v[31:32]
	v_add_co_u32 v33, vcc_lo, s36, v33
	s_delay_alu instid0(VALU_DEP_2) | instskip(SKIP_4) | instid1(VALU_DEP_1)
	v_add_co_ci_u32_e32 v34, vcc_lo, s37, v34, vcc_lo
	global_load_b64 v[33:34], v[33:34], off
	s_waitcnt vmcnt(0)
	v_sub_co_u32 v33, vcc_lo, v33, s17
	v_subrev_co_ci_u32_e32 v34, vcc_lo, 0, v34, vcc_lo
	v_cmp_lt_i64_e64 s11, v[33:34], v[15:16]
	v_cmp_ge_i64_e32 vcc_lo, v[33:34], v[17:18]
	s_delay_alu instid0(VALU_DEP_2) | instskip(NEXT) | instid1(SALU_CYCLE_1)
	s_or_b32 s26, s11, vcc_lo
                                        ; implicit-def: $sgpr11
	s_and_saveexec_b32 s27, s26
	s_delay_alu instid0(SALU_CYCLE_1)
	s_xor_b32 s26, exec_lo, s27
	s_cbranch_execz .LBB138_49
; %bb.46:                               ;   in Loop: Header=BB138_45 Depth=3
	s_mov_b32 s27, -1
	s_and_saveexec_b32 s11, vcc_lo
; %bb.47:                               ;   in Loop: Header=BB138_45 Depth=3
	v_cmp_lt_i64_e32 vcc_lo, v[33:34], v[19:20]
	v_dual_mov_b32 v23, v31 :: v_dual_mov_b32 v24, v32
	s_xor_b32 s27, exec_lo, -1
	v_dual_cndmask_b32 v20, v20, v34 :: v_dual_cndmask_b32 v19, v19, v33
; %bb.48:                               ;   in Loop: Header=BB138_45 Depth=3
	s_or_b32 exec_lo, exec_lo, s11
	s_delay_alu instid0(SALU_CYCLE_1)
	s_and_b32 s11, s27, exec_lo
                                        ; implicit-def: $vgpr33_vgpr34
.LBB138_49:                             ;   in Loop: Header=BB138_45 Depth=3
	s_and_not1_saveexec_b32 s68, s26
	s_cbranch_execz .LBB138_44
; %bb.50:                               ;   in Loop: Header=BB138_45 Depth=3
	v_sub_nc_u32_e32 v57, v33, v15
	s_delay_alu instid0(VALU_DEP_1)
	v_lshlrev_b32_e32 v33, 2, v57
	ds_store_b32 v33, v56 offset:10240
	s_and_saveexec_b32 s69, s56
	s_cbranch_execz .LBB138_43
; %bb.51:                               ;   in Loop: Header=BB138_45 Depth=3
	s_and_not1_b32 vcc_lo, exec_lo, s57
	s_cbranch_vccnz .LBB138_55
; %bb.52:                               ;   in Loop: Header=BB138_45 Depth=3
	v_mov_b32_e32 v34, v30
	v_dual_mov_b32 v58, 0 :: v_dual_mov_b32 v33, v29
	v_dual_mov_b32 v60, v51 :: v_dual_mov_b32 v59, 0
	s_mov_b64 s[26:27], s[30:31]
	.p2align	6
.LBB138_53:                             ;   Parent Loop BB138_20 Depth=1
                                        ;     Parent Loop BB138_29 Depth=2
                                        ;       Parent Loop BB138_45 Depth=3
                                        ; =>      This Inner Loop Header: Depth=4
	global_load_b64 v[61:62], v[33:34], off offset:-4
	ds_load_b64 v[63:64], v60
	v_add_co_u32 v33, vcc_lo, v33, 8
	v_add_co_ci_u32_e32 v34, vcc_lo, 0, v34, vcc_lo
	s_add_u32 s26, s26, -1
	s_addc_u32 s27, s27, -1
	v_add_nc_u32_e32 v60, 32, v60
	s_cmp_lg_u64 s[26:27], 0
	s_waitcnt vmcnt(0) lgkmcnt(0)
	v_fmac_f32_e32 v58, v63, v61
	v_fmac_f32_e32 v59, v64, v61
	s_delay_alu instid0(VALU_DEP_2) | instskip(NEXT) | instid1(VALU_DEP_2)
	v_fma_f32 v58, -v64, v62, v58
	v_fmac_f32_e32 v59, v63, v62
	s_cbranch_scc1 .LBB138_53
; %bb.54:                               ;   in Loop: Header=BB138_45 Depth=3
	s_branch .LBB138_42
.LBB138_55:                             ;   in Loop: Header=BB138_45 Depth=3
                                        ; implicit-def: $vgpr58
                                        ; implicit-def: $vgpr59
	s_cbranch_execz .LBB138_42
; %bb.56:                               ;   in Loop: Header=BB138_45 Depth=3
	v_mov_b32_e32 v34, v28
	v_dual_mov_b32 v58, 0 :: v_dual_mov_b32 v33, v27
	v_dual_mov_b32 v60, v52 :: v_dual_mov_b32 v59, 0
	s_mov_b64 s[26:27], s[30:31]
	.p2align	6
.LBB138_57:                             ;   Parent Loop BB138_20 Depth=1
                                        ;     Parent Loop BB138_29 Depth=2
                                        ;       Parent Loop BB138_45 Depth=3
                                        ; =>      This Inner Loop Header: Depth=4
	global_load_b64 v[61:62], v[33:34], off offset:-4
	ds_load_b64 v[63:64], v60
	v_add_co_u32 v33, vcc_lo, v33, s38
	s_add_u32 s26, s26, -1
	v_add_co_ci_u32_e32 v34, vcc_lo, s39, v34, vcc_lo
	s_addc_u32 s27, s27, -1
	v_add_nc_u32_e32 v60, 8, v60
	s_cmp_eq_u64 s[26:27], 0
	s_waitcnt vmcnt(0) lgkmcnt(0)
	v_fmac_f32_e32 v58, v63, v61
	v_fmac_f32_e32 v59, v64, v61
	s_delay_alu instid0(VALU_DEP_2) | instskip(NEXT) | instid1(VALU_DEP_2)
	v_fma_f32 v58, -v64, v62, v58
	v_fmac_f32_e32 v59, v63, v62
	s_cbranch_scc0 .LBB138_57
	s_branch .LBB138_42
.LBB138_58:                             ;   in Loop: Header=BB138_29 Depth=2
	s_or_b32 exec_lo, exec_lo, s67
.LBB138_59:                             ;   in Loop: Header=BB138_29 Depth=2
	s_delay_alu instid0(SALU_CYCLE_1)
	s_or_b32 exec_lo, exec_lo, s66
.LBB138_60:                             ;   in Loop: Header=BB138_29 Depth=2
	s_delay_alu instid0(SALU_CYCLE_1)
	s_or_b32 exec_lo, exec_lo, s65
	s_waitcnt lgkmcnt(0)
	s_barrier
	buffer_gl0_inv
	s_and_saveexec_b32 s11, s10
	s_cbranch_execz .LBB138_28
; %bb.61:                               ;   in Loop: Header=BB138_29 Depth=2
	v_add_co_u32 v21, vcc_lo, s14, v21
	v_add_co_ci_u32_e32 v22, vcc_lo, s15, v22, vcc_lo
	global_store_b64 v[21:22], v[23:24], off
	s_branch .LBB138_28
.LBB138_62:                             ;   in Loop: Header=BB138_20 Depth=1
	s_and_not1_b32 vcc_lo, exec_lo, s34
	s_cbranch_vccnz .LBB138_74
; %bb.63:                               ;   in Loop: Header=BB138_20 Depth=1
	s_load_b128 s[24:27], s[12:13], 0x0
	s_waitcnt lgkmcnt(0)
	v_add_co_u32 v23, vcc_lo, s24, v39
	v_add_co_ci_u32_e32 v24, vcc_lo, s25, v40, vcc_lo
	s_sub_u32 s10, s26, s58
	s_subb_u32 s11, s27, 0
	s_mov_b32 s26, exec_lo
	s_delay_alu instid0(VALU_DEP_1)
	v_cmpx_gt_i64_e64 s[10:11], v[23:24]
	s_cbranch_execz .LBB138_73
; %bb.64:                               ;   in Loop: Header=BB138_20 Depth=1
	v_lshlrev_b64 v[25:26], 3, v[23:24]
	v_mad_u64_u32 v[21:22], null, s42, v23, v[9:10]
	v_mul_lo_u32 v27, s42, v24
	v_mul_lo_u32 v28, s43, v23
	s_delay_alu instid0(VALU_DEP_4) | instskip(SKIP_2) | instid1(VALU_DEP_4)
	v_add_co_u32 v23, vcc_lo, s20, v25
	v_add_co_ci_u32_e32 v24, vcc_lo, s21, v26, vcc_lo
	v_add_co_u32 v25, vcc_lo, v53, s24
	v_add3_u32 v22, v28, v22, v27
	v_add_co_ci_u32_e32 v26, vcc_lo, s25, v54, vcc_lo
	s_mov_b32 s24, 0
	s_branch .LBB138_67
.LBB138_65:                             ;   in Loop: Header=BB138_67 Depth=2
	s_or_b32 exec_lo, exec_lo, s27
	s_delay_alu instid0(SALU_CYCLE_1)
	s_or_b32 s9, s9, exec_lo
.LBB138_66:                             ;   in Loop: Header=BB138_67 Depth=2
	s_or_b32 exec_lo, exec_lo, s25
	v_cmp_le_i64_e32 vcc_lo, s[10:11], v[25:26]
	s_xor_b32 s25, s9, -1
	v_add_co_u32 v23, s9, 0x80, v23
	s_delay_alu instid0(VALU_DEP_1)
	v_add_co_ci_u32_e64 v24, s9, 0, v24, s9
	s_or_b32 s9, s25, vcc_lo
	v_add_co_u32 v21, vcc_lo, v21, s48
	v_add_co_ci_u32_e32 v22, vcc_lo, s49, v22, vcc_lo
	v_add_co_u32 v25, vcc_lo, v25, 16
	v_add_co_ci_u32_e32 v26, vcc_lo, 0, v26, vcc_lo
	s_and_b32 s9, exec_lo, s9
	s_delay_alu instid0(SALU_CYCLE_1) | instskip(NEXT) | instid1(SALU_CYCLE_1)
	s_or_b32 s24, s9, s24
	s_and_not1_b32 exec_lo, exec_lo, s24
	s_cbranch_execz .LBB138_72
.LBB138_67:                             ;   Parent Loop BB138_20 Depth=1
                                        ; =>  This Inner Loop Header: Depth=2
	global_load_b64 v[27:28], v[23:24], off
	s_waitcnt vmcnt(0)
	v_sub_co_u32 v27, vcc_lo, v27, s58
	v_subrev_co_ci_u32_e32 v28, vcc_lo, 0, v28, vcc_lo
	s_delay_alu instid0(VALU_DEP_1)
	v_cmp_lt_i64_e32 vcc_lo, v[27:28], v[17:18]
	v_cmp_lt_i64_e64 s9, v[27:28], v[15:16]
	s_xor_b32 s25, vcc_lo, -1
	s_delay_alu instid0(VALU_DEP_1) | instid1(SALU_CYCLE_1)
	s_or_b32 s25, s9, s25
                                        ; implicit-def: $sgpr9
	s_delay_alu instid0(SALU_CYCLE_1) | instskip(NEXT) | instid1(SALU_CYCLE_1)
	s_and_saveexec_b32 s27, s25
	s_xor_b32 s25, exec_lo, s27
; %bb.68:                               ;   in Loop: Header=BB138_67 Depth=2
	v_cmp_lt_i64_e64 s9, v[27:28], v[19:20]
	s_delay_alu instid0(VALU_DEP_1) | instskip(SKIP_2) | instid1(VALU_DEP_1)
	v_cndmask_b32_e64 v27, v19, v27, s9
	v_cndmask_b32_e64 v28, v20, v28, s9
	s_and_b32 s9, vcc_lo, exec_lo
	v_dual_cndmask_b32 v19, v27, v19 :: v_dual_cndmask_b32 v20, v28, v20
                                        ; implicit-def: $vgpr27
; %bb.69:                               ;   in Loop: Header=BB138_67 Depth=2
	s_and_not1_saveexec_b32 s25, s25
	s_cbranch_execz .LBB138_66
; %bb.70:                               ;   in Loop: Header=BB138_67 Depth=2
	v_sub_nc_u32_e32 v27, v27, v15
	s_delay_alu instid0(VALU_DEP_1)
	v_lshlrev_b32_e32 v28, 2, v27
	ds_store_b32 v28, v56 offset:10240
	s_and_saveexec_b32 s27, s60
	s_cbranch_execz .LBB138_65
; %bb.71:                               ;   in Loop: Header=BB138_67 Depth=2
	global_load_b64 v[28:29], v[21:22], off offset:-4
	s_waitcnt vmcnt(0)
	v_mul_f32_e64 v30, v29, -s55
	v_lshlrev_b32_e32 v27, 4, v27
	s_delay_alu instid0(VALU_DEP_2) | instskip(NEXT) | instid1(VALU_DEP_2)
	v_dual_mul_f32 v29, s54, v29 :: v_dual_fmac_f32 v30, s54, v28
	v_or3_b32 v27, v27, v38, v3
	s_delay_alu instid0(VALU_DEP_2) | instskip(NEXT) | instid1(VALU_DEP_2)
	v_fmac_f32_e32 v29, s55, v28
	v_lshlrev_b32_e32 v27, 3, v27
	ds_add_f32 v27, v30
	ds_add_f32 v27, v29 offset:4
	s_branch .LBB138_65
.LBB138_72:                             ;   in Loop: Header=BB138_20 Depth=1
	s_or_b32 exec_lo, exec_lo, s24
.LBB138_73:                             ;   in Loop: Header=BB138_20 Depth=1
	s_delay_alu instid0(SALU_CYCLE_1)
	s_or_b32 exec_lo, exec_lo, s26
.LBB138_74:                             ;   in Loop: Header=BB138_20 Depth=1
	s_and_saveexec_b32 s9, s2
	s_cbranch_execz .LBB138_79
; %bb.75:                               ;   in Loop: Header=BB138_20 Depth=1
	s_mov_b32 s24, exec_lo
	s_mov_b64 s[10:11], -1
.LBB138_76:                             ;   Parent Loop BB138_20 Depth=1
                                        ; =>  This Inner Loop Header: Depth=2
	s_ctz_i32_b32 s25, s24
	s_delay_alu instid0(SALU_CYCLE_1) | instskip(SKIP_1) | instid1(VALU_DEP_1)
	v_readlane_b32 s27, v20, s25
	v_readlane_b32 s26, v19, s25
	v_cmp_lt_u64_e64 s65, s[10:11], s[26:27]
	s_delay_alu instid0(VALU_DEP_1) | instskip(SKIP_3) | instid1(SALU_CYCLE_1)
	s_and_b32 s65, s65, exec_lo
	s_cselect_b32 s11, s11, s27
	s_cselect_b32 s10, s10, s26
	s_lshl_b32 s25, 1, s25
	s_and_not1_b32 s24, s24, s25
	s_delay_alu instid0(SALU_CYCLE_1)
	s_cmp_lg_u32 s24, 0
	s_cbranch_scc1 .LBB138_76
; %bb.77:                               ;   in Loop: Header=BB138_20 Depth=1
	v_mbcnt_lo_u32_b32 v17, exec_lo, 0
	s_mov_b32 s24, exec_lo
	s_delay_alu instid0(VALU_DEP_1)
	v_cmpx_eq_u32_e32 0, v17
	s_xor_b32 s24, exec_lo, s24
	s_cbranch_execz .LBB138_79
; %bb.78:                               ;   in Loop: Header=BB138_20 Depth=1
	v_dual_mov_b32 v18, s11 :: v_dual_mov_b32 v17, s10
	ds_min_u64 v2, v[17:18] offset:10496
.LBB138_79:                             ;   in Loop: Header=BB138_20 Depth=1
	s_or_b32 exec_lo, exec_lo, s9
	s_waitcnt lgkmcnt(0)
	s_waitcnt_vscnt null, 0x0
	s_barrier
	buffer_gl0_inv
	ds_load_b32 v17, v41
	s_waitcnt lgkmcnt(0)
	s_barrier
	buffer_gl0_inv
	s_and_saveexec_b32 s9, s3
	s_cbranch_execz .LBB138_81
; %bb.80:                               ;   in Loop: Header=BB138_20 Depth=1
	ds_load_b32 v18, v42
	s_waitcnt lgkmcnt(0)
	v_add_nc_u32_e32 v17, v18, v17
.LBB138_81:                             ;   in Loop: Header=BB138_20 Depth=1
	s_or_b32 exec_lo, exec_lo, s9
	s_barrier
	buffer_gl0_inv
	ds_store_b32 v41, v17
	s_waitcnt lgkmcnt(0)
	s_barrier
	buffer_gl0_inv
	s_and_saveexec_b32 s9, s4
	s_cbranch_execz .LBB138_83
; %bb.82:                               ;   in Loop: Header=BB138_20 Depth=1
	ds_load_b32 v18, v44
	s_waitcnt lgkmcnt(0)
	v_add_nc_u32_e32 v17, v18, v17
.LBB138_83:                             ;   in Loop: Header=BB138_20 Depth=1
	s_or_b32 exec_lo, exec_lo, s9
	s_barrier
	buffer_gl0_inv
	ds_store_b32 v41, v17
	;; [unrolled: 14-line block ×6, first 2 shown]
	s_waitcnt lgkmcnt(0)
	s_barrier
	buffer_gl0_inv
	ds_load_b32 v18, v2 offset:10492
	v_mov_b32_e32 v19, 0
	s_and_saveexec_b32 s9, s19
	s_cbranch_execz .LBB138_93
; %bb.92:                               ;   in Loop: Header=BB138_20 Depth=1
	ds_load_b32 v19, v42
.LBB138_93:                             ;   in Loop: Header=BB138_20 Depth=1
	s_or_b32 exec_lo, exec_lo, s9
	s_waitcnt lgkmcnt(0)
	v_cmp_eq_u32_e32 vcc_lo, v17, v19
	s_barrier
	buffer_gl0_inv
	s_and_b32 s10, s19, vcc_lo
	s_delay_alu instid0(SALU_CYCLE_1)
	s_and_saveexec_b32 s9, s10
	s_cbranch_execz .LBB138_95
; %bb.94:                               ;   in Loop: Header=BB138_20 Depth=1
	ds_store_b32 v41, v2
.LBB138_95:                             ;   in Loop: Header=BB138_20 Depth=1
	s_or_b32 exec_lo, exec_lo, s9
	v_add_co_u32 v17, vcc_lo, v11, -1
	v_add_co_ci_u32_e32 v19, vcc_lo, -1, v12, vcc_lo
	v_add_co_u32 v20, vcc_lo, s18, v15
	v_add_co_ci_u32_e32 v21, vcc_lo, 0, v16, vcc_lo
	v_dual_mov_b32 v23, v35 :: v_dual_mov_b32 v16, v2
	v_dual_mov_b32 v22, v55 :: v_dual_mov_b32 v15, v1
	s_mov_b32 s9, 0
	s_waitcnt lgkmcnt(0)
	s_barrier
	buffer_gl0_inv
	s_branch .LBB138_97
.LBB138_96:                             ;   in Loop: Header=BB138_97 Depth=2
	s_or_b32 exec_lo, exec_lo, s10
	v_add_co_u32 v15, vcc_lo, v15, 16
	v_add_co_ci_u32_e32 v16, vcc_lo, 0, v16, vcc_lo
	v_add_nc_u32_e32 v23, 0x800, v23
	s_delay_alu instid0(VALU_DEP_3) | instskip(SKIP_1) | instid1(VALU_DEP_2)
	v_add_nc_u32_e32 v24, -16, v15
	v_add_nc_u32_e32 v22, 64, v22
	v_cmp_lt_u32_e32 vcc_lo, 47, v24
	s_or_b32 s9, vcc_lo, s9
	s_delay_alu instid0(SALU_CYCLE_1)
	s_and_not1_b32 exec_lo, exec_lo, s9
	s_cbranch_execz .LBB138_19
.LBB138_97:                             ;   Parent Loop BB138_20 Depth=1
                                        ; =>  This Inner Loop Header: Depth=2
	ds_load_b32 v24, v22
	s_mov_b32 s10, exec_lo
	s_waitcnt lgkmcnt(0)
	v_cmpx_ne_u32_e32 0, v24
	s_cbranch_execz .LBB138_96
; %bb.98:                               ;   in Loop: Header=BB138_97 Depth=2
	v_ashrrev_i32_e32 v25, 31, v24
	v_add_co_u32 v26, vcc_lo, v11, v24
	s_delay_alu instid0(VALU_DEP_2) | instskip(SKIP_2) | instid1(VALU_DEP_3)
	v_add_co_ci_u32_e32 v27, vcc_lo, v12, v25, vcc_lo
	v_add_co_u32 v28, vcc_lo, v20, v15
	v_add_co_ci_u32_e32 v29, vcc_lo, v21, v16, vcc_lo
	v_lshlrev_b64 v[26:27], 3, v[26:27]
	s_delay_alu instid0(VALU_DEP_1) | instskip(NEXT) | instid1(VALU_DEP_2)
	v_add_co_u32 v26, vcc_lo, s63, v26
	v_add_co_ci_u32_e32 v27, vcc_lo, s64, v27, vcc_lo
	global_store_b64 v[26:27], v[28:29], off
	s_and_b32 exec_lo, exec_lo, s60
	s_cbranch_execz .LBB138_96
; %bb.99:                               ;   in Loop: Header=BB138_97 Depth=2
	v_add_co_u32 v26, vcc_lo, v17, v24
	v_add_co_ci_u32_e32 v24, vcc_lo, v19, v25, vcc_lo
	s_delay_alu instid0(VALU_DEP_2) | instskip(NEXT) | instid1(VALU_DEP_2)
	v_mul_lo_u32 v29, v26, s45
	v_mul_lo_u32 v28, v24, s44
	v_mad_u64_u32 v[24:25], null, v26, s44, 0
	ds_load_b64 v[26:27], v23
	v_add3_u32 v25, v25, v29, v28
	s_delay_alu instid0(VALU_DEP_1) | instskip(NEXT) | instid1(VALU_DEP_1)
	v_lshlrev_b64 v[24:25], 3, v[24:25]
	v_add_co_u32 v24, vcc_lo, v50, v24
	s_delay_alu instid0(VALU_DEP_2)
	v_add_co_ci_u32_e32 v25, vcc_lo, v49, v25, vcc_lo
	s_waitcnt lgkmcnt(0)
	global_store_b64 v[24:25], v[26:27], off
	s_branch .LBB138_96
.LBB138_100:
	s_endpgm
	.section	.rodata,"a",@progbits
	.p2align	6, 0x0
	.amdhsa_kernel _ZN9rocsparseL38bsrgemm_block_per_row_atomic_multipassILj256ELj64ELj4Ell21rocsparse_complex_numIfEEEv20rocsparse_direction_T3_S4_PKS4_S6_NS_24const_host_device_scalarIT4_EEPKT2_S6_PKS8_SC_S6_SE_S9_SC_S6_SE_SC_PS4_PS8_PSA_21rocsparse_index_base_SI_SI_SI_bbb
		.amdhsa_group_segment_fixed_size 10504
		.amdhsa_private_segment_fixed_size 0
		.amdhsa_kernarg_size 180
		.amdhsa_user_sgpr_count 15
		.amdhsa_user_sgpr_dispatch_ptr 0
		.amdhsa_user_sgpr_queue_ptr 0
		.amdhsa_user_sgpr_kernarg_segment_ptr 1
		.amdhsa_user_sgpr_dispatch_id 0
		.amdhsa_user_sgpr_private_segment_size 0
		.amdhsa_wavefront_size32 1
		.amdhsa_uses_dynamic_stack 0
		.amdhsa_enable_private_segment 0
		.amdhsa_system_sgpr_workgroup_id_x 1
		.amdhsa_system_sgpr_workgroup_id_y 0
		.amdhsa_system_sgpr_workgroup_id_z 0
		.amdhsa_system_sgpr_workgroup_info 0
		.amdhsa_system_vgpr_workitem_id 0
		.amdhsa_next_free_vgpr 65
		.amdhsa_next_free_sgpr 70
		.amdhsa_reserve_vcc 1
		.amdhsa_float_round_mode_32 0
		.amdhsa_float_round_mode_16_64 0
		.amdhsa_float_denorm_mode_32 3
		.amdhsa_float_denorm_mode_16_64 3
		.amdhsa_dx10_clamp 1
		.amdhsa_ieee_mode 1
		.amdhsa_fp16_overflow 0
		.amdhsa_workgroup_processor_mode 1
		.amdhsa_memory_ordered 1
		.amdhsa_forward_progress 0
		.amdhsa_shared_vgpr_count 0
		.amdhsa_exception_fp_ieee_invalid_op 0
		.amdhsa_exception_fp_denorm_src 0
		.amdhsa_exception_fp_ieee_div_zero 0
		.amdhsa_exception_fp_ieee_overflow 0
		.amdhsa_exception_fp_ieee_underflow 0
		.amdhsa_exception_fp_ieee_inexact 0
		.amdhsa_exception_int_div_zero 0
	.end_amdhsa_kernel
	.section	.text._ZN9rocsparseL38bsrgemm_block_per_row_atomic_multipassILj256ELj64ELj4Ell21rocsparse_complex_numIfEEEv20rocsparse_direction_T3_S4_PKS4_S6_NS_24const_host_device_scalarIT4_EEPKT2_S6_PKS8_SC_S6_SE_S9_SC_S6_SE_SC_PS4_PS8_PSA_21rocsparse_index_base_SI_SI_SI_bbb,"axG",@progbits,_ZN9rocsparseL38bsrgemm_block_per_row_atomic_multipassILj256ELj64ELj4Ell21rocsparse_complex_numIfEEEv20rocsparse_direction_T3_S4_PKS4_S6_NS_24const_host_device_scalarIT4_EEPKT2_S6_PKS8_SC_S6_SE_S9_SC_S6_SE_SC_PS4_PS8_PSA_21rocsparse_index_base_SI_SI_SI_bbb,comdat
.Lfunc_end138:
	.size	_ZN9rocsparseL38bsrgemm_block_per_row_atomic_multipassILj256ELj64ELj4Ell21rocsparse_complex_numIfEEEv20rocsparse_direction_T3_S4_PKS4_S6_NS_24const_host_device_scalarIT4_EEPKT2_S6_PKS8_SC_S6_SE_S9_SC_S6_SE_SC_PS4_PS8_PSA_21rocsparse_index_base_SI_SI_SI_bbb, .Lfunc_end138-_ZN9rocsparseL38bsrgemm_block_per_row_atomic_multipassILj256ELj64ELj4Ell21rocsparse_complex_numIfEEEv20rocsparse_direction_T3_S4_PKS4_S6_NS_24const_host_device_scalarIT4_EEPKT2_S6_PKS8_SC_S6_SE_S9_SC_S6_SE_SC_PS4_PS8_PSA_21rocsparse_index_base_SI_SI_SI_bbb
                                        ; -- End function
	.section	.AMDGPU.csdata,"",@progbits
; Kernel info:
; codeLenInByte = 4164
; NumSgprs: 72
; NumVgprs: 65
; ScratchSize: 0
; MemoryBound: 0
; FloatMode: 240
; IeeeMode: 1
; LDSByteSize: 10504 bytes/workgroup (compile time only)
; SGPRBlocks: 8
; VGPRBlocks: 8
; NumSGPRsForWavesPerEU: 72
; NumVGPRsForWavesPerEU: 65
; Occupancy: 16
; WaveLimiterHint : 1
; COMPUTE_PGM_RSRC2:SCRATCH_EN: 0
; COMPUTE_PGM_RSRC2:USER_SGPR: 15
; COMPUTE_PGM_RSRC2:TRAP_HANDLER: 0
; COMPUTE_PGM_RSRC2:TGID_X_EN: 1
; COMPUTE_PGM_RSRC2:TGID_Y_EN: 0
; COMPUTE_PGM_RSRC2:TGID_Z_EN: 0
; COMPUTE_PGM_RSRC2:TIDIG_COMP_CNT: 0
	.section	.text._ZN9rocsparseL38bsrgemm_block_per_row_atomic_multipassILj256ELj128ELj4Ell21rocsparse_complex_numIfEEEv20rocsparse_direction_T3_S4_PKS4_S6_NS_24const_host_device_scalarIT4_EEPKT2_S6_PKS8_SC_S6_SE_S9_SC_S6_SE_SC_PS4_PS8_PSA_21rocsparse_index_base_SI_SI_SI_bbb,"axG",@progbits,_ZN9rocsparseL38bsrgemm_block_per_row_atomic_multipassILj256ELj128ELj4Ell21rocsparse_complex_numIfEEEv20rocsparse_direction_T3_S4_PKS4_S6_NS_24const_host_device_scalarIT4_EEPKT2_S6_PKS8_SC_S6_SE_S9_SC_S6_SE_SC_PS4_PS8_PSA_21rocsparse_index_base_SI_SI_SI_bbb,comdat
	.globl	_ZN9rocsparseL38bsrgemm_block_per_row_atomic_multipassILj256ELj128ELj4Ell21rocsparse_complex_numIfEEEv20rocsparse_direction_T3_S4_PKS4_S6_NS_24const_host_device_scalarIT4_EEPKT2_S6_PKS8_SC_S6_SE_S9_SC_S6_SE_SC_PS4_PS8_PSA_21rocsparse_index_base_SI_SI_SI_bbb ; -- Begin function _ZN9rocsparseL38bsrgemm_block_per_row_atomic_multipassILj256ELj128ELj4Ell21rocsparse_complex_numIfEEEv20rocsparse_direction_T3_S4_PKS4_S6_NS_24const_host_device_scalarIT4_EEPKT2_S6_PKS8_SC_S6_SE_S9_SC_S6_SE_SC_PS4_PS8_PSA_21rocsparse_index_base_SI_SI_SI_bbb
	.p2align	8
	.type	_ZN9rocsparseL38bsrgemm_block_per_row_atomic_multipassILj256ELj128ELj4Ell21rocsparse_complex_numIfEEEv20rocsparse_direction_T3_S4_PKS4_S6_NS_24const_host_device_scalarIT4_EEPKT2_S6_PKS8_SC_S6_SE_S9_SC_S6_SE_SC_PS4_PS8_PSA_21rocsparse_index_base_SI_SI_SI_bbb,@function
_ZN9rocsparseL38bsrgemm_block_per_row_atomic_multipassILj256ELj128ELj4Ell21rocsparse_complex_numIfEEEv20rocsparse_direction_T3_S4_PKS4_S6_NS_24const_host_device_scalarIT4_EEPKT2_S6_PKS8_SC_S6_SE_S9_SC_S6_SE_SC_PS4_PS8_PSA_21rocsparse_index_base_SI_SI_SI_bbb: ; @_ZN9rocsparseL38bsrgemm_block_per_row_atomic_multipassILj256ELj128ELj4Ell21rocsparse_complex_numIfEEEv20rocsparse_direction_T3_S4_PKS4_S6_NS_24const_host_device_scalarIT4_EEPKT2_S6_PKS8_SC_S6_SE_S9_SC_S6_SE_SC_PS4_PS8_PSA_21rocsparse_index_base_SI_SI_SI_bbb
; %bb.0:
	s_clause 0x5
	s_load_b32 s9, s[0:1], 0xb0
	s_load_b256 s[16:23], s[0:1], 0x90
	s_load_b256 s[24:31], s[0:1], 0x70
	;; [unrolled: 1-line block ×3, first 2 shown]
	s_load_b128 s[4:7], s[0:1], 0x18
	s_load_b256 s[44:51], s[0:1], 0x30
	s_mov_b32 s2, s15
	s_mov_b32 s35, 0
	;; [unrolled: 1-line block ×3, first 2 shown]
	s_waitcnt lgkmcnt(0)
	s_bitcmp1_b32 s9, 0
	s_cselect_b32 s8, -1, 0
	s_bitcmp1_b32 s9, 16
	s_cselect_b32 s3, -1, 0
	s_delay_alu instid0(SALU_CYCLE_1)
	s_xor_b32 s3, s3, -1
	s_bitcmp0_b32 s9, 0
	s_cbranch_scc1 .LBB139_5
; %bb.1:
	s_load_b64 s[34:35], s[0:1], 0x28
	s_and_not1_b32 vcc_lo, exec_lo, s3
	s_waitcnt lgkmcnt(0)
	s_mov_b32 s33, s34
	s_cbranch_vccnz .LBB139_3
; %bb.2:
	s_load_b32 s33, s[34:35], 0x0
.LBB139_3:
	s_and_not1_b32 vcc_lo, exec_lo, s3
	s_cbranch_vccnz .LBB139_5
; %bb.4:
	s_load_b32 s35, s[34:35], 0x4
.LBB139_5:
	s_bitcmp1_b32 s9, 8
	s_mov_b32 s59, 0
	s_cselect_b32 s34, -1, 0
	s_bfe_u32 s9, s9, 0x10008
	s_mov_b32 s58, 0
	s_cmp_eq_u32 s9, 0
	s_cbranch_scc1 .LBB139_11
; %bb.6:
	v_cndmask_b32_e64 v1, 0, 1, s3
	s_and_not1_b32 vcc_lo, exec_lo, s3
	s_mov_b32 s58, s40
	s_cbranch_vccnz .LBB139_8
; %bb.7:
	s_load_b32 s58, s[40:41], 0x0
.LBB139_8:
	s_delay_alu instid0(VALU_DEP_1)
	v_cmp_ne_u32_e32 vcc_lo, 1, v1
	s_cbranch_vccnz .LBB139_10
; %bb.9:
	s_load_b32 s41, s[40:41], 0x4
.LBB139_10:
	s_waitcnt lgkmcnt(0)
	s_mov_b32 s59, s41
.LBB139_11:
	s_mov_b64 s[40:41], 0
	s_cmp_eq_u64 s[6:7], 0
	s_mov_b32 s3, 0
	s_cbranch_scc1 .LBB139_13
; %bb.12:
	s_load_b64 s[4:5], s[4:5], 0x0
	s_waitcnt lgkmcnt(0)
	s_lshl_b64 s[4:5], s[4:5], 3
	s_delay_alu instid0(SALU_CYCLE_1) | instskip(SKIP_2) | instid1(SALU_CYCLE_1)
	s_add_u32 s4, s6, s4
	s_addc_u32 s5, s7, s5
	s_lshl_b64 s[2:3], s[2:3], 3
	s_add_u32 s2, s4, s2
	s_addc_u32 s3, s5, s3
	s_load_b64 s[2:3], s[2:3], 0x0
.LBB139_13:
	s_and_not1_b32 vcc_lo, exec_lo, s8
	s_cbranch_vccz .LBB139_16
; %bb.14:
	s_and_not1_b32 vcc_lo, exec_lo, s8
	s_mov_b64 s[56:57], 0
	s_cbranch_vccz .LBB139_17
.LBB139_15:
	s_load_b128 s[52:55], s[0:1], 0x8
	s_waitcnt lgkmcnt(0)
	v_cmp_lt_i64_e64 s4, s[52:53], 1
	s_delay_alu instid0(VALU_DEP_1)
	s_and_b32 vcc_lo, exec_lo, s4
	s_cbranch_vccz .LBB139_18
	s_branch .LBB139_106
.LBB139_16:
	s_waitcnt lgkmcnt(0)
	s_lshl_b64 s[4:5], s[2:3], 3
	s_delay_alu instid0(SALU_CYCLE_1)
	s_add_u32 s4, s44, s4
	s_addc_u32 s5, s45, s5
	s_load_b64 s[4:5], s[4:5], 0x0
	s_waitcnt lgkmcnt(0)
	s_sub_u32 s40, s4, s20
	s_subb_u32 s41, s5, 0
	s_and_not1_b32 vcc_lo, exec_lo, s8
	s_mov_b64 s[56:57], 0
	s_cbranch_vccnz .LBB139_15
.LBB139_17:
	s_waitcnt lgkmcnt(0)
	s_lshl_b64 s[4:5], s[2:3], 3
	s_delay_alu instid0(SALU_CYCLE_1)
	s_add_u32 s4, s44, s4
	s_addc_u32 s5, s45, s5
	s_load_b64 s[4:5], s[4:5], 0x8
	s_waitcnt lgkmcnt(0)
	s_sub_u32 s56, s4, s20
	s_subb_u32 s57, s5, 0
	s_load_b128 s[52:55], s[0:1], 0x8
	s_waitcnt lgkmcnt(0)
	v_cmp_lt_i64_e64 s4, s[52:53], 1
	s_delay_alu instid0(VALU_DEP_1)
	s_and_b32 vcc_lo, exec_lo, s4
	s_cbranch_vccnz .LBB139_106
.LBB139_18:
	v_bfe_u32 v9, v0, 2, 2
	s_lshl_b64 s[6:7], s[2:3], 3
	v_mov_b32_e32 v5, 0
	s_add_u32 s2, s28, s6
	v_and_b32_e32 v3, 3, v0
	v_mad_u64_u32 v[6:7], null, v9, s54, 0
	s_delay_alu instid0(VALU_DEP_3) | instskip(SKIP_4) | instid1(VALU_DEP_4)
	v_mov_b32_e32 v2, v5
	s_addc_u32 s3, s29, s7
	v_and_b32_e32 v17, 15, v0
	s_load_b64 s[2:3], s[2:3], 0x0
	v_mad_u64_u32 v[11:12], null, v3, s54, 0
	v_mov_b32_e32 v4, v7
	s_load_b32 s5, s[0:1], 0x0
	v_lshrrev_b32_e32 v1, 4, v0
	v_cmp_lt_i64_e64 s9, s[40:41], s[56:57]
	s_mov_b32 s62, s23
	v_mad_u64_u32 v[7:8], null, v9, s55, v[4:5]
	v_mov_b32_e32 v8, v12
	v_dual_mov_b32 v10, v5 :: v_dual_lshlrev_b32 v37, 3, v0
	v_mov_b32_e32 v4, v5
	s_mov_b32 s14, 0
	v_cmp_gt_u32_e64 s0, 0x80, v0
	v_lshlrev_b64 v[13:14], 3, v[6:7]
	v_mad_u64_u32 v[6:7], null, v3, s55, v[8:9]
	v_lshlrev_b32_e32 v7, 3, v3
	s_waitcnt lgkmcnt(0)
	s_sub_u32 s28, s2, s22
	s_subb_u32 s29, s3, 0
	s_mul_i32 s2, s54, s55
	s_mul_hi_u32 s3, s54, s54
	v_cmp_gt_u64_e32 vcc_lo, s[54:55], v[9:10]
	s_add_i32 s3, s3, s2
	v_mov_b32_e32 v12, v6
	s_add_i32 s45, s3, s2
	v_add_co_u32 v15, s2, s48, v13
	s_delay_alu instid0(VALU_DEP_1) | instskip(SKIP_4) | instid1(VALU_DEP_1)
	v_add_co_ci_u32_e64 v16, s2, s49, v14, s2
	v_cmp_gt_i64_e64 s3, s[54:55], v[3:4]
	v_cmp_gt_i64_e64 s2, s[54:55], v[9:10]
	v_lshlrev_b64 v[11:12], 3, v[11:12]
	v_add_co_u32 v4, s4, v15, v7
	v_add_co_ci_u32_e64 v39, s4, 0, v16, s4
	s_delay_alu instid0(VALU_DEP_4) | instskip(SKIP_1) | instid1(VALU_DEP_4)
	s_and_b32 s60, s3, s2
	v_lshlrev_b64 v[15:16], 3, v[9:10]
	v_add_co_u32 v6, s2, s16, v11
	s_delay_alu instid0(VALU_DEP_1) | instskip(SKIP_1) | instid1(VALU_DEP_1)
	v_add_co_ci_u32_e64 v10, s2, s17, v12, s2
	v_add_co_u32 v18, s2, s16, v13
	v_add_co_ci_u32_e64 v19, s2, s17, v14, s2
	s_delay_alu instid0(VALU_DEP_4) | instskip(NEXT) | instid1(VALU_DEP_1)
	v_add_co_u32 v6, s2, v6, v15
	v_add_co_ci_u32_e64 v10, s2, v10, v16, s2
	s_delay_alu instid0(VALU_DEP_4) | instskip(NEXT) | instid1(VALU_DEP_1)
	v_add_co_u32 v18, s2, v18, v7
	v_add_co_ci_u32_e64 v19, s2, 0, v19, s2
	v_add_co_u32 v11, s2, s26, v11
	s_delay_alu instid0(VALU_DEP_1) | instskip(SKIP_1) | instid1(VALU_DEP_1)
	v_add_co_ci_u32_e64 v12, s2, s27, v12, s2
	v_sub_co_u32 v41, s2, v1, s23
	v_sub_co_ci_u32_e64 v42, null, 0, 0, s2
	s_delay_alu instid0(VALU_DEP_4) | instskip(SKIP_3) | instid1(VALU_DEP_1)
	v_add_co_u32 v11, s2, v11, v15
	v_and_b32_e32 v15, 0x7f, v0
	v_add_co_ci_u32_e64 v12, s2, v12, v16, s2
	v_add_co_u32 v13, s2, s26, v13
	v_add_co_ci_u32_e64 v14, s2, s27, v14, s2
	s_cmp_eq_u32 s5, 0
	s_delay_alu instid0(VALU_DEP_2)
	v_add_co_u32 v13, s2, v13, v7
	s_cselect_b32 s10, -1, 0
	s_cmp_lg_u32 s5, 0
	v_add_co_ci_u32_e64 v14, s2, 0, v14, s2
	s_cselect_b32 s61, -1, 0
	s_add_u32 s16, s42, s6
	s_addc_u32 s17, s43, s7
	s_and_b32 s63, s8, s9
	s_and_b32 s64, s3, vcc_lo
	v_lshlrev_b32_e32 v16, 2, v15
	v_add_co_u32 v20, s23, v15, -1
	s_add_u32 s65, s50, 8
	v_cndmask_b32_e64 v11, v11, v13, s10
	v_lshlrev_b32_e32 v9, 3, v9
	s_addc_u32 s66, s51, 0
	s_add_u32 s67, s30, -8
	v_cndmask_b32_e64 v53, v6, v18, s10
	v_cndmask_b32_e64 v6, v12, v14, s10
	s_addc_u32 s68, s31, -1
	s_add_u32 s26, s38, 4
	v_lshl_add_u32 v44, v20, 2, 0x4800
	v_cmp_ne_u32_e64 s3, 0, v15
	v_cmp_lt_u32_e64 s4, 1, v15
	v_cmp_lt_u32_e64 s5, 3, v15
	;; [unrolled: 1-line block ×6, first 2 shown]
	v_or_b32_e32 v15, 0x400, v0
	v_cndmask_b32_e64 v52, v10, v19, s10
	v_mov_b32_e32 v19, 0x80
	v_dual_mov_b32 v13, s28 :: v_dual_add_nc_u32 v46, 0x47f8, v16
	v_cmp_eq_u32_e64 s1, 0, v0
	v_and_b32_e32 v40, 12, v0
	v_lshl_or_b32 v45, v0, 2, 0x4800
	v_cmp_gt_u32_e64 s11, 0x200, v0
	v_cmp_gt_u32_e64 s12, 0x100, v0
	s_addc_u32 s27, s39, 0
	v_add_co_u32 v11, vcc_lo, v11, 4
	v_mov_b32_e32 v14, s29
	v_lshl_or_b32 v0, v1, 7, v9
	v_add_co_u32 v9, s15, s26, v7
	s_delay_alu instid0(VALU_DEP_1)
	v_add_co_ci_u32_e64 v10, null, s27, 0, s15
	v_add_co_ci_u32_e32 v12, vcc_lo, 0, v6, vcc_lo
	s_mov_b32 s15, s14
	s_movk_i32 s13, 0x7e0
	v_add_co_u32 v55, vcc_lo, v41, 16
	v_dual_mov_b32 v8, v5 :: v_dual_add_nc_u32 v47, 0x47f0, v16
	v_cmp_eq_u32_e64 s2, 15, v17
	v_or_b32_e32 v43, 0x4800, v16
	v_add_nc_u32_e32 v48, 0x47e0, v16
	v_add_nc_u32_e32 v49, 0x47c0, v16
	;; [unrolled: 1-line block ×3, first 2 shown]
	v_dual_mov_b32 v20, 0 :: v_dual_add_nc_u32 v51, 0x4700, v16
	v_cmp_gt_u32_e64 s10, 0x700, v15
	v_dual_mov_b32 v17, 0 :: v_dual_mov_b32 v16, s15
	v_or_b32_e32 v38, 0x4000, v37
	v_add_nc_u32_e32 v0, 0x4000, v0
	v_and_or_b32 v54, v37, s13, 0x4000
	v_add_co_ci_u32_e32 v56, vcc_lo, 0, v42, vcc_lo
	v_lshl_or_b32 v57, v1, 2, 0x4800
	v_dual_mov_b32 v18, 0 :: v_dual_mov_b32 v15, s14
	v_mov_b32_e32 v58, 1
	s_mul_i32 s44, s54, s54
	s_lshl_b64 s[38:39], s[54:55], 3
	s_lshl_b64 s[42:43], s[44:45], 3
	;; [unrolled: 1-line block ×3, first 2 shown]
	s_branch .LBB139_20
.LBB139_19:                             ;   in Loop: Header=BB139_20 Depth=1
	s_or_b32 exec_lo, exec_lo, s13
	s_waitcnt_vscnt null, 0x0
	s_barrier
	buffer_gl0_inv
	ds_load_b64 v[17:18], v5 offset:18944
	v_ashrrev_i32_e32 v6, 31, v19
	v_add_co_u32 v13, vcc_lo, v13, v19
	s_waitcnt lgkmcnt(0)
	s_barrier
	s_delay_alu instid0(VALU_DEP_2) | instskip(SKIP_3) | instid1(VALU_DEP_1)
	v_add_co_ci_u32_e32 v14, vcc_lo, v14, v6, vcc_lo
	buffer_gl0_inv
	v_cmp_le_i64_e32 vcc_lo, s[52:53], v[17:18]
	v_add_co_u32 v19, s13, 0x80, v17
	v_add_co_ci_u32_e64 v20, s13, 0, v18, s13
	s_cbranch_vccnz .LBB139_106
.LBB139_20:                             ; =>This Loop Header: Depth=1
                                        ;     Child Loop BB139_33 Depth 2
                                        ;       Child Loop BB139_49 Depth 3
                                        ;         Child Loop BB139_61 Depth 4
                                        ;         Child Loop BB139_57 Depth 4
                                        ;     Child Loop BB139_71 Depth 2
                                        ;     Child Loop BB139_80 Depth 2
	;; [unrolled: 1-line block ×3, first 2 shown]
	s_and_saveexec_b32 s13, s0
	s_cbranch_execz .LBB139_22
; %bb.21:                               ;   in Loop: Header=BB139_20 Depth=1
	ds_store_b32 v45, v5
.LBB139_22:                             ;   in Loop: Header=BB139_20 Depth=1
	s_or_b32 exec_lo, exec_lo, s13
	ds_store_2addr_stride64_b64 v37, v[15:16], v[15:16] offset1:4
	ds_store_2addr_stride64_b64 v37, v[15:16], v[15:16] offset0:8 offset1:12
	ds_store_b64 v37, v[15:16] offset:8192
	s_and_saveexec_b32 s13, s10
	s_delay_alu instid0(SALU_CYCLE_1)
	s_xor_b32 s13, exec_lo, s13
	s_cbranch_execz .LBB139_28
; %bb.23:                               ;   in Loop: Header=BB139_20 Depth=1
	v_mov_b32_e32 v6, v5
	ds_store_b64 v37, v[5:6] offset:10240
	s_and_saveexec_b32 s14, s11
	s_delay_alu instid0(SALU_CYCLE_1)
	s_xor_b32 s14, exec_lo, s14
	s_cbranch_execz .LBB139_27
; %bb.24:                               ;   in Loop: Header=BB139_20 Depth=1
	ds_store_b64 v37, v[5:6] offset:12288
	s_and_saveexec_b32 s15, s12
	s_delay_alu instid0(SALU_CYCLE_1)
	s_xor_b32 s15, exec_lo, s15
	s_cbranch_execz .LBB139_26
; %bb.25:                               ;   in Loop: Header=BB139_20 Depth=1
	v_mov_b32_e32 v6, v5
	ds_store_b64 v37, v[5:6] offset:14336
.LBB139_26:                             ;   in Loop: Header=BB139_20 Depth=1
	s_or_b32 exec_lo, exec_lo, s15
.LBB139_27:                             ;   in Loop: Header=BB139_20 Depth=1
	s_delay_alu instid0(SALU_CYCLE_1)
	s_or_b32 exec_lo, exec_lo, s14
.LBB139_28:                             ;   in Loop: Header=BB139_20 Depth=1
	s_delay_alu instid0(SALU_CYCLE_1)
	s_or_b32 exec_lo, exec_lo, s13
	s_and_saveexec_b32 s13, s1
	s_cbranch_execz .LBB139_30
; %bb.29:                               ;   in Loop: Header=BB139_20 Depth=1
	v_dual_mov_b32 v21, s52 :: v_dual_mov_b32 v22, s53
	ds_store_b64 v5, v[21:22] offset:18944
.LBB139_30:                             ;   in Loop: Header=BB139_20 Depth=1
	s_or_b32 exec_lo, exec_lo, s13
	v_dual_mov_b32 v21, s52 :: v_dual_mov_b32 v22, s53
	s_and_not1_b32 vcc_lo, exec_lo, s63
	s_waitcnt lgkmcnt(0)
	s_barrier
	buffer_gl0_inv
	s_cbranch_vccnz .LBB139_66
; %bb.31:                               ;   in Loop: Header=BB139_20 Depth=1
	v_cmp_ne_u64_e64 s13, 0, v[17:18]
	v_dual_mov_b32 v21, s52 :: v_dual_mov_b32 v22, s53
	s_mov_b64 s[28:29], s[40:41]
	s_branch .LBB139_33
.LBB139_32:                             ;   in Loop: Header=BB139_33 Depth=2
	s_or_b32 exec_lo, exec_lo, s15
	s_add_u32 s28, s28, 16
	s_addc_u32 s29, s29, 0
	s_delay_alu instid0(SALU_CYCLE_1) | instskip(NEXT) | instid1(VALU_DEP_1)
	v_cmp_lt_i64_e64 s14, s[28:29], s[56:57]
	s_and_b32 vcc_lo, exec_lo, s14
	s_cbranch_vccz .LBB139_66
.LBB139_33:                             ;   Parent Loop BB139_20 Depth=1
                                        ; =>  This Loop Header: Depth=2
                                        ;       Child Loop BB139_49 Depth 3
                                        ;         Child Loop BB139_61 Depth 4
                                        ;         Child Loop BB139_57 Depth 4
	v_add_co_u32 v23, s14, s28, v1
	s_delay_alu instid0(VALU_DEP_1) | instskip(NEXT) | instid1(VALU_DEP_1)
	v_add_co_ci_u32_e64 v24, null, s29, 0, s14
	s_waitcnt_vscnt null, 0x0
	s_barrier
	buffer_gl0_inv
	v_cmp_gt_i64_e64 s14, s[56:57], v[23:24]
	s_delay_alu instid0(VALU_DEP_1)
	s_and_saveexec_b32 s15, s14
	s_cbranch_execz .LBB139_38
; %bb.34:                               ;   in Loop: Header=BB139_33 Depth=2
	s_and_saveexec_b32 s30, s64
	s_delay_alu instid0(SALU_CYCLE_1)
	s_xor_b32 s30, exec_lo, s30
	s_cbranch_execz .LBB139_36
; %bb.35:                               ;   in Loop: Header=BB139_33 Depth=2
	v_mul_lo_u32 v6, v24, s44
	v_mul_lo_u32 v27, v23, s45
	v_mad_u64_u32 v[25:26], null, v23, s44, 0
	s_delay_alu instid0(VALU_DEP_1) | instskip(NEXT) | instid1(VALU_DEP_1)
	v_add3_u32 v26, v26, v27, v6
	v_lshlrev_b64 v[25:26], 3, v[25:26]
	s_delay_alu instid0(VALU_DEP_1) | instskip(NEXT) | instid1(VALU_DEP_2)
	v_add_co_u32 v25, vcc_lo, v4, v25
	v_add_co_ci_u32_e32 v26, vcc_lo, v39, v26, vcc_lo
	global_load_b64 v[25:26], v[25:26], off
	s_waitcnt vmcnt(0)
	ds_store_b64 v38, v[25:26]
.LBB139_36:                             ;   in Loop: Header=BB139_33 Depth=2
	s_and_not1_saveexec_b32 s30, s30
	s_cbranch_execz .LBB139_38
; %bb.37:                               ;   in Loop: Header=BB139_33 Depth=2
	v_mov_b32_e32 v6, v5
	ds_store_b64 v38, v[5:6]
.LBB139_38:                             ;   in Loop: Header=BB139_33 Depth=2
	s_or_b32 exec_lo, exec_lo, s15
	v_mov_b32_e32 v25, 0
	v_lshlrev_b64 v[23:24], 3, v[23:24]
	v_mov_b32_e32 v26, 0
	s_waitcnt lgkmcnt(0)
	s_barrier
	buffer_gl0_inv
	s_and_saveexec_b32 s69, s14
	s_cbranch_execz .LBB139_64
; %bb.39:                               ;   in Loop: Header=BB139_33 Depth=2
	v_add_co_u32 v25, vcc_lo, s46, v23
	v_add_co_ci_u32_e32 v26, vcc_lo, s47, v24, vcc_lo
	s_and_b32 vcc_lo, exec_lo, s13
	global_load_b64 v[27:28], v[25:26], off
	s_cbranch_vccz .LBB139_41
; %bb.40:                               ;   in Loop: Header=BB139_33 Depth=2
	v_add_co_u32 v25, vcc_lo, s18, v23
	v_add_co_ci_u32_e32 v26, vcc_lo, s19, v24, vcc_lo
	s_mov_b32 s15, 0
	global_load_b64 v[25:26], v[25:26], off
	s_branch .LBB139_42
.LBB139_41:                             ;   in Loop: Header=BB139_33 Depth=2
	s_mov_b32 s15, -1
                                        ; implicit-def: $vgpr25_vgpr26
.LBB139_42:                             ;   in Loop: Header=BB139_33 Depth=2
	s_waitcnt vmcnt(0)
	v_sub_co_u32 v27, vcc_lo, v27, s20
	v_subrev_co_ci_u32_e32 v28, vcc_lo, 0, v28, vcc_lo
	s_and_not1_b32 vcc_lo, exec_lo, s15
	s_delay_alu instid0(VALU_DEP_1)
	v_lshlrev_b64 v[27:28], 3, v[27:28]
	s_cbranch_vccnz .LBB139_44
; %bb.43:                               ;   in Loop: Header=BB139_33 Depth=2
	s_delay_alu instid0(VALU_DEP_1) | instskip(NEXT) | instid1(VALU_DEP_2)
	v_add_co_u32 v25, vcc_lo, s50, v27
	v_add_co_ci_u32_e32 v26, vcc_lo, s51, v28, vcc_lo
	global_load_b64 v[25:26], v[25:26], off
	s_waitcnt vmcnt(0)
	v_sub_co_u32 v25, vcc_lo, v25, s21
	v_subrev_co_ci_u32_e32 v26, vcc_lo, 0, v26, vcc_lo
.LBB139_44:                             ;   in Loop: Header=BB139_33 Depth=2
	s_delay_alu instid0(VALU_DEP_1) | instskip(NEXT) | instid1(VALU_DEP_2)
	v_add_co_u32 v27, vcc_lo, s65, v27
	v_add_co_ci_u32_e32 v28, vcc_lo, s66, v28, vcc_lo
	s_mov_b32 s70, exec_lo
	global_load_b64 v[27:28], v[27:28], off
	s_waitcnt vmcnt(0)
	v_sub_co_u32 v27, vcc_lo, v27, s21
	v_subrev_co_ci_u32_e32 v28, vcc_lo, 0, v28, vcc_lo
	s_delay_alu instid0(VALU_DEP_1)
	v_cmpx_lt_i64_e64 v[25:26], v[27:28]
	s_cbranch_execz .LBB139_63
; %bb.45:                               ;   in Loop: Header=BB139_33 Depth=2
	v_mad_u64_u32 v[33:34], null, s38, v25, v[7:8]
	v_mul_lo_u32 v6, s38, v26
	v_mul_lo_u32 v31, s39, v25
	v_mad_u64_u32 v[29:30], null, s42, v25, v[9:10]
	v_mul_lo_u32 v35, s42, v26
	s_mov_b32 s71, 0
	v_mul_lo_u32 v36, s55, v33
	s_delay_alu instid0(VALU_DEP_4) | instskip(SKIP_2) | instid1(VALU_DEP_3)
	v_add3_u32 v6, v31, v34, v6
	v_mul_lo_u32 v34, s43, v25
	v_mad_u64_u32 v[31:32], null, s54, v33, s[26:27]
	v_mul_lo_u32 v6, s54, v6
	s_delay_alu instid0(VALU_DEP_3) | instskip(SKIP_1) | instid1(VALU_DEP_3)
	v_add3_u32 v30, v34, v30, v35
	v_dual_mov_b32 v34, v26 :: v_dual_mov_b32 v33, v25
	v_add3_u32 v32, v36, v32, v6
	s_branch .LBB139_49
.LBB139_46:                             ;   in Loop: Header=BB139_49 Depth=3
	s_delay_alu instid0(VALU_DEP_1) | instskip(SKIP_1) | instid1(VALU_DEP_2)
	v_mul_f32_e64 v35, v60, -s35
	v_lshlrev_b32_e32 v6, 4, v6
	v_dual_mul_f32 v36, s33, v60 :: v_dual_fmac_f32 v35, s33, v59
	s_delay_alu instid0(VALU_DEP_2) | instskip(NEXT) | instid1(VALU_DEP_2)
	v_or3_b32 v6, v6, v40, v3
	v_fmac_f32_e32 v36, s35, v59
	s_delay_alu instid0(VALU_DEP_2)
	v_lshlrev_b32_e32 v6, 3, v6
	ds_add_f32 v6, v35
	ds_add_f32 v6, v36 offset:4
.LBB139_47:                             ;   in Loop: Header=BB139_49 Depth=3
	s_or_b32 exec_lo, exec_lo, s73
	s_delay_alu instid0(SALU_CYCLE_1)
	s_or_b32 s15, s15, exec_lo
.LBB139_48:                             ;   in Loop: Header=BB139_49 Depth=3
	s_or_b32 exec_lo, exec_lo, s72
	v_add_co_u32 v33, vcc_lo, v33, 1
	v_add_co_ci_u32_e32 v34, vcc_lo, 0, v34, vcc_lo
	s_xor_b32 s30, s15, -1
	v_add_co_u32 v31, s15, v31, s42
	s_delay_alu instid0(VALU_DEP_2)
	v_cmp_ge_i64_e32 vcc_lo, v[33:34], v[27:28]
	v_add_co_ci_u32_e64 v32, s15, s43, v32, s15
	s_or_b32 s15, s30, vcc_lo
	v_add_co_u32 v29, vcc_lo, v29, s42
	v_add_co_ci_u32_e32 v30, vcc_lo, s43, v30, vcc_lo
	s_and_b32 s15, exec_lo, s15
	s_delay_alu instid0(SALU_CYCLE_1) | instskip(NEXT) | instid1(SALU_CYCLE_1)
	s_or_b32 s71, s15, s71
	s_and_not1_b32 exec_lo, exec_lo, s71
	s_cbranch_execz .LBB139_62
.LBB139_49:                             ;   Parent Loop BB139_20 Depth=1
                                        ;     Parent Loop BB139_33 Depth=2
                                        ; =>    This Loop Header: Depth=3
                                        ;         Child Loop BB139_61 Depth 4
                                        ;         Child Loop BB139_57 Depth 4
	s_delay_alu instid0(VALU_DEP_2) | instskip(NEXT) | instid1(VALU_DEP_1)
	v_lshlrev_b64 v[35:36], 3, v[33:34]
	v_add_co_u32 v35, vcc_lo, s36, v35
	s_delay_alu instid0(VALU_DEP_2) | instskip(SKIP_4) | instid1(VALU_DEP_1)
	v_add_co_ci_u32_e32 v36, vcc_lo, s37, v36, vcc_lo
	global_load_b64 v[35:36], v[35:36], off
	s_waitcnt vmcnt(0)
	v_sub_co_u32 v35, vcc_lo, v35, s21
	v_subrev_co_ci_u32_e32 v36, vcc_lo, 0, v36, vcc_lo
	v_cmp_lt_i64_e64 s15, v[35:36], v[17:18]
	v_cmp_ge_i64_e32 vcc_lo, v[35:36], v[19:20]
	s_delay_alu instid0(VALU_DEP_2) | instskip(NEXT) | instid1(SALU_CYCLE_1)
	s_or_b32 s30, s15, vcc_lo
                                        ; implicit-def: $sgpr15
	s_and_saveexec_b32 s31, s30
	s_delay_alu instid0(SALU_CYCLE_1)
	s_xor_b32 s30, exec_lo, s31
	s_cbranch_execz .LBB139_53
; %bb.50:                               ;   in Loop: Header=BB139_49 Depth=3
	s_mov_b32 s31, -1
	s_and_saveexec_b32 s15, vcc_lo
; %bb.51:                               ;   in Loop: Header=BB139_49 Depth=3
	v_cmp_lt_i64_e32 vcc_lo, v[35:36], v[21:22]
	v_dual_mov_b32 v25, v33 :: v_dual_mov_b32 v26, v34
	s_xor_b32 s31, exec_lo, -1
	v_dual_cndmask_b32 v22, v22, v36 :: v_dual_cndmask_b32 v21, v21, v35
; %bb.52:                               ;   in Loop: Header=BB139_49 Depth=3
	s_or_b32 exec_lo, exec_lo, s15
	s_delay_alu instid0(SALU_CYCLE_1)
	s_and_b32 s15, s31, exec_lo
                                        ; implicit-def: $vgpr35_vgpr36
.LBB139_53:                             ;   in Loop: Header=BB139_49 Depth=3
	s_and_not1_saveexec_b32 s72, s30
	s_cbranch_execz .LBB139_48
; %bb.54:                               ;   in Loop: Header=BB139_49 Depth=3
	v_sub_nc_u32_e32 v6, v35, v17
	s_delay_alu instid0(VALU_DEP_1)
	v_lshlrev_b32_e32 v35, 2, v6
	ds_store_b32 v35, v58 offset:18432
	s_and_saveexec_b32 s73, s60
	s_cbranch_execz .LBB139_47
; %bb.55:                               ;   in Loop: Header=BB139_49 Depth=3
	s_and_not1_b32 vcc_lo, exec_lo, s61
	s_cbranch_vccnz .LBB139_59
; %bb.56:                               ;   in Loop: Header=BB139_49 Depth=3
	v_dual_mov_b32 v59, 0 :: v_dual_mov_b32 v36, v32
	v_dual_mov_b32 v61, v0 :: v_dual_mov_b32 v60, 0
	v_mov_b32_e32 v35, v31
	s_mov_b64 s[30:31], s[54:55]
	.p2align	6
.LBB139_57:                             ;   Parent Loop BB139_20 Depth=1
                                        ;     Parent Loop BB139_33 Depth=2
                                        ;       Parent Loop BB139_49 Depth=3
                                        ; =>      This Inner Loop Header: Depth=4
	global_load_b64 v[62:63], v[35:36], off offset:-4
	ds_load_b64 v[64:65], v61
	v_add_co_u32 v35, vcc_lo, v35, 8
	v_add_co_ci_u32_e32 v36, vcc_lo, 0, v36, vcc_lo
	s_add_u32 s30, s30, -1
	s_addc_u32 s31, s31, -1
	v_add_nc_u32_e32 v61, 32, v61
	s_cmp_lg_u64 s[30:31], 0
	s_waitcnt vmcnt(0) lgkmcnt(0)
	v_fmac_f32_e32 v59, v64, v62
	v_fmac_f32_e32 v60, v65, v62
	s_delay_alu instid0(VALU_DEP_2) | instskip(NEXT) | instid1(VALU_DEP_2)
	v_fma_f32 v59, -v65, v63, v59
	v_fmac_f32_e32 v60, v64, v63
	s_cbranch_scc1 .LBB139_57
; %bb.58:                               ;   in Loop: Header=BB139_49 Depth=3
	s_branch .LBB139_46
.LBB139_59:                             ;   in Loop: Header=BB139_49 Depth=3
                                        ; implicit-def: $vgpr59
                                        ; implicit-def: $vgpr60
	s_cbranch_execz .LBB139_46
; %bb.60:                               ;   in Loop: Header=BB139_49 Depth=3
	v_dual_mov_b32 v59, 0 :: v_dual_mov_b32 v36, v30
	v_dual_mov_b32 v61, v54 :: v_dual_mov_b32 v60, 0
	v_mov_b32_e32 v35, v29
	s_mov_b64 s[30:31], s[54:55]
	.p2align	6
.LBB139_61:                             ;   Parent Loop BB139_20 Depth=1
                                        ;     Parent Loop BB139_33 Depth=2
                                        ;       Parent Loop BB139_49 Depth=3
                                        ; =>      This Inner Loop Header: Depth=4
	global_load_b64 v[62:63], v[35:36], off offset:-4
	ds_load_b64 v[64:65], v61
	v_add_co_u32 v35, vcc_lo, v35, s38
	s_add_u32 s30, s30, -1
	v_add_co_ci_u32_e32 v36, vcc_lo, s39, v36, vcc_lo
	s_addc_u32 s31, s31, -1
	v_add_nc_u32_e32 v61, 8, v61
	s_cmp_eq_u64 s[30:31], 0
	s_waitcnt vmcnt(0) lgkmcnt(0)
	v_fmac_f32_e32 v59, v64, v62
	v_fmac_f32_e32 v60, v65, v62
	s_delay_alu instid0(VALU_DEP_2) | instskip(NEXT) | instid1(VALU_DEP_2)
	v_fma_f32 v59, -v65, v63, v59
	v_fmac_f32_e32 v60, v64, v63
	s_cbranch_scc0 .LBB139_61
	s_branch .LBB139_46
.LBB139_62:                             ;   in Loop: Header=BB139_33 Depth=2
	s_or_b32 exec_lo, exec_lo, s71
.LBB139_63:                             ;   in Loop: Header=BB139_33 Depth=2
	s_delay_alu instid0(SALU_CYCLE_1)
	s_or_b32 exec_lo, exec_lo, s70
.LBB139_64:                             ;   in Loop: Header=BB139_33 Depth=2
	s_delay_alu instid0(SALU_CYCLE_1)
	s_or_b32 exec_lo, exec_lo, s69
	s_waitcnt lgkmcnt(0)
	s_barrier
	buffer_gl0_inv
	s_and_saveexec_b32 s15, s14
	s_cbranch_execz .LBB139_32
; %bb.65:                               ;   in Loop: Header=BB139_33 Depth=2
	v_add_co_u32 v23, vcc_lo, s18, v23
	v_add_co_ci_u32_e32 v24, vcc_lo, s19, v24, vcc_lo
	global_store_b64 v[23:24], v[25:26], off
	s_branch .LBB139_32
.LBB139_66:                             ;   in Loop: Header=BB139_20 Depth=1
	s_and_not1_b32 vcc_lo, exec_lo, s34
	s_cbranch_vccnz .LBB139_78
; %bb.67:                               ;   in Loop: Header=BB139_20 Depth=1
	s_load_b128 s[28:31], s[16:17], 0x0
	s_waitcnt lgkmcnt(0)
	v_add_co_u32 v25, vcc_lo, s28, v41
	v_add_co_ci_u32_e32 v26, vcc_lo, s29, v42, vcc_lo
	s_sub_u32 s14, s30, s62
	s_subb_u32 s15, s31, 0
	s_mov_b32 s30, exec_lo
	s_delay_alu instid0(VALU_DEP_1)
	v_cmpx_gt_i64_e64 s[14:15], v[25:26]
	s_cbranch_execz .LBB139_77
; %bb.68:                               ;   in Loop: Header=BB139_20 Depth=1
	v_lshlrev_b64 v[27:28], 3, v[25:26]
	v_mad_u64_u32 v[23:24], null, s42, v25, v[11:12]
	v_mul_lo_u32 v6, s42, v26
	v_mul_lo_u32 v29, s43, v25
	s_delay_alu instid0(VALU_DEP_4) | instskip(SKIP_2) | instid1(VALU_DEP_4)
	v_add_co_u32 v25, vcc_lo, s24, v27
	v_add_co_ci_u32_e32 v26, vcc_lo, s25, v28, vcc_lo
	v_add_co_u32 v27, vcc_lo, v55, s28
	v_add3_u32 v24, v29, v24, v6
	v_add_co_ci_u32_e32 v28, vcc_lo, s29, v56, vcc_lo
	s_mov_b32 s28, 0
	s_branch .LBB139_71
.LBB139_69:                             ;   in Loop: Header=BB139_71 Depth=2
	s_or_b32 exec_lo, exec_lo, s31
	s_delay_alu instid0(SALU_CYCLE_1)
	s_or_b32 s13, s13, exec_lo
.LBB139_70:                             ;   in Loop: Header=BB139_71 Depth=2
	s_or_b32 exec_lo, exec_lo, s29
	v_cmp_le_i64_e32 vcc_lo, s[14:15], v[27:28]
	s_xor_b32 s29, s13, -1
	v_add_co_u32 v25, s13, 0x80, v25
	s_delay_alu instid0(VALU_DEP_1)
	v_add_co_ci_u32_e64 v26, s13, 0, v26, s13
	s_or_b32 s13, s29, vcc_lo
	v_add_co_u32 v23, vcc_lo, v23, s48
	v_add_co_ci_u32_e32 v24, vcc_lo, s49, v24, vcc_lo
	v_add_co_u32 v27, vcc_lo, v27, 16
	v_add_co_ci_u32_e32 v28, vcc_lo, 0, v28, vcc_lo
	s_and_b32 s13, exec_lo, s13
	s_delay_alu instid0(SALU_CYCLE_1) | instskip(NEXT) | instid1(SALU_CYCLE_1)
	s_or_b32 s28, s13, s28
	s_and_not1_b32 exec_lo, exec_lo, s28
	s_cbranch_execz .LBB139_76
.LBB139_71:                             ;   Parent Loop BB139_20 Depth=1
                                        ; =>  This Inner Loop Header: Depth=2
	global_load_b64 v[29:30], v[25:26], off
	s_waitcnt vmcnt(0)
	v_sub_co_u32 v29, vcc_lo, v29, s62
	v_subrev_co_ci_u32_e32 v30, vcc_lo, 0, v30, vcc_lo
	s_delay_alu instid0(VALU_DEP_1)
	v_cmp_lt_i64_e32 vcc_lo, v[29:30], v[19:20]
	v_cmp_lt_i64_e64 s13, v[29:30], v[17:18]
	s_xor_b32 s29, vcc_lo, -1
	s_delay_alu instid0(VALU_DEP_1) | instid1(SALU_CYCLE_1)
	s_or_b32 s29, s13, s29
                                        ; implicit-def: $sgpr13
	s_delay_alu instid0(SALU_CYCLE_1) | instskip(NEXT) | instid1(SALU_CYCLE_1)
	s_and_saveexec_b32 s31, s29
	s_xor_b32 s29, exec_lo, s31
; %bb.72:                               ;   in Loop: Header=BB139_71 Depth=2
	v_cmp_lt_i64_e64 s13, v[29:30], v[21:22]
	s_delay_alu instid0(VALU_DEP_1) | instskip(SKIP_2) | instid1(VALU_DEP_1)
	v_cndmask_b32_e64 v6, v21, v29, s13
	v_cndmask_b32_e64 v29, v22, v30, s13
	s_and_b32 s13, vcc_lo, exec_lo
	v_dual_cndmask_b32 v21, v6, v21 :: v_dual_cndmask_b32 v22, v29, v22
                                        ; implicit-def: $vgpr29
; %bb.73:                               ;   in Loop: Header=BB139_71 Depth=2
	s_and_not1_saveexec_b32 s29, s29
	s_cbranch_execz .LBB139_70
; %bb.74:                               ;   in Loop: Header=BB139_71 Depth=2
	v_sub_nc_u32_e32 v6, v29, v17
	s_delay_alu instid0(VALU_DEP_1)
	v_lshlrev_b32_e32 v29, 2, v6
	ds_store_b32 v29, v58 offset:18432
	s_and_saveexec_b32 s31, s64
	s_cbranch_execz .LBB139_69
; %bb.75:                               ;   in Loop: Header=BB139_71 Depth=2
	global_load_b64 v[29:30], v[23:24], off offset:-4
	s_waitcnt vmcnt(0)
	v_mul_f32_e64 v31, v30, -s59
	v_lshlrev_b32_e32 v6, 4, v6
	s_delay_alu instid0(VALU_DEP_2) | instskip(NEXT) | instid1(VALU_DEP_2)
	v_dual_mul_f32 v30, s58, v30 :: v_dual_fmac_f32 v31, s58, v29
	v_or3_b32 v6, v6, v40, v3
	s_delay_alu instid0(VALU_DEP_2) | instskip(NEXT) | instid1(VALU_DEP_2)
	v_fmac_f32_e32 v30, s59, v29
	v_lshlrev_b32_e32 v6, 3, v6
	ds_add_f32 v6, v31
	ds_add_f32 v6, v30 offset:4
	s_branch .LBB139_69
.LBB139_76:                             ;   in Loop: Header=BB139_20 Depth=1
	s_or_b32 exec_lo, exec_lo, s28
.LBB139_77:                             ;   in Loop: Header=BB139_20 Depth=1
	s_delay_alu instid0(SALU_CYCLE_1)
	s_or_b32 exec_lo, exec_lo, s30
.LBB139_78:                             ;   in Loop: Header=BB139_20 Depth=1
	s_and_saveexec_b32 s13, s2
	s_cbranch_execz .LBB139_83
; %bb.79:                               ;   in Loop: Header=BB139_20 Depth=1
	s_mov_b32 s28, exec_lo
	s_mov_b64 s[14:15], -1
.LBB139_80:                             ;   Parent Loop BB139_20 Depth=1
                                        ; =>  This Inner Loop Header: Depth=2
	s_ctz_i32_b32 s29, s28
	s_delay_alu instid0(SALU_CYCLE_1) | instskip(SKIP_1) | instid1(VALU_DEP_1)
	v_readlane_b32 s31, v22, s29
	v_readlane_b32 s30, v21, s29
	v_cmp_lt_u64_e64 s69, s[14:15], s[30:31]
	s_delay_alu instid0(VALU_DEP_1) | instskip(SKIP_3) | instid1(SALU_CYCLE_1)
	s_and_b32 s69, s69, exec_lo
	s_cselect_b32 s15, s15, s31
	s_cselect_b32 s14, s14, s30
	s_lshl_b32 s29, 1, s29
	s_and_not1_b32 s28, s28, s29
	s_delay_alu instid0(SALU_CYCLE_1)
	s_cmp_lg_u32 s28, 0
	s_cbranch_scc1 .LBB139_80
; %bb.81:                               ;   in Loop: Header=BB139_20 Depth=1
	v_mbcnt_lo_u32_b32 v6, exec_lo, 0
	s_mov_b32 s28, exec_lo
	s_delay_alu instid0(VALU_DEP_1)
	v_cmpx_eq_u32_e32 0, v6
	s_xor_b32 s28, exec_lo, s28
	s_cbranch_execz .LBB139_83
; %bb.82:                               ;   in Loop: Header=BB139_20 Depth=1
	v_dual_mov_b32 v20, s15 :: v_dual_mov_b32 v19, s14
	ds_min_u64 v5, v[19:20] offset:18944
.LBB139_83:                             ;   in Loop: Header=BB139_20 Depth=1
	s_or_b32 exec_lo, exec_lo, s13
	s_waitcnt lgkmcnt(0)
	s_waitcnt_vscnt null, 0x0
	s_barrier
	buffer_gl0_inv
	ds_load_b32 v6, v43
	s_waitcnt lgkmcnt(0)
	s_barrier
	buffer_gl0_inv
	s_and_saveexec_b32 s13, s3
	s_cbranch_execz .LBB139_85
; %bb.84:                               ;   in Loop: Header=BB139_20 Depth=1
	ds_load_b32 v19, v44
	s_waitcnt lgkmcnt(0)
	v_add_nc_u32_e32 v6, v19, v6
.LBB139_85:                             ;   in Loop: Header=BB139_20 Depth=1
	s_or_b32 exec_lo, exec_lo, s13
	s_barrier
	buffer_gl0_inv
	ds_store_b32 v43, v6
	s_waitcnt lgkmcnt(0)
	s_barrier
	buffer_gl0_inv
	s_and_saveexec_b32 s13, s4
	s_cbranch_execz .LBB139_87
; %bb.86:                               ;   in Loop: Header=BB139_20 Depth=1
	ds_load_b32 v19, v46
	s_waitcnt lgkmcnt(0)
	v_add_nc_u32_e32 v6, v19, v6
.LBB139_87:                             ;   in Loop: Header=BB139_20 Depth=1
	s_or_b32 exec_lo, exec_lo, s13
	s_barrier
	buffer_gl0_inv
	ds_store_b32 v43, v6
	;; [unrolled: 14-line block ×7, first 2 shown]
	s_waitcnt lgkmcnt(0)
	s_barrier
	buffer_gl0_inv
	ds_load_b32 v19, v5 offset:18940
	v_mov_b32_e32 v20, 0
	s_and_saveexec_b32 s13, s23
	s_cbranch_execz .LBB139_99
; %bb.98:                               ;   in Loop: Header=BB139_20 Depth=1
	ds_load_b32 v20, v44
.LBB139_99:                             ;   in Loop: Header=BB139_20 Depth=1
	s_or_b32 exec_lo, exec_lo, s13
	s_waitcnt lgkmcnt(0)
	v_cmp_eq_u32_e32 vcc_lo, v6, v20
	s_barrier
	buffer_gl0_inv
	s_and_b32 s14, s23, vcc_lo
	s_delay_alu instid0(SALU_CYCLE_1)
	s_and_saveexec_b32 s13, s14
	s_cbranch_execz .LBB139_101
; %bb.100:                              ;   in Loop: Header=BB139_20 Depth=1
	ds_store_b32 v43, v5
.LBB139_101:                            ;   in Loop: Header=BB139_20 Depth=1
	s_or_b32 exec_lo, exec_lo, s13
	v_add_co_u32 v6, vcc_lo, v13, -1
	v_add_co_ci_u32_e32 v20, vcc_lo, -1, v14, vcc_lo
	v_add_co_u32 v21, vcc_lo, s22, v17
	v_add_co_ci_u32_e32 v22, vcc_lo, 0, v18, vcc_lo
	v_dual_mov_b32 v23, v57 :: v_dual_mov_b32 v18, v2
	v_mov_b32_e32 v24, v37
	v_mov_b32_e32 v17, v1
	s_mov_b32 s13, 0
	s_waitcnt lgkmcnt(0)
	s_barrier
	buffer_gl0_inv
	s_branch .LBB139_103
.LBB139_102:                            ;   in Loop: Header=BB139_103 Depth=2
	s_or_b32 exec_lo, exec_lo, s14
	v_add_co_u32 v17, vcc_lo, v17, 16
	v_add_co_ci_u32_e32 v18, vcc_lo, 0, v18, vcc_lo
	v_add_nc_u32_e32 v24, 0x800, v24
	s_delay_alu instid0(VALU_DEP_3) | instskip(SKIP_1) | instid1(VALU_DEP_2)
	v_add_nc_u32_e32 v25, -16, v17
	v_add_nc_u32_e32 v23, 64, v23
	v_cmp_lt_u32_e32 vcc_lo, 0x6f, v25
	s_or_b32 s13, vcc_lo, s13
	s_delay_alu instid0(SALU_CYCLE_1)
	s_and_not1_b32 exec_lo, exec_lo, s13
	s_cbranch_execz .LBB139_19
.LBB139_103:                            ;   Parent Loop BB139_20 Depth=1
                                        ; =>  This Inner Loop Header: Depth=2
	ds_load_b32 v25, v23
	s_mov_b32 s14, exec_lo
	s_waitcnt lgkmcnt(0)
	v_cmpx_ne_u32_e32 0, v25
	s_cbranch_execz .LBB139_102
; %bb.104:                              ;   in Loop: Header=BB139_103 Depth=2
	v_ashrrev_i32_e32 v26, 31, v25
	v_add_co_u32 v27, vcc_lo, v13, v25
	s_delay_alu instid0(VALU_DEP_2) | instskip(SKIP_2) | instid1(VALU_DEP_3)
	v_add_co_ci_u32_e32 v28, vcc_lo, v14, v26, vcc_lo
	v_add_co_u32 v29, vcc_lo, v21, v17
	v_add_co_ci_u32_e32 v30, vcc_lo, v22, v18, vcc_lo
	v_lshlrev_b64 v[27:28], 3, v[27:28]
	s_delay_alu instid0(VALU_DEP_1) | instskip(NEXT) | instid1(VALU_DEP_2)
	v_add_co_u32 v27, vcc_lo, s67, v27
	v_add_co_ci_u32_e32 v28, vcc_lo, s68, v28, vcc_lo
	global_store_b64 v[27:28], v[29:30], off
	s_and_b32 exec_lo, exec_lo, s64
	s_cbranch_execz .LBB139_102
; %bb.105:                              ;   in Loop: Header=BB139_103 Depth=2
	v_add_co_u32 v27, vcc_lo, v6, v25
	v_add_co_ci_u32_e32 v25, vcc_lo, v20, v26, vcc_lo
	s_delay_alu instid0(VALU_DEP_2) | instskip(NEXT) | instid1(VALU_DEP_2)
	v_mul_lo_u32 v30, v27, s45
	v_mul_lo_u32 v29, v25, s44
	v_mad_u64_u32 v[25:26], null, v27, s44, 0
	ds_load_b64 v[27:28], v24
	v_add3_u32 v26, v26, v30, v29
	s_delay_alu instid0(VALU_DEP_1) | instskip(NEXT) | instid1(VALU_DEP_1)
	v_lshlrev_b64 v[25:26], 3, v[25:26]
	v_add_co_u32 v25, vcc_lo, v53, v25
	s_delay_alu instid0(VALU_DEP_2)
	v_add_co_ci_u32_e32 v26, vcc_lo, v52, v26, vcc_lo
	s_waitcnt lgkmcnt(0)
	global_store_b64 v[25:26], v[27:28], off
	s_branch .LBB139_102
.LBB139_106:
	s_endpgm
	.section	.rodata,"a",@progbits
	.p2align	6, 0x0
	.amdhsa_kernel _ZN9rocsparseL38bsrgemm_block_per_row_atomic_multipassILj256ELj128ELj4Ell21rocsparse_complex_numIfEEEv20rocsparse_direction_T3_S4_PKS4_S6_NS_24const_host_device_scalarIT4_EEPKT2_S6_PKS8_SC_S6_SE_S9_SC_S6_SE_SC_PS4_PS8_PSA_21rocsparse_index_base_SI_SI_SI_bbb
		.amdhsa_group_segment_fixed_size 18952
		.amdhsa_private_segment_fixed_size 0
		.amdhsa_kernarg_size 180
		.amdhsa_user_sgpr_count 15
		.amdhsa_user_sgpr_dispatch_ptr 0
		.amdhsa_user_sgpr_queue_ptr 0
		.amdhsa_user_sgpr_kernarg_segment_ptr 1
		.amdhsa_user_sgpr_dispatch_id 0
		.amdhsa_user_sgpr_private_segment_size 0
		.amdhsa_wavefront_size32 1
		.amdhsa_uses_dynamic_stack 0
		.amdhsa_enable_private_segment 0
		.amdhsa_system_sgpr_workgroup_id_x 1
		.amdhsa_system_sgpr_workgroup_id_y 0
		.amdhsa_system_sgpr_workgroup_id_z 0
		.amdhsa_system_sgpr_workgroup_info 0
		.amdhsa_system_vgpr_workitem_id 0
		.amdhsa_next_free_vgpr 66
		.amdhsa_next_free_sgpr 74
		.amdhsa_reserve_vcc 1
		.amdhsa_float_round_mode_32 0
		.amdhsa_float_round_mode_16_64 0
		.amdhsa_float_denorm_mode_32 3
		.amdhsa_float_denorm_mode_16_64 3
		.amdhsa_dx10_clamp 1
		.amdhsa_ieee_mode 1
		.amdhsa_fp16_overflow 0
		.amdhsa_workgroup_processor_mode 1
		.amdhsa_memory_ordered 1
		.amdhsa_forward_progress 0
		.amdhsa_shared_vgpr_count 0
		.amdhsa_exception_fp_ieee_invalid_op 0
		.amdhsa_exception_fp_denorm_src 0
		.amdhsa_exception_fp_ieee_div_zero 0
		.amdhsa_exception_fp_ieee_overflow 0
		.amdhsa_exception_fp_ieee_underflow 0
		.amdhsa_exception_fp_ieee_inexact 0
		.amdhsa_exception_int_div_zero 0
	.end_amdhsa_kernel
	.section	.text._ZN9rocsparseL38bsrgemm_block_per_row_atomic_multipassILj256ELj128ELj4Ell21rocsparse_complex_numIfEEEv20rocsparse_direction_T3_S4_PKS4_S6_NS_24const_host_device_scalarIT4_EEPKT2_S6_PKS8_SC_S6_SE_S9_SC_S6_SE_SC_PS4_PS8_PSA_21rocsparse_index_base_SI_SI_SI_bbb,"axG",@progbits,_ZN9rocsparseL38bsrgemm_block_per_row_atomic_multipassILj256ELj128ELj4Ell21rocsparse_complex_numIfEEEv20rocsparse_direction_T3_S4_PKS4_S6_NS_24const_host_device_scalarIT4_EEPKT2_S6_PKS8_SC_S6_SE_S9_SC_S6_SE_SC_PS4_PS8_PSA_21rocsparse_index_base_SI_SI_SI_bbb,comdat
.Lfunc_end139:
	.size	_ZN9rocsparseL38bsrgemm_block_per_row_atomic_multipassILj256ELj128ELj4Ell21rocsparse_complex_numIfEEEv20rocsparse_direction_T3_S4_PKS4_S6_NS_24const_host_device_scalarIT4_EEPKT2_S6_PKS8_SC_S6_SE_S9_SC_S6_SE_SC_PS4_PS8_PSA_21rocsparse_index_base_SI_SI_SI_bbb, .Lfunc_end139-_ZN9rocsparseL38bsrgemm_block_per_row_atomic_multipassILj256ELj128ELj4Ell21rocsparse_complex_numIfEEEv20rocsparse_direction_T3_S4_PKS4_S6_NS_24const_host_device_scalarIT4_EEPKT2_S6_PKS8_SC_S6_SE_S9_SC_S6_SE_SC_PS4_PS8_PSA_21rocsparse_index_base_SI_SI_SI_bbb
                                        ; -- End function
	.section	.AMDGPU.csdata,"",@progbits
; Kernel info:
; codeLenInByte = 4372
; NumSgprs: 76
; NumVgprs: 66
; ScratchSize: 0
; MemoryBound: 0
; FloatMode: 240
; IeeeMode: 1
; LDSByteSize: 18952 bytes/workgroup (compile time only)
; SGPRBlocks: 9
; VGPRBlocks: 8
; NumSGPRsForWavesPerEU: 76
; NumVGPRsForWavesPerEU: 66
; Occupancy: 12
; WaveLimiterHint : 1
; COMPUTE_PGM_RSRC2:SCRATCH_EN: 0
; COMPUTE_PGM_RSRC2:USER_SGPR: 15
; COMPUTE_PGM_RSRC2:TRAP_HANDLER: 0
; COMPUTE_PGM_RSRC2:TGID_X_EN: 1
; COMPUTE_PGM_RSRC2:TGID_Y_EN: 0
; COMPUTE_PGM_RSRC2:TGID_Z_EN: 0
; COMPUTE_PGM_RSRC2:TIDIG_COMP_CNT: 0
	.section	.text._ZN9rocsparseL23bsrgemm_fill_wf_per_rowILj256ELj64ELj8ELj137ELj8Ell21rocsparse_complex_numIfEEEv20rocsparse_direction_T5_S4_S4_PKS4_S6_NS_24const_host_device_scalarIT6_EEPKT4_S6_PKS8_SC_S6_SE_S9_SC_S6_SE_SC_PS4_PS8_21rocsparse_index_base_SH_SH_SH_bbb,"axG",@progbits,_ZN9rocsparseL23bsrgemm_fill_wf_per_rowILj256ELj64ELj8ELj137ELj8Ell21rocsparse_complex_numIfEEEv20rocsparse_direction_T5_S4_S4_PKS4_S6_NS_24const_host_device_scalarIT6_EEPKT4_S6_PKS8_SC_S6_SE_S9_SC_S6_SE_SC_PS4_PS8_21rocsparse_index_base_SH_SH_SH_bbb,comdat
	.globl	_ZN9rocsparseL23bsrgemm_fill_wf_per_rowILj256ELj64ELj8ELj137ELj8Ell21rocsparse_complex_numIfEEEv20rocsparse_direction_T5_S4_S4_PKS4_S6_NS_24const_host_device_scalarIT6_EEPKT4_S6_PKS8_SC_S6_SE_S9_SC_S6_SE_SC_PS4_PS8_21rocsparse_index_base_SH_SH_SH_bbb ; -- Begin function _ZN9rocsparseL23bsrgemm_fill_wf_per_rowILj256ELj64ELj8ELj137ELj8Ell21rocsparse_complex_numIfEEEv20rocsparse_direction_T5_S4_S4_PKS4_S6_NS_24const_host_device_scalarIT6_EEPKT4_S6_PKS8_SC_S6_SE_S9_SC_S6_SE_SC_PS4_PS8_21rocsparse_index_base_SH_SH_SH_bbb
	.p2align	8
	.type	_ZN9rocsparseL23bsrgemm_fill_wf_per_rowILj256ELj64ELj8ELj137ELj8Ell21rocsparse_complex_numIfEEEv20rocsparse_direction_T5_S4_S4_PKS4_S6_NS_24const_host_device_scalarIT6_EEPKT4_S6_PKS8_SC_S6_SE_S9_SC_S6_SE_SC_PS4_PS8_21rocsparse_index_base_SH_SH_SH_bbb,@function
_ZN9rocsparseL23bsrgemm_fill_wf_per_rowILj256ELj64ELj8ELj137ELj8Ell21rocsparse_complex_numIfEEEv20rocsparse_direction_T5_S4_S4_PKS4_S6_NS_24const_host_device_scalarIT6_EEPKT4_S6_PKS8_SC_S6_SE_S9_SC_S6_SE_SC_PS4_PS8_21rocsparse_index_base_SH_SH_SH_bbb: ; @_ZN9rocsparseL23bsrgemm_fill_wf_per_rowILj256ELj64ELj8ELj137ELj8Ell21rocsparse_complex_numIfEEEv20rocsparse_direction_T5_S4_S4_PKS4_S6_NS_24const_host_device_scalarIT6_EEPKT4_S6_PKS8_SC_S6_SE_S9_SC_S6_SE_SC_PS4_PS8_21rocsparse_index_base_SH_SH_SH_bbb
; %bb.0:
	s_clause 0x6
	s_load_b32 s13, s[0:1], 0xb0
	s_load_b256 s[4:11], s[0:1], 0x78
	s_load_b256 s[16:23], s[0:1], 0x58
	s_load_b128 s[44:47], s[0:1], 0x20
	s_load_b256 s[24:31], s[0:1], 0x38
	s_load_b64 s[2:3], s[0:1], 0x98
	s_load_b128 s[36:39], s[0:1], 0xa0
	s_mov_b32 s35, 0
	s_mov_b32 s48, 0
	s_waitcnt lgkmcnt(0)
	s_bitcmp1_b32 s13, 0
	s_cselect_b32 s12, -1, 0
	s_bitcmp1_b32 s13, 16
	s_cselect_b32 s14, -1, 0
	s_delay_alu instid0(SALU_CYCLE_1) | instskip(SKIP_2) | instid1(VALU_DEP_1)
	s_xor_b32 s14, s14, -1
	s_bitcmp0_b32 s13, 0
	v_cndmask_b32_e64 v1, 0, 1, s14
	v_cmp_ne_u32_e32 vcc_lo, 1, v1
	s_cbranch_scc1 .LBB140_5
; %bb.1:
	s_load_b64 s[34:35], s[0:1], 0x30
	s_and_b32 vcc_lo, exec_lo, vcc_lo
	s_waitcnt lgkmcnt(0)
	s_mov_b32 s48, s34
	s_cbranch_vccnz .LBB140_3
; %bb.2:
	s_load_b32 s48, s[34:35], 0x0
.LBB140_3:
	s_and_not1_b32 vcc_lo, exec_lo, s14
	s_cbranch_vccnz .LBB140_5
; %bb.4:
	s_load_b32 s35, s[34:35], 0x4
.LBB140_5:
	s_bitcmp1_b32 s13, 8
	s_mov_b32 s34, 0
	s_cselect_b32 s49, -1, 0
	s_bfe_u32 s13, s13, 0x10008
	s_mov_b32 s33, 0
	s_cmp_eq_u32 s13, 0
	s_cbranch_scc1 .LBB140_11
; %bb.6:
	v_cmp_ne_u32_e32 vcc_lo, 1, v1
	s_mov_b32 s33, s20
	s_cbranch_vccnz .LBB140_8
; %bb.7:
	s_load_b32 s33, s[20:21], 0x0
.LBB140_8:
	v_cmp_ne_u32_e32 vcc_lo, 1, v1
	s_cbranch_vccnz .LBB140_10
; %bb.9:
	s_load_b32 s21, s[20:21], 0x4
.LBB140_10:
	s_waitcnt lgkmcnt(0)
	s_mov_b32 s34, s21
.LBB140_11:
	s_clause 0x1
	s_load_b128 s[40:43], s[0:1], 0x8
	s_load_b64 s[20:21], s[0:1], 0x18
	s_movk_i32 s13, 0xc0
	v_and_b32_e32 v3, 63, v0
	v_lshrrev_b32_e32 v34, 6, v0
	v_and_or_b32 v33, v0, s13, 0x4000
	s_mov_b32 s13, exec_lo
	s_delay_alu instid0(VALU_DEP_3)
	v_cmpx_gt_u32_e32 8, v3
	s_cbranch_execz .LBB140_13
; %bb.12:
	s_delay_alu instid0(VALU_DEP_2)
	v_lshl_add_u32 v4, v3, 3, v33
	s_waitcnt lgkmcnt(0)
	v_dual_mov_b32 v1, s42 :: v_dual_mov_b32 v2, s43
	ds_store_b64 v4, v[1:2]
.LBB140_13:
	s_or_b32 exec_lo, exec_lo, s13
	v_mov_b32_e32 v1, 0
	v_lshlrev_b32_e32 v35, 12, v34
	v_or_b32_e32 v4, 0xffffffc0, v3
	s_mov_b32 s13, 0
	s_delay_alu instid0(VALU_DEP_3) | instskip(NEXT) | instid1(VALU_DEP_3)
	v_mov_b32_e32 v2, v1
	v_lshl_or_b32 v5, v3, 3, v35
.LBB140_14:                             ; =>This Inner Loop Header: Depth=1
	s_delay_alu instid0(VALU_DEP_3) | instskip(SKIP_4) | instid1(SALU_CYCLE_1)
	v_add_nc_u32_e32 v4, 64, v4
	ds_store_b64 v5, v[1:2]
	v_add_nc_u32_e32 v5, 0x200, v5
	v_cmp_lt_u32_e32 vcc_lo, 0x1bf, v4
	s_or_b32 s13, vcc_lo, s13
	s_and_not1_b32 exec_lo, exec_lo, s13
	s_cbranch_execnz .LBB140_14
; %bb.15:
	s_or_b32 exec_lo, exec_lo, s13
	v_lshl_or_b32 v1, s15, 2, v34
	v_mov_b32_e32 v2, 0
	s_waitcnt lgkmcnt(0)
	s_barrier
	buffer_gl0_inv
	s_mov_b32 s13, exec_lo
	v_cmpx_gt_i64_e64 s[40:41], v[1:2]
	s_cbranch_execz .LBB140_69
; %bb.16:
	s_cmp_eq_u64 s[46:47], 0
	s_cbranch_scc1 .LBB140_18
; %bb.17:
	s_load_b64 s[14:15], s[44:45], 0x0
	v_lshlrev_b64 v[1:2], 3, v[1:2]
	s_waitcnt lgkmcnt(0)
	s_lshl_b64 s[14:15], s[14:15], 3
	s_delay_alu instid0(SALU_CYCLE_1) | instskip(SKIP_1) | instid1(VALU_DEP_1)
	s_add_u32 s13, s46, s14
	s_addc_u32 s14, s47, s15
	v_add_co_u32 v1, vcc_lo, s13, v1
	v_add_co_ci_u32_e32 v2, vcc_lo, s14, v2, vcc_lo
	global_load_b64 v[1:2], v[1:2], off
.LBB140_18:
	s_load_b32 s41, s[0:1], 0x0
	v_lshlrev_b32_e32 v4, 6, v0
	s_waitcnt vmcnt(0)
	v_lshlrev_b64 v[9:10], 3, v[1:2]
	v_and_b32_e32 v7, 7, v0
	v_lshrrev_b32_e32 v5, 3, v3
	s_and_not1_b32 vcc_lo, exec_lo, s12
	v_and_b32_e32 v36, 0x3000, v4
	s_mul_i32 s40, s20, s21
	s_mul_hi_u32 s44, s20, s20
	s_mul_i32 s12, s20, s20
	s_cbranch_vccnz .LBB140_46
; %bb.19:
	v_add_co_u32 v1, vcc_lo, s24, v9
	v_add_co_ci_u32_e32 v2, vcc_lo, s25, v10, vcc_lo
	s_mov_b32 s45, exec_lo
	global_load_b128 v[1:4], v[1:2], off
	s_waitcnt vmcnt(0)
	v_cmpx_lt_i64_e64 v[1:2], v[3:4]
	s_cbranch_execz .LBB140_45
; %bb.20:
	v_sub_co_u32 v11, vcc_lo, v1, s36
	s_waitcnt lgkmcnt(0)
	s_cmp_lg_u32 s41, 0
	v_subrev_co_ci_u32_e32 v12, vcc_lo, 0, v2, vcc_lo
	s_cselect_b32 s46, -1, 0
	s_add_i32 s0, s44, s40
	v_mad_u64_u32 v[1:2], null, s12, v11, 0
	s_add_i32 s13, s0, s40
	v_mul_lo_u32 v15, s12, v12
	v_mul_lo_u32 v14, s13, v11
	v_dual_mov_b32 v8, 0 :: v_dual_lshlrev_b32 v13, 3, v7
	v_mul_lo_u32 v19, s21, v11
	v_mul_lo_u32 v20, s20, v12
	v_mad_u64_u32 v[17:18], null, s20, v11, 0
	s_delay_alu instid0(VALU_DEP_4)
	v_mov_b32_e32 v6, v8
	v_add3_u32 v2, v2, v15, v14
	v_and_b32_e32 v16, 56, v0
	v_cmp_gt_i64_e32 vcc_lo, s[20:21], v[7:8]
	v_sub_co_u32 v15, s1, v3, s36
	v_add3_u32 v18, v18, v20, v19
	v_cmp_gt_u64_e64 s0, s[20:21], v[5:6]
	v_lshlrev_b64 v[1:2], 3, v[1:2]
	v_lshlrev_b32_e32 v14, 3, v5
	v_lshlrev_b32_e32 v6, 3, v16
	v_subrev_co_ci_u32_e64 v16, s1, 0, v4, s1
	v_lshlrev_b64 v[3:4], 3, v[17:18]
	s_and_b32 s47, vcc_lo, s0
	v_add_co_u32 v1, vcc_lo, v1, v14
	v_add_co_ci_u32_e32 v2, vcc_lo, 0, v2, vcc_lo
	s_delay_alu instid0(VALU_DEP_3) | instskip(NEXT) | instid1(VALU_DEP_4)
	v_add_co_u32 v3, vcc_lo, v3, v14
	v_add_co_ci_u32_e32 v4, vcc_lo, 0, v4, vcc_lo
	s_delay_alu instid0(VALU_DEP_4) | instskip(NEXT) | instid1(VALU_DEP_4)
	v_add_co_u32 v14, vcc_lo, v1, s28
	v_add_co_ci_u32_e32 v18, vcc_lo, s29, v2, vcc_lo
	s_delay_alu instid0(VALU_DEP_3)
	v_mul_lo_u32 v4, s20, v4
	v_mul_lo_u32 v19, s21, v3
	v_mad_u64_u32 v[1:2], null, s20, v3, s[28:29]
	v_add_co_u32 v17, vcc_lo, v14, 4
	s_lshl_b64 s[14:15], s[12:13], 3
	s_lshl_b64 s[24:25], s[20:21], 3
	s_add_u32 s18, s18, 4
	v_add_co_ci_u32_e32 v18, vcc_lo, 0, v18, vcc_lo
	s_delay_alu instid0(VALU_DEP_3)
	v_add3_u32 v2, v19, v2, v4
	s_addc_u32 s19, s19, 0
	v_add_co_u32 v19, s0, s18, v13
	v_add_co_u32 v21, vcc_lo, v1, 4
	v_add3_u32 v6, v36, v13, v6
	v_mov_b32_e32 v14, v8
	v_add_co_ci_u32_e64 v20, null, s19, 0, s0
	v_add_co_ci_u32_e32 v22, vcc_lo, 0, v2, vcc_lo
	s_mov_b32 s13, 0
	s_mov_b32 s28, s37
	s_branch .LBB140_22
.LBB140_21:                             ;   in Loop: Header=BB140_22 Depth=1
	s_or_b32 exec_lo, exec_lo, s29
	v_add_co_u32 v11, vcc_lo, v11, 1
	v_add_co_ci_u32_e32 v12, vcc_lo, 0, v12, vcc_lo
	v_add_co_u32 v17, vcc_lo, v17, s14
	v_add_co_ci_u32_e32 v18, vcc_lo, s15, v18, vcc_lo
	s_delay_alu instid0(VALU_DEP_3) | instskip(SKIP_1) | instid1(VALU_DEP_1)
	v_cmp_ge_i64_e32 vcc_lo, v[11:12], v[15:16]
	v_add_co_u32 v21, s0, v21, s14
	v_add_co_ci_u32_e64 v22, s0, s15, v22, s0
	s_or_b32 s13, vcc_lo, s13
	s_delay_alu instid0(SALU_CYCLE_1)
	s_and_not1_b32 exec_lo, exec_lo, s13
	s_cbranch_execz .LBB140_45
.LBB140_22:                             ; =>This Loop Header: Depth=1
                                        ;     Child Loop BB140_25 Depth 2
                                        ;       Child Loop BB140_32 Depth 3
                                        ;       Child Loop BB140_28 Depth 3
	;; [unrolled: 1-line block ×3, first 2 shown]
	v_lshlrev_b64 v[1:2], 3, v[11:12]
	s_mov_b32 s29, exec_lo
	s_delay_alu instid0(VALU_DEP_1) | instskip(NEXT) | instid1(VALU_DEP_2)
	v_add_co_u32 v1, vcc_lo, s26, v1
	v_add_co_ci_u32_e32 v2, vcc_lo, s27, v2, vcc_lo
	global_load_b64 v[1:2], v[1:2], off
	s_waitcnt vmcnt(0)
	v_sub_co_u32 v1, vcc_lo, v1, s36
	v_subrev_co_ci_u32_e32 v2, vcc_lo, 0, v2, vcc_lo
	s_delay_alu instid0(VALU_DEP_1) | instskip(NEXT) | instid1(VALU_DEP_1)
	v_lshlrev_b64 v[1:2], 3, v[1:2]
	v_add_co_u32 v1, vcc_lo, s30, v1
	s_delay_alu instid0(VALU_DEP_2)
	v_add_co_ci_u32_e32 v2, vcc_lo, s31, v2, vcc_lo
	global_load_b128 v[1:4], v[1:2], off
	s_waitcnt vmcnt(0)
	v_cmpx_lt_i64_e64 v[1:2], v[3:4]
	s_cbranch_execz .LBB140_21
; %bb.23:                               ;   in Loop: Header=BB140_22 Depth=1
	v_sub_co_u32 v1, vcc_lo, v1, s28
	v_subrev_co_ci_u32_e32 v2, vcc_lo, 0, v2, vcc_lo
	v_sub_co_u32 v3, vcc_lo, v3, s28
	s_delay_alu instid0(VALU_DEP_3) | instskip(NEXT) | instid1(VALU_DEP_3)
	v_mul_lo_u32 v23, s25, v1
	v_mul_lo_u32 v8, s24, v2
	v_mad_u64_u32 v[25:26], null, s24, v1, v[13:14]
	v_mul_lo_u32 v27, s14, v2
	v_mul_lo_u32 v28, s15, v1
	v_subrev_co_ci_u32_e32 v4, vcc_lo, 0, v4, vcc_lo
	s_mov_b32 s37, 0
	s_delay_alu instid0(VALU_DEP_4) | instskip(SKIP_3) | instid1(VALU_DEP_4)
	v_add3_u32 v8, v23, v26, v8
	v_mul_lo_u32 v29, s21, v25
	v_mad_u64_u32 v[23:24], null, s20, v25, s[18:19]
	v_mad_u64_u32 v[25:26], null, s14, v1, v[19:20]
	v_mul_lo_u32 v8, s20, v8
	s_delay_alu instid0(VALU_DEP_2) | instskip(NEXT) | instid1(VALU_DEP_2)
	v_add3_u32 v26, v28, v26, v27
	v_add3_u32 v24, v29, v24, v8
	s_branch .LBB140_25
.LBB140_24:                             ;   in Loop: Header=BB140_25 Depth=2
	s_or_b32 exec_lo, exec_lo, s50
	v_add_co_u32 v1, vcc_lo, v1, 1
	v_add_co_ci_u32_e32 v2, vcc_lo, 0, v2, vcc_lo
	v_add_co_u32 v23, vcc_lo, v23, s14
	v_add_co_ci_u32_e32 v24, vcc_lo, s15, v24, vcc_lo
	s_delay_alu instid0(VALU_DEP_3) | instskip(SKIP_1) | instid1(VALU_DEP_1)
	v_cmp_ge_i64_e32 vcc_lo, v[1:2], v[3:4]
	v_add_co_u32 v25, s0, v25, s14
	v_add_co_ci_u32_e64 v26, s0, s15, v26, s0
	s_or_b32 s37, vcc_lo, s37
	s_delay_alu instid0(SALU_CYCLE_1)
	s_and_not1_b32 exec_lo, exec_lo, s37
	s_cbranch_execz .LBB140_21
.LBB140_25:                             ;   Parent Loop BB140_22 Depth=1
                                        ; =>  This Loop Header: Depth=2
                                        ;       Child Loop BB140_32 Depth 3
                                        ;       Child Loop BB140_28 Depth 3
	;; [unrolled: 1-line block ×3, first 2 shown]
	s_and_saveexec_b32 s50, s47
	s_cbranch_execz .LBB140_24
; %bb.26:                               ;   in Loop: Header=BB140_25 Depth=2
	v_lshlrev_b64 v[27:28], 3, v[1:2]
	s_delay_alu instid0(VALU_DEP_1) | instskip(NEXT) | instid1(VALU_DEP_2)
	v_add_co_u32 v27, vcc_lo, s16, v27
	v_add_co_ci_u32_e32 v28, vcc_lo, s17, v28, vcc_lo
	s_and_not1_b32 vcc_lo, exec_lo, s46
	global_load_b64 v[27:28], v[27:28], off
	s_cbranch_vccnz .LBB140_30
; %bb.27:                               ;   in Loop: Header=BB140_25 Depth=2
	v_mov_b32_e32 v30, v24
	v_dual_mov_b32 v32, v18 :: v_dual_mov_b32 v37, 0
	v_dual_mov_b32 v8, 0 :: v_dual_mov_b32 v29, v23
	v_mov_b32_e32 v31, v17
	s_mov_b64 s[0:1], s[20:21]
	.p2align	6
.LBB140_28:                             ;   Parent Loop BB140_22 Depth=1
                                        ;     Parent Loop BB140_25 Depth=2
                                        ; =>    This Inner Loop Header: Depth=3
	global_load_b64 v[38:39], v[31:32], off offset:-4
	global_load_b64 v[40:41], v[29:30], off offset:-4
	v_add_co_u32 v31, vcc_lo, v31, s24
	v_add_co_ci_u32_e32 v32, vcc_lo, s25, v32, vcc_lo
	v_add_co_u32 v29, vcc_lo, v29, 8
	v_add_co_ci_u32_e32 v30, vcc_lo, 0, v30, vcc_lo
	s_add_u32 s0, s0, -1
	s_addc_u32 s1, s1, -1
	s_delay_alu instid0(SALU_CYCLE_1) | instskip(SKIP_3) | instid1(VALU_DEP_2)
	s_cmp_lg_u64 s[0:1], 0
	s_waitcnt vmcnt(0)
	v_fmac_f32_e32 v8, v38, v40
	v_fmac_f32_e32 v37, v39, v40
	v_fma_f32 v8, -v39, v41, v8
	s_delay_alu instid0(VALU_DEP_2)
	v_fmac_f32_e32 v37, v38, v41
	s_cbranch_scc1 .LBB140_28
; %bb.29:                               ;   in Loop: Header=BB140_25 Depth=2
	s_branch .LBB140_33
.LBB140_30:                             ;   in Loop: Header=BB140_25 Depth=2
                                        ; implicit-def: $vgpr8
                                        ; implicit-def: $vgpr37
	s_cbranch_execz .LBB140_33
; %bb.31:                               ;   in Loop: Header=BB140_25 Depth=2
	v_mov_b32_e32 v30, v22
	v_dual_mov_b32 v32, v26 :: v_dual_mov_b32 v37, 0
	v_dual_mov_b32 v8, 0 :: v_dual_mov_b32 v29, v21
	v_mov_b32_e32 v31, v25
	s_mov_b64 s[0:1], s[20:21]
	.p2align	6
.LBB140_32:                             ;   Parent Loop BB140_22 Depth=1
                                        ;     Parent Loop BB140_25 Depth=2
                                        ; =>    This Inner Loop Header: Depth=3
	global_load_b64 v[38:39], v[29:30], off offset:-4
	global_load_b64 v[40:41], v[31:32], off offset:-4
	v_add_co_u32 v31, vcc_lo, v31, s24
	v_add_co_ci_u32_e32 v32, vcc_lo, s25, v32, vcc_lo
	v_add_co_u32 v29, vcc_lo, v29, 8
	v_add_co_ci_u32_e32 v30, vcc_lo, 0, v30, vcc_lo
	s_add_u32 s0, s0, -1
	s_addc_u32 s1, s1, -1
	s_delay_alu instid0(SALU_CYCLE_1) | instskip(SKIP_3) | instid1(VALU_DEP_2)
	s_cmp_eq_u64 s[0:1], 0
	s_waitcnt vmcnt(0)
	v_fmac_f32_e32 v8, v38, v40
	v_fmac_f32_e32 v37, v39, v40
	v_fma_f32 v8, -v39, v41, v8
	s_delay_alu instid0(VALU_DEP_2)
	v_fmac_f32_e32 v37, v38, v41
	s_cbranch_scc0 .LBB140_32
.LBB140_33:                             ;   in Loop: Header=BB140_25 Depth=2
	s_delay_alu instid0(VALU_DEP_1)
	v_mul_f32_e64 v31, v37, -s35
	v_mul_f32_e32 v32, s48, v37
	s_waitcnt vmcnt(0)
	v_sub_co_u32 v27, vcc_lo, v27, s28
	v_subrev_co_ci_u32_e32 v28, vcc_lo, 0, v28, vcc_lo
	v_fmac_f32_e32 v31, s48, v8
	v_fmac_f32_e32 v32, s35, v8
	s_delay_alu instid0(VALU_DEP_4)
	v_and_b32_e32 v8, 7, v27
	s_mov_b32 s0, 0
	s_branch .LBB140_35
.LBB140_34:                             ;   in Loop: Header=BB140_35 Depth=3
	s_or_b32 exec_lo, exec_lo, s1
	s_xor_b32 s1, s51, -1
	s_delay_alu instid0(SALU_CYCLE_1) | instskip(NEXT) | instid1(SALU_CYCLE_1)
	s_and_b32 s1, exec_lo, s1
	s_or_b32 s0, s1, s0
	s_delay_alu instid0(SALU_CYCLE_1)
	s_and_not1_b32 exec_lo, exec_lo, s0
	s_cbranch_execz .LBB140_24
.LBB140_35:                             ;   Parent Loop BB140_22 Depth=1
                                        ;     Parent Loop BB140_25 Depth=2
                                        ; =>    This Inner Loop Header: Depth=3
	s_delay_alu instid0(VALU_DEP_1)
	v_lshl_add_u32 v37, v8, 3, v33
	s_mov_b32 s1, exec_lo
                                        ; implicit-def: $sgpr51
	ds_load_b64 v[29:30], v37
	s_waitcnt lgkmcnt(0)
	v_cmpx_ne_u64_e64 v[29:30], v[27:28]
	s_xor_b32 s1, exec_lo, s1
	s_cbranch_execz .LBB140_43
; %bb.36:                               ;   in Loop: Header=BB140_35 Depth=3
	s_mov_b32 s52, exec_lo
                                        ; implicit-def: $sgpr51
	v_cmpx_ne_u64_e64 s[42:43], v[29:30]
	s_xor_b32 s52, exec_lo, s52
; %bb.37:                               ;   in Loop: Header=BB140_35 Depth=3
	v_add_nc_u32_e32 v8, 1, v8
	s_mov_b32 s51, -1
                                        ; implicit-def: $vgpr37
	s_delay_alu instid0(VALU_DEP_1)
	v_and_b32_e32 v8, 7, v8
; %bb.38:                               ;   in Loop: Header=BB140_35 Depth=3
	s_and_not1_saveexec_b32 s52, s52
	s_cbranch_execz .LBB140_42
; %bb.39:                               ;   in Loop: Header=BB140_35 Depth=3
	v_dual_mov_b32 v29, s42 :: v_dual_mov_b32 v30, s43
	s_mov_b32 s53, -1
	s_mov_b32 s54, exec_lo
	ds_cmpstore_rtn_b64 v[29:30], v37, v[27:28], v[29:30]
	s_waitcnt lgkmcnt(0)
	v_cmpx_eq_u64_e64 s[42:43], v[29:30]
	s_cbranch_execz .LBB140_41
; %bb.40:                               ;   in Loop: Header=BB140_35 Depth=3
	v_lshl_add_u32 v29, v8, 9, v6
	s_xor_b32 s53, exec_lo, -1
	ds_add_f32 v29, v31
	ds_add_f32 v29, v32 offset:4
.LBB140_41:                             ;   in Loop: Header=BB140_35 Depth=3
	s_or_b32 exec_lo, exec_lo, s54
	s_delay_alu instid0(SALU_CYCLE_1) | instskip(SKIP_1) | instid1(SALU_CYCLE_1)
	s_and_not1_b32 s51, s51, exec_lo
	s_and_b32 s53, s53, exec_lo
	s_or_b32 s51, s51, s53
.LBB140_42:                             ;   in Loop: Header=BB140_35 Depth=3
	s_or_b32 exec_lo, exec_lo, s52
	s_delay_alu instid0(SALU_CYCLE_1)
	s_and_b32 s51, s51, exec_lo
.LBB140_43:                             ;   in Loop: Header=BB140_35 Depth=3
	s_and_not1_saveexec_b32 s1, s1
	s_cbranch_execz .LBB140_34
; %bb.44:                               ;   in Loop: Header=BB140_35 Depth=3
	v_lshl_add_u32 v29, v8, 9, v6
	s_and_not1_b32 s51, s51, exec_lo
	ds_add_f32 v29, v31
	ds_add_f32 v29, v32 offset:4
	s_branch .LBB140_34
.LBB140_45:
	s_or_b32 exec_lo, exec_lo, s45
.LBB140_46:
	s_delay_alu instid0(SALU_CYCLE_1)
	s_and_not1_b32 vcc_lo, exec_lo, s49
	s_waitcnt lgkmcnt(0)
	s_barrier
	buffer_gl0_inv
	s_cbranch_vccnz .LBB140_64
; %bb.47:
	v_add_co_u32 v1, vcc_lo, s22, v9
	v_add_co_ci_u32_e32 v2, vcc_lo, s23, v10, vcc_lo
	s_mov_b32 s13, exec_lo
	global_load_b128 v[1:4], v[1:2], off
	s_waitcnt vmcnt(0)
	v_cmpx_lt_i64_e64 v[1:2], v[3:4]
	s_cbranch_execz .LBB140_63
; %bb.48:
	v_mad_u64_u32 v[11:12], null, v7, s20, 0
	v_mad_u64_u32 v[13:14], null, v5, s20, 0
	v_mov_b32_e32 v8, 0
	v_sub_co_u32 v3, vcc_lo, v3, s39
	v_subrev_co_ci_u32_e32 v4, vcc_lo, 0, v4, vcc_lo
	v_dual_mov_b32 v6, v12 :: v_dual_lshlrev_b32 v17, 3, v7
	v_sub_co_u32 v1, vcc_lo, v1, s39
	v_subrev_co_ci_u32_e32 v2, vcc_lo, 0, v2, vcc_lo
	s_delay_alu instid0(VALU_DEP_3)
	v_mad_u64_u32 v[15:16], null, v7, s21, v[6:7]
	v_mov_b32_e32 v6, v14
	v_cmp_gt_i64_e32 vcc_lo, s[20:21], v[7:8]
	v_and_b32_e32 v18, 56, v0
	s_cmp_eq_u32 s41, 0
	s_mov_b32 s14, 0
	s_cselect_b32 s1, -1, 0
	s_delay_alu instid0(VALU_DEP_4) | instskip(SKIP_2) | instid1(VALU_DEP_3)
	v_mov_b32_e32 v12, v15
	v_mad_u64_u32 v[14:15], null, v5, s21, v[6:7]
	v_mov_b32_e32 v6, v8
	v_lshlrev_b64 v[11:12], 3, v[11:12]
	s_delay_alu instid0(VALU_DEP_2) | instskip(NEXT) | instid1(VALU_DEP_2)
	v_lshlrev_b64 v[15:16], 3, v[5:6]
	v_add_co_u32 v8, s0, s6, v11
	s_delay_alu instid0(VALU_DEP_1) | instskip(SKIP_1) | instid1(VALU_DEP_3)
	v_add_co_ci_u32_e64 v19, s0, s7, v12, s0
	v_lshlrev_b64 v[11:12], 3, v[13:14]
	v_add_co_u32 v13, s0, v8, v15
	s_delay_alu instid0(VALU_DEP_1) | instskip(SKIP_1) | instid1(VALU_DEP_4)
	v_add_co_ci_u32_e64 v8, s0, v19, v16, s0
	v_lshlrev_b32_e32 v14, 3, v18
	v_add_co_u32 v11, s0, s6, v11
	s_delay_alu instid0(VALU_DEP_1) | instskip(SKIP_1) | instid1(VALU_DEP_2)
	v_add_co_ci_u32_e64 v12, s0, s7, v12, s0
	s_add_i32 s6, s44, s40
	v_add_co_u32 v11, s0, v11, v17
	s_delay_alu instid0(VALU_DEP_1) | instskip(SKIP_2) | instid1(VALU_DEP_4)
	v_add_co_ci_u32_e64 v12, s0, 0, v12, s0
	v_cmp_gt_u64_e64 s0, s[20:21], v[5:6]
	v_add3_u32 v6, v36, v17, v14
	v_cndmask_b32_e64 v15, v13, v11, s1
	s_delay_alu instid0(VALU_DEP_4)
	v_cndmask_b32_e64 v8, v8, v12, s1
	s_mov_b32 s1, s39
	s_add_i32 s6, s6, s40
	s_and_b32 s0, vcc_lo, s0
	s_branch .LBB140_50
.LBB140_49:                             ;   in Loop: Header=BB140_50 Depth=1
	s_or_b32 exec_lo, exec_lo, s7
	v_add_co_u32 v1, vcc_lo, v1, 1
	v_add_co_ci_u32_e32 v2, vcc_lo, 0, v2, vcc_lo
	s_delay_alu instid0(VALU_DEP_1) | instskip(SKIP_1) | instid1(SALU_CYCLE_1)
	v_cmp_ge_i64_e32 vcc_lo, v[1:2], v[3:4]
	s_or_b32 s14, vcc_lo, s14
	s_and_not1_b32 exec_lo, exec_lo, s14
	s_cbranch_execz .LBB140_63
.LBB140_50:                             ; =>This Loop Header: Depth=1
                                        ;     Child Loop BB140_53 Depth 2
	s_and_saveexec_b32 s7, s0
	s_cbranch_execz .LBB140_49
; %bb.51:                               ;   in Loop: Header=BB140_50 Depth=1
	v_mul_lo_u32 v13, s6, v1
	v_mul_lo_u32 v14, s12, v2
	v_mad_u64_u32 v[11:12], null, s12, v1, 0
	s_mov_b32 s15, 0
	s_delay_alu instid0(VALU_DEP_1) | instskip(SKIP_1) | instid1(VALU_DEP_2)
	v_add3_u32 v12, v12, v14, v13
	v_lshlrev_b64 v[13:14], 3, v[1:2]
	v_lshlrev_b64 v[11:12], 3, v[11:12]
	s_delay_alu instid0(VALU_DEP_1) | instskip(NEXT) | instid1(VALU_DEP_2)
	v_add_co_u32 v11, vcc_lo, v15, v11
	v_add_co_ci_u32_e32 v12, vcc_lo, v8, v12, vcc_lo
	s_delay_alu instid0(VALU_DEP_4)
	v_add_co_u32 v13, vcc_lo, s4, v13
	v_add_co_ci_u32_e32 v14, vcc_lo, s5, v14, vcc_lo
	global_load_b64 v[18:19], v[11:12], off
	global_load_b64 v[11:12], v[13:14], off
	s_waitcnt vmcnt(1)
	v_mul_f32_e64 v16, v19, -s34
	v_mul_f32_e32 v17, s33, v19
	s_waitcnt vmcnt(0)
	v_sub_co_u32 v11, vcc_lo, v11, s1
	v_subrev_co_ci_u32_e32 v12, vcc_lo, 0, v12, vcc_lo
	v_fmac_f32_e32 v16, s33, v18
	s_delay_alu instid0(VALU_DEP_3)
	v_dual_fmac_f32 v17, s34, v18 :: v_dual_and_b32 v18, 7, v11
	s_branch .LBB140_53
.LBB140_52:                             ;   in Loop: Header=BB140_53 Depth=2
	s_or_b32 exec_lo, exec_lo, s16
	s_xor_b32 s16, s17, -1
	s_delay_alu instid0(SALU_CYCLE_1) | instskip(NEXT) | instid1(SALU_CYCLE_1)
	s_and_b32 s16, exec_lo, s16
	s_or_b32 s15, s16, s15
	s_delay_alu instid0(SALU_CYCLE_1)
	s_and_not1_b32 exec_lo, exec_lo, s15
	s_cbranch_execz .LBB140_49
.LBB140_53:                             ;   Parent Loop BB140_50 Depth=1
                                        ; =>  This Inner Loop Header: Depth=2
	s_delay_alu instid0(VALU_DEP_1)
	v_lshl_add_u32 v19, v18, 3, v33
	s_mov_b32 s16, exec_lo
                                        ; implicit-def: $sgpr17
	ds_load_b64 v[13:14], v19
	s_waitcnt lgkmcnt(0)
	v_cmpx_ne_u64_e64 v[13:14], v[11:12]
	s_xor_b32 s16, exec_lo, s16
	s_cbranch_execz .LBB140_61
; %bb.54:                               ;   in Loop: Header=BB140_53 Depth=2
	s_mov_b32 s18, exec_lo
                                        ; implicit-def: $sgpr17
	v_cmpx_ne_u64_e64 s[42:43], v[13:14]
	s_xor_b32 s18, exec_lo, s18
; %bb.55:                               ;   in Loop: Header=BB140_53 Depth=2
	v_add_nc_u32_e32 v13, 1, v18
	s_mov_b32 s17, -1
                                        ; implicit-def: $vgpr19
	s_delay_alu instid0(VALU_DEP_1)
	v_and_b32_e32 v18, 7, v13
; %bb.56:                               ;   in Loop: Header=BB140_53 Depth=2
	s_and_not1_saveexec_b32 s18, s18
	s_cbranch_execz .LBB140_60
; %bb.57:                               ;   in Loop: Header=BB140_53 Depth=2
	v_dual_mov_b32 v13, s42 :: v_dual_mov_b32 v14, s43
	s_mov_b32 s19, -1
	s_mov_b32 s22, exec_lo
	ds_cmpstore_rtn_b64 v[13:14], v19, v[11:12], v[13:14]
	s_waitcnt lgkmcnt(0)
	v_cmpx_eq_u64_e64 s[42:43], v[13:14]
	s_cbranch_execz .LBB140_59
; %bb.58:                               ;   in Loop: Header=BB140_53 Depth=2
	v_lshl_add_u32 v13, v18, 9, v6
	s_xor_b32 s19, exec_lo, -1
	ds_add_f32 v13, v16
	ds_add_f32 v13, v17 offset:4
.LBB140_59:                             ;   in Loop: Header=BB140_53 Depth=2
	s_or_b32 exec_lo, exec_lo, s22
	s_delay_alu instid0(SALU_CYCLE_1) | instskip(SKIP_1) | instid1(SALU_CYCLE_1)
	s_and_not1_b32 s17, s17, exec_lo
	s_and_b32 s19, s19, exec_lo
	s_or_b32 s17, s17, s19
.LBB140_60:                             ;   in Loop: Header=BB140_53 Depth=2
	s_or_b32 exec_lo, exec_lo, s18
	s_delay_alu instid0(SALU_CYCLE_1)
	s_and_b32 s17, s17, exec_lo
.LBB140_61:                             ;   in Loop: Header=BB140_53 Depth=2
	s_and_not1_saveexec_b32 s16, s16
	s_cbranch_execz .LBB140_52
; %bb.62:                               ;   in Loop: Header=BB140_53 Depth=2
	v_lshl_add_u32 v13, v18, 9, v6
	s_and_not1_b32 s17, s17, exec_lo
	ds_add_f32 v13, v16
	ds_add_f32 v13, v17 offset:4
	s_branch .LBB140_52
.LBB140_63:
	s_or_b32 exec_lo, exec_lo, s13
.LBB140_64:
	v_add_co_u32 v1, vcc_lo, s8, v9
	v_add_co_ci_u32_e32 v2, vcc_lo, s9, v10, vcc_lo
	s_waitcnt lgkmcnt(0)
	s_barrier
	buffer_gl0_inv
	global_load_b64 v[1:2], v[1:2], off
	v_mad_u64_u32 v[3:4], null, v5, s20, 0
	s_cmp_eq_u32 s41, 0
	v_and_b32_e32 v0, 56, v0
	s_cselect_b32 vcc_lo, -1, 0
	v_mov_b32_e32 v8, 0
	s_add_i32 s4, s44, s40
	s_delay_alu instid0(VALU_DEP_3) | instskip(SKIP_1) | instid1(VALU_DEP_1)
	v_mad_u64_u32 v[9:10], null, v5, s21, v[4:5]
	v_lshlrev_b32_e32 v10, 3, v7
	v_cndmask_b32_e32 v0, v10, v0, vcc_lo
	s_delay_alu instid0(VALU_DEP_3) | instskip(SKIP_2) | instid1(VALU_DEP_3)
	v_mov_b32_e32 v4, v9
	v_dual_cndmask_b32 v9, v5, v7 :: v_dual_mov_b32 v6, v8
	v_cmp_gt_i64_e32 vcc_lo, s[20:21], v[7:8]
	v_lshlrev_b64 v[3:4], 3, v[3:4]
	s_delay_alu instid0(VALU_DEP_3) | instskip(NEXT) | instid1(VALU_DEP_4)
	v_or_b32_e32 v0, v9, v0
	v_cmp_gt_u64_e64 s0, s[20:21], v[5:6]
	v_lshl_or_b32 v9, v34, 6, 0x4000
	s_delay_alu instid0(VALU_DEP_4) | instskip(NEXT) | instid1(VALU_DEP_1)
	v_add_co_u32 v3, s1, s2, v3
	v_add_co_ci_u32_e64 v6, s1, s3, v4, s1
	v_lshl_add_u32 v4, v0, 3, v35
	s_delay_alu instid0(VALU_DEP_3) | instskip(NEXT) | instid1(VALU_DEP_1)
	v_add_co_u32 v5, s1, v3, v10
	v_add_co_ci_u32_e64 v6, s1, 0, v6, s1
	s_add_i32 s2, s4, s40
	s_and_b32 s0, vcc_lo, s0
	s_waitcnt vmcnt(0)
	v_sub_co_u32 v7, s1, v1, s38
	s_delay_alu instid0(VALU_DEP_1)
	v_subrev_co_ci_u32_e64 v8, s1, 0, v2, s1
	s_mov_b32 s1, 0
	s_branch .LBB140_66
.LBB140_65:                             ;   in Loop: Header=BB140_66 Depth=1
	s_or_b32 exec_lo, exec_lo, s3
	v_add_nc_u32_e32 v4, 0x200, v4
	s_add_i32 s1, s1, 8
	s_delay_alu instid0(SALU_CYCLE_1)
	s_cmp_lg_u32 s1, 64
	s_cbranch_scc0 .LBB140_69
.LBB140_66:                             ; =>This Inner Loop Header: Depth=1
	v_add_nc_u32_e32 v0, s1, v9
	s_mov_b32 s3, exec_lo
	ds_load_b64 v[0:1], v0
	s_waitcnt lgkmcnt(0)
	v_cmpx_gt_i64_e64 s[42:43], v[0:1]
	s_cbranch_execz .LBB140_65
; %bb.67:                               ;   in Loop: Header=BB140_66 Depth=1
	ds_load_b128 v[10:13], v33
	ds_load_b128 v[14:17], v33 offset:16
	ds_load_b128 v[18:21], v33 offset:32
	;; [unrolled: 1-line block ×3, first 2 shown]
	s_waitcnt lgkmcnt(3)
	v_cmp_gt_i64_e32 vcc_lo, v[0:1], v[10:11]
	v_cndmask_b32_e64 v2, 0, 1, vcc_lo
	v_cmp_gt_i64_e32 vcc_lo, v[0:1], v[12:13]
	v_cndmask_b32_e64 v3, 0, 1, vcc_lo
	s_delay_alu instid0(VALU_DEP_3)
	v_add_co_u32 v2, vcc_lo, v7, v2
	v_add_co_ci_u32_e32 v10, vcc_lo, 0, v8, vcc_lo
	s_waitcnt lgkmcnt(2)
	v_cmp_gt_i64_e32 vcc_lo, v[0:1], v[14:15]
	v_cndmask_b32_e64 v11, 0, 1, vcc_lo
	v_add_co_u32 v2, vcc_lo, v2, v3
	v_add_co_ci_u32_e32 v3, vcc_lo, 0, v10, vcc_lo
	v_cmp_gt_i64_e32 vcc_lo, v[0:1], v[16:17]
	v_cndmask_b32_e64 v10, 0, 1, vcc_lo
	s_delay_alu instid0(VALU_DEP_4) | instskip(NEXT) | instid1(VALU_DEP_4)
	v_add_co_u32 v2, vcc_lo, v2, v11
	v_add_co_ci_u32_e32 v3, vcc_lo, 0, v3, vcc_lo
	s_waitcnt lgkmcnt(1)
	v_cmp_gt_i64_e32 vcc_lo, v[0:1], v[18:19]
	v_cndmask_b32_e64 v11, 0, 1, vcc_lo
	v_add_co_u32 v2, vcc_lo, v2, v10
	v_add_co_ci_u32_e32 v3, vcc_lo, 0, v3, vcc_lo
	v_cmp_gt_i64_e32 vcc_lo, v[0:1], v[20:21]
	v_cndmask_b32_e64 v10, 0, 1, vcc_lo
	s_delay_alu instid0(VALU_DEP_4) | instskip(NEXT) | instid1(VALU_DEP_4)
	;; [unrolled: 10-line block ×3, first 2 shown]
	v_add_co_u32 v2, vcc_lo, v2, v11
	v_add_co_ci_u32_e32 v3, vcc_lo, 0, v3, vcc_lo
	s_delay_alu instid0(VALU_DEP_2) | instskip(NEXT) | instid1(VALU_DEP_2)
	v_add_co_u32 v2, vcc_lo, v2, v10
	v_add_co_ci_u32_e32 v3, vcc_lo, 0, v3, vcc_lo
	v_add_co_u32 v0, vcc_lo, v0, s38
	v_add_co_ci_u32_e32 v1, vcc_lo, 0, v1, vcc_lo
	s_delay_alu instid0(VALU_DEP_3) | instskip(NEXT) | instid1(VALU_DEP_1)
	v_lshlrev_b64 v[10:11], 3, v[2:3]
	v_add_co_u32 v10, vcc_lo, s10, v10
	s_delay_alu instid0(VALU_DEP_2)
	v_add_co_ci_u32_e32 v11, vcc_lo, s11, v11, vcc_lo
	global_store_b64 v[10:11], v[0:1], off
	s_and_b32 exec_lo, exec_lo, s0
	s_cbranch_execz .LBB140_65
; %bb.68:                               ;   in Loop: Header=BB140_66 Depth=1
	v_mul_lo_u32 v10, s2, v2
	v_mul_lo_u32 v11, s12, v3
	v_mad_u64_u32 v[0:1], null, s12, v2, 0
	ds_load_b64 v[2:3], v4
	v_add3_u32 v1, v1, v11, v10
	s_delay_alu instid0(VALU_DEP_1) | instskip(NEXT) | instid1(VALU_DEP_1)
	v_lshlrev_b64 v[0:1], 3, v[0:1]
	v_add_co_u32 v0, vcc_lo, v5, v0
	s_delay_alu instid0(VALU_DEP_2)
	v_add_co_ci_u32_e32 v1, vcc_lo, v6, v1, vcc_lo
	s_waitcnt lgkmcnt(0)
	global_store_b64 v[0:1], v[2:3], off
	s_branch .LBB140_65
.LBB140_69:
	s_nop 0
	s_sendmsg sendmsg(MSG_DEALLOC_VGPRS)
	s_endpgm
	.section	.rodata,"a",@progbits
	.p2align	6, 0x0
	.amdhsa_kernel _ZN9rocsparseL23bsrgemm_fill_wf_per_rowILj256ELj64ELj8ELj137ELj8Ell21rocsparse_complex_numIfEEEv20rocsparse_direction_T5_S4_S4_PKS4_S6_NS_24const_host_device_scalarIT6_EEPKT4_S6_PKS8_SC_S6_SE_S9_SC_S6_SE_SC_PS4_PS8_21rocsparse_index_base_SH_SH_SH_bbb
		.amdhsa_group_segment_fixed_size 16640
		.amdhsa_private_segment_fixed_size 0
		.amdhsa_kernarg_size 180
		.amdhsa_user_sgpr_count 15
		.amdhsa_user_sgpr_dispatch_ptr 0
		.amdhsa_user_sgpr_queue_ptr 0
		.amdhsa_user_sgpr_kernarg_segment_ptr 1
		.amdhsa_user_sgpr_dispatch_id 0
		.amdhsa_user_sgpr_private_segment_size 0
		.amdhsa_wavefront_size32 1
		.amdhsa_uses_dynamic_stack 0
		.amdhsa_enable_private_segment 0
		.amdhsa_system_sgpr_workgroup_id_x 1
		.amdhsa_system_sgpr_workgroup_id_y 0
		.amdhsa_system_sgpr_workgroup_id_z 0
		.amdhsa_system_sgpr_workgroup_info 0
		.amdhsa_system_vgpr_workitem_id 0
		.amdhsa_next_free_vgpr 42
		.amdhsa_next_free_sgpr 55
		.amdhsa_reserve_vcc 1
		.amdhsa_float_round_mode_32 0
		.amdhsa_float_round_mode_16_64 0
		.amdhsa_float_denorm_mode_32 3
		.amdhsa_float_denorm_mode_16_64 3
		.amdhsa_dx10_clamp 1
		.amdhsa_ieee_mode 1
		.amdhsa_fp16_overflow 0
		.amdhsa_workgroup_processor_mode 1
		.amdhsa_memory_ordered 1
		.amdhsa_forward_progress 0
		.amdhsa_shared_vgpr_count 0
		.amdhsa_exception_fp_ieee_invalid_op 0
		.amdhsa_exception_fp_denorm_src 0
		.amdhsa_exception_fp_ieee_div_zero 0
		.amdhsa_exception_fp_ieee_overflow 0
		.amdhsa_exception_fp_ieee_underflow 0
		.amdhsa_exception_fp_ieee_inexact 0
		.amdhsa_exception_int_div_zero 0
	.end_amdhsa_kernel
	.section	.text._ZN9rocsparseL23bsrgemm_fill_wf_per_rowILj256ELj64ELj8ELj137ELj8Ell21rocsparse_complex_numIfEEEv20rocsparse_direction_T5_S4_S4_PKS4_S6_NS_24const_host_device_scalarIT6_EEPKT4_S6_PKS8_SC_S6_SE_S9_SC_S6_SE_SC_PS4_PS8_21rocsparse_index_base_SH_SH_SH_bbb,"axG",@progbits,_ZN9rocsparseL23bsrgemm_fill_wf_per_rowILj256ELj64ELj8ELj137ELj8Ell21rocsparse_complex_numIfEEEv20rocsparse_direction_T5_S4_S4_PKS4_S6_NS_24const_host_device_scalarIT6_EEPKT4_S6_PKS8_SC_S6_SE_S9_SC_S6_SE_SC_PS4_PS8_21rocsparse_index_base_SH_SH_SH_bbb,comdat
.Lfunc_end140:
	.size	_ZN9rocsparseL23bsrgemm_fill_wf_per_rowILj256ELj64ELj8ELj137ELj8Ell21rocsparse_complex_numIfEEEv20rocsparse_direction_T5_S4_S4_PKS4_S6_NS_24const_host_device_scalarIT6_EEPKT4_S6_PKS8_SC_S6_SE_S9_SC_S6_SE_SC_PS4_PS8_21rocsparse_index_base_SH_SH_SH_bbb, .Lfunc_end140-_ZN9rocsparseL23bsrgemm_fill_wf_per_rowILj256ELj64ELj8ELj137ELj8Ell21rocsparse_complex_numIfEEEv20rocsparse_direction_T5_S4_S4_PKS4_S6_NS_24const_host_device_scalarIT6_EEPKT4_S6_PKS8_SC_S6_SE_S9_SC_S6_SE_SC_PS4_PS8_21rocsparse_index_base_SH_SH_SH_bbb
                                        ; -- End function
	.section	.AMDGPU.csdata,"",@progbits
; Kernel info:
; codeLenInByte = 3452
; NumSgprs: 57
; NumVgprs: 42
; ScratchSize: 0
; MemoryBound: 0
; FloatMode: 240
; IeeeMode: 1
; LDSByteSize: 16640 bytes/workgroup (compile time only)
; SGPRBlocks: 7
; VGPRBlocks: 5
; NumSGPRsForWavesPerEU: 57
; NumVGPRsForWavesPerEU: 42
; Occupancy: 14
; WaveLimiterHint : 1
; COMPUTE_PGM_RSRC2:SCRATCH_EN: 0
; COMPUTE_PGM_RSRC2:USER_SGPR: 15
; COMPUTE_PGM_RSRC2:TRAP_HANDLER: 0
; COMPUTE_PGM_RSRC2:TGID_X_EN: 1
; COMPUTE_PGM_RSRC2:TGID_Y_EN: 0
; COMPUTE_PGM_RSRC2:TGID_Z_EN: 0
; COMPUTE_PGM_RSRC2:TIDIG_COMP_CNT: 0
	.section	.text._ZN9rocsparseL38bsrgemm_block_per_row_atomic_multipassILj256ELj16ELj8Ell21rocsparse_complex_numIfEEEv20rocsparse_direction_T3_S4_PKS4_S6_NS_24const_host_device_scalarIT4_EEPKT2_S6_PKS8_SC_S6_SE_S9_SC_S6_SE_SC_PS4_PS8_PSA_21rocsparse_index_base_SI_SI_SI_bbb,"axG",@progbits,_ZN9rocsparseL38bsrgemm_block_per_row_atomic_multipassILj256ELj16ELj8Ell21rocsparse_complex_numIfEEEv20rocsparse_direction_T3_S4_PKS4_S6_NS_24const_host_device_scalarIT4_EEPKT2_S6_PKS8_SC_S6_SE_S9_SC_S6_SE_SC_PS4_PS8_PSA_21rocsparse_index_base_SI_SI_SI_bbb,comdat
	.globl	_ZN9rocsparseL38bsrgemm_block_per_row_atomic_multipassILj256ELj16ELj8Ell21rocsparse_complex_numIfEEEv20rocsparse_direction_T3_S4_PKS4_S6_NS_24const_host_device_scalarIT4_EEPKT2_S6_PKS8_SC_S6_SE_S9_SC_S6_SE_SC_PS4_PS8_PSA_21rocsparse_index_base_SI_SI_SI_bbb ; -- Begin function _ZN9rocsparseL38bsrgemm_block_per_row_atomic_multipassILj256ELj16ELj8Ell21rocsparse_complex_numIfEEEv20rocsparse_direction_T3_S4_PKS4_S6_NS_24const_host_device_scalarIT4_EEPKT2_S6_PKS8_SC_S6_SE_S9_SC_S6_SE_SC_PS4_PS8_PSA_21rocsparse_index_base_SI_SI_SI_bbb
	.p2align	8
	.type	_ZN9rocsparseL38bsrgemm_block_per_row_atomic_multipassILj256ELj16ELj8Ell21rocsparse_complex_numIfEEEv20rocsparse_direction_T3_S4_PKS4_S6_NS_24const_host_device_scalarIT4_EEPKT2_S6_PKS8_SC_S6_SE_S9_SC_S6_SE_SC_PS4_PS8_PSA_21rocsparse_index_base_SI_SI_SI_bbb,@function
_ZN9rocsparseL38bsrgemm_block_per_row_atomic_multipassILj256ELj16ELj8Ell21rocsparse_complex_numIfEEEv20rocsparse_direction_T3_S4_PKS4_S6_NS_24const_host_device_scalarIT4_EEPKT2_S6_PKS8_SC_S6_SE_S9_SC_S6_SE_SC_PS4_PS8_PSA_21rocsparse_index_base_SI_SI_SI_bbb: ; @_ZN9rocsparseL38bsrgemm_block_per_row_atomic_multipassILj256ELj16ELj8Ell21rocsparse_complex_numIfEEEv20rocsparse_direction_T3_S4_PKS4_S6_NS_24const_host_device_scalarIT4_EEPKT2_S6_PKS8_SC_S6_SE_S9_SC_S6_SE_SC_PS4_PS8_PSA_21rocsparse_index_base_SI_SI_SI_bbb
; %bb.0:
	s_mov_b32 s2, s15
	s_clause 0x5
	s_load_b32 s44, s[0:1], 0xb0
	s_load_b256 s[8:15], s[0:1], 0x90
	s_load_b256 s[16:23], s[0:1], 0x70
	;; [unrolled: 1-line block ×3, first 2 shown]
	s_load_b128 s[4:7], s[0:1], 0x18
	s_load_b256 s[36:43], s[0:1], 0x30
	s_mov_b32 s35, 0
	s_mov_b32 s33, 0
	s_waitcnt lgkmcnt(0)
	s_bitcmp1_b32 s44, 0
	s_cselect_b32 s57, -1, 0
	s_bitcmp1_b32 s44, 16
	s_cselect_b32 s3, -1, 0
	s_delay_alu instid0(SALU_CYCLE_1)
	s_xor_b32 s3, s3, -1
	s_bitcmp0_b32 s44, 0
	s_cbranch_scc1 .LBB141_5
; %bb.1:
	s_load_b64 s[34:35], s[0:1], 0x28
	s_and_not1_b32 vcc_lo, exec_lo, s3
	s_waitcnt lgkmcnt(0)
	s_mov_b32 s33, s34
	s_cbranch_vccnz .LBB141_3
; %bb.2:
	s_load_b32 s33, s[34:35], 0x0
.LBB141_3:
	s_and_not1_b32 vcc_lo, exec_lo, s3
	s_cbranch_vccnz .LBB141_5
; %bb.4:
	s_load_b32 s35, s[34:35], 0x4
.LBB141_5:
	s_bitcmp1_b32 s44, 8
	s_mov_b32 s53, 0
	s_cselect_b32 s34, -1, 0
	s_bfe_u32 s44, s44, 0x10008
	s_mov_b32 s52, 0
	s_cmp_eq_u32 s44, 0
	s_cbranch_scc1 .LBB141_11
; %bb.6:
	v_cndmask_b32_e64 v1, 0, 1, s3
	s_and_not1_b32 vcc_lo, exec_lo, s3
	s_mov_b32 s52, s28
	s_cbranch_vccnz .LBB141_8
; %bb.7:
	s_load_b32 s52, s[28:29], 0x0
.LBB141_8:
	s_delay_alu instid0(VALU_DEP_1)
	v_cmp_ne_u32_e32 vcc_lo, 1, v1
	s_cbranch_vccnz .LBB141_10
; %bb.9:
	s_load_b32 s29, s[28:29], 0x4
.LBB141_10:
	s_waitcnt lgkmcnt(0)
	s_mov_b32 s53, s29
.LBB141_11:
	s_mov_b64 s[28:29], 0
	s_cmp_eq_u64 s[6:7], 0
	s_mov_b32 s3, 0
	s_cbranch_scc1 .LBB141_13
; %bb.12:
	s_load_b64 s[4:5], s[4:5], 0x0
	s_waitcnt lgkmcnt(0)
	s_lshl_b64 s[4:5], s[4:5], 3
	s_delay_alu instid0(SALU_CYCLE_1) | instskip(SKIP_2) | instid1(SALU_CYCLE_1)
	s_add_u32 s4, s6, s4
	s_addc_u32 s5, s7, s5
	s_lshl_b64 s[2:3], s[2:3], 3
	s_add_u32 s2, s4, s2
	s_addc_u32 s3, s5, s3
	s_load_b64 s[2:3], s[2:3], 0x0
.LBB141_13:
	s_and_not1_b32 vcc_lo, exec_lo, s57
	s_cbranch_vccz .LBB141_16
; %bb.14:
	s_and_not1_b32 vcc_lo, exec_lo, s57
	s_mov_b64 s[48:49], 0
	s_cbranch_vccz .LBB141_17
.LBB141_15:
	s_load_b128 s[44:47], s[0:1], 0x8
	s_waitcnt lgkmcnt(0)
	v_cmp_lt_i64_e64 s4, s[44:45], 1
	s_delay_alu instid0(VALU_DEP_1)
	s_and_b32 vcc_lo, exec_lo, s4
	s_cbranch_vccz .LBB141_18
	s_branch .LBB141_96
.LBB141_16:
	s_waitcnt lgkmcnt(0)
	s_lshl_b64 s[4:5], s[2:3], 3
	s_delay_alu instid0(SALU_CYCLE_1)
	s_add_u32 s4, s36, s4
	s_addc_u32 s5, s37, s5
	s_load_b64 s[4:5], s[4:5], 0x0
	s_waitcnt lgkmcnt(0)
	s_sub_u32 s28, s4, s12
	s_subb_u32 s29, s5, 0
	s_and_not1_b32 vcc_lo, exec_lo, s57
	s_mov_b64 s[48:49], 0
	s_cbranch_vccnz .LBB141_15
.LBB141_17:
	s_waitcnt lgkmcnt(0)
	s_lshl_b64 s[4:5], s[2:3], 3
	s_delay_alu instid0(SALU_CYCLE_1)
	s_add_u32 s4, s36, s4
	s_addc_u32 s5, s37, s5
	s_load_b64 s[4:5], s[4:5], 0x8
	s_waitcnt lgkmcnt(0)
	s_sub_u32 s48, s4, s12
	s_subb_u32 s49, s5, 0
	s_load_b128 s[44:47], s[0:1], 0x8
	s_waitcnt lgkmcnt(0)
	v_cmp_lt_i64_e64 s4, s[44:45], 1
	s_delay_alu instid0(VALU_DEP_1)
	s_and_b32 vcc_lo, exec_lo, s4
	s_cbranch_vccnz .LBB141_96
.LBB141_18:
	v_bfe_u32 v7, v0, 3, 3
	s_lshl_b64 s[50:51], s[2:3], 3
	v_and_b32_e32 v16, 15, v0
	s_add_u32 s2, s20, s50
	s_addc_u32 s3, s21, s51
	v_mad_u64_u32 v[5:6], null, v7, s46, 0
	v_and_b32_e32 v3, 7, v0
	s_load_b64 s[2:3], s[2:3], 0x0
	v_dual_mov_b32 v2, 0 :: v_dual_lshlrev_b32 v35, 3, v0
	s_mul_i32 s4, s46, s47
	s_mul_hi_u32 s7, s46, s46
	s_delay_alu instid0(VALU_DEP_3)
	v_mov_b32_e32 v4, v6
	s_load_b32 s5, s[0:1], 0x0
	v_and_b32_e32 v38, 56, v0
	v_lshrrev_b32_e32 v1, 6, v0
	v_cmp_lt_i64_e64 s6, s[28:29], s[48:49]
	v_mad_u64_u32 v[9:10], null, v7, s47, v[4:5]
	v_mad_u64_u32 v[10:11], null, v3, s46, 0
	v_and_b32_e32 v14, 63, v0
	v_mov_b32_e32 v4, v2
	s_mov_b32 s56, s15
	v_cmp_gt_u32_e64 s0, 16, v0
	v_dual_mov_b32 v6, v9 :: v_dual_lshlrev_b32 v17, 2, v16
	v_mov_b32_e32 v9, v11
	s_waitcnt lgkmcnt(0)
	s_sub_u32 s20, s2, s14
	s_subb_u32 s21, s3, 0
	v_lshlrev_b64 v[12:13], 3, v[5:6]
	s_add_i32 s2, s7, s4
	v_mad_u64_u32 v[5:6], null, v3, s47, v[9:10]
	v_mov_b32_e32 v8, v2
	s_add_i32 s37, s2, s4
	s_delay_alu instid0(VALU_DEP_3) | instskip(NEXT) | instid1(VALU_DEP_1)
	v_add_co_u32 v9, s2, s40, v12
	v_add_co_ci_u32_e64 v15, s2, s41, v13, s2
	s_delay_alu instid0(VALU_DEP_4)
	v_mov_b32_e32 v11, v5
	v_cmp_gt_u64_e32 vcc_lo, s[46:47], v[7:8]
	v_lshlrev_b32_e32 v5, 3, v3
	v_cmp_gt_i64_e64 s3, s[46:47], v[3:4]
	v_cmp_gt_i64_e64 s2, s[46:47], v[7:8]
	v_lshlrev_b64 v[7:8], 3, v[10:11]
	v_dual_mov_b32 v6, v2 :: v_dual_add_nc_u32 v45, 0x27f0, v17
	v_add_co_u32 v4, s4, v9, v5
	s_delay_alu instid0(VALU_DEP_4) | instskip(NEXT) | instid1(VALU_DEP_3)
	s_and_b32 s54, s3, s2
	v_add_co_u32 v9, s2, s8, v7
	s_delay_alu instid0(VALU_DEP_1) | instskip(SKIP_4) | instid1(VALU_DEP_1)
	v_add_co_ci_u32_e64 v10, s2, s9, v8, s2
	v_add_co_u32 v11, s2, s8, v12
	v_add_co_ci_u32_e64 v37, s4, 0, v15, s4
	v_add_co_ci_u32_e64 v15, s2, s9, v13, s2
	v_add_co_u32 v9, s2, v9, v38
	v_add_co_ci_u32_e64 v10, s2, 0, v10, s2
	v_add_co_u32 v11, s2, v11, v5
	s_delay_alu instid0(VALU_DEP_1) | instskip(SKIP_1) | instid1(VALU_DEP_1)
	v_add_co_ci_u32_e64 v15, s2, 0, v15, s2
	v_add_co_u32 v7, s2, s18, v7
	v_add_co_ci_u32_e64 v8, s2, s19, v8, s2
	s_cmp_eq_u32 s5, 0
	v_sub_co_u32 v39, s2, v1, s15
	v_add_co_u32 v18, s15, v16, -1
	s_cselect_b32 s7, -1, 0
	s_cmp_lg_u32 s5, 0
	v_sub_co_ci_u32_e64 v40, null, 0, 0, s2
	s_cselect_b32 s55, -1, 0
	s_add_u32 s30, s30, s50
	s_addc_u32 s31, s31, s51
	v_or_b32_e32 v41, 0x2800, v17
	v_lshl_add_u32 v42, v18, 2, 0x2800
	s_and_b32 s57, s57, s6
	s_and_b32 s58, s3, vcc_lo
	v_add_nc_u32_e32 v44, 0x27f8, v17
	v_add_nc_u32_e32 v46, 0x27e0, v17
	v_cndmask_b32_e64 v47, v10, v15, s7
	v_mov_b32_e32 v17, 16
	v_cmp_ne_u32_e64 s3, 0, v16
	v_cmp_lt_u32_e64 s4, 1, v16
	v_cmp_lt_u32_e64 s5, 3, v16
	;; [unrolled: 1-line block ×3, first 2 shown]
	v_mov_b32_e32 v15, 0
	v_add_co_u32 v7, s2, v7, v38
	s_delay_alu instid0(VALU_DEP_1) | instskip(SKIP_1) | instid1(VALU_DEP_1)
	v_add_co_ci_u32_e64 v8, s2, 0, v8, s2
	v_add_co_u32 v12, s2, s18, v12
	v_add_co_ci_u32_e64 v13, s2, s19, v13, s2
	v_cndmask_b32_e64 v48, v9, v11, s7
	s_delay_alu instid0(VALU_DEP_3) | instskip(NEXT) | instid1(VALU_DEP_1)
	v_add_co_u32 v12, s2, v12, v5
	v_add_co_ci_u32_e64 v13, s2, 0, v13, s2
	s_add_u32 s59, s42, 8
	s_delay_alu instid0(VALU_DEP_2) | instskip(SKIP_1) | instid1(VALU_DEP_2)
	v_cndmask_b32_e64 v9, v7, v12, s7
	s_addc_u32 s60, s43, 0
	v_cndmask_b32_e64 v10, v8, v13, s7
	v_mov_b32_e32 v13, v2
	v_dual_mov_b32 v16, 0 :: v_dual_lshlrev_b32 v7, 9, v1
	s_add_u32 s61, s22, -8
	s_addc_u32 s62, s23, -1
	v_add_co_u32 v9, vcc_lo, v9, 4
	s_add_u32 s18, s26, 4
	v_add_co_ci_u32_e32 v10, vcc_lo, 0, v10, vcc_lo
	s_addc_u32 s19, s27, 0
	v_or3_b32 v49, v7, v38, 0x2000
	s_movk_i32 s7, 0x7c0
	v_add_co_u32 v7, s8, s18, v5
	v_add_co_u32 v51, vcc_lo, v39, 4
	v_mov_b32_e32 v11, s20
	v_cmp_eq_u32_e64 s1, 0, v0
	v_or_b32_e32 v36, 0x2000, v35
	v_cmp_eq_u32_e64 s2, 63, v14
	v_lshl_or_b32 v43, v0, 2, 0x2800
	v_or_b32_e32 v0, 0xffffff00, v0
	v_add_co_ci_u32_e64 v8, null, s19, 0, s8
	v_and_or_b32 v50, v35, s7, 0x2000
	v_add_co_ci_u32_e32 v52, vcc_lo, 0, v40, vcc_lo
	v_lshl_or_b32 v53, v1, 2, 0x2800
	v_mov_b32_e32 v18, 0
	v_mov_b32_e32 v12, s21
	v_mov_b32_e32 v54, 1
	v_mov_b32_e32 v14, v2
	s_mul_i32 s36, s46, s46
	s_lshl_b64 s[26:27], s[46:47], 3
	s_lshl_b64 s[40:41], s[36:37], 3
	;; [unrolled: 1-line block ×3, first 2 shown]
	s_branch .LBB141_20
.LBB141_19:                             ;   in Loop: Header=BB141_20 Depth=1
	s_or_b32 exec_lo, exec_lo, s7
	s_waitcnt_vscnt null, 0x0
	s_barrier
	buffer_gl0_inv
	ds_load_b64 v[15:16], v2 offset:10304
	v_ashrrev_i32_e32 v18, 31, v17
	v_add_co_u32 v11, vcc_lo, v11, v17
	s_waitcnt lgkmcnt(0)
	s_barrier
	s_delay_alu instid0(VALU_DEP_2) | instskip(SKIP_3) | instid1(VALU_DEP_1)
	v_add_co_ci_u32_e32 v12, vcc_lo, v12, v18, vcc_lo
	buffer_gl0_inv
	v_cmp_le_i64_e32 vcc_lo, s[44:45], v[15:16]
	v_add_co_u32 v17, s7, v15, 16
	v_add_co_ci_u32_e64 v18, s7, 0, v16, s7
	s_cbranch_vccnz .LBB141_96
.LBB141_20:                             ; =>This Loop Header: Depth=1
                                        ;     Child Loop BB141_23 Depth 2
                                        ;     Child Loop BB141_29 Depth 2
                                        ;       Child Loop BB141_45 Depth 3
                                        ;         Child Loop BB141_57 Depth 4
                                        ;         Child Loop BB141_53 Depth 4
                                        ;     Child Loop BB141_67 Depth 2
                                        ;     Child Loop BB141_76 Depth 2
	;; [unrolled: 1-line block ×3, first 2 shown]
	s_and_saveexec_b32 s7, s0
	s_cbranch_execz .LBB141_22
; %bb.21:                               ;   in Loop: Header=BB141_20 Depth=1
	ds_store_b32 v43, v2
.LBB141_22:                             ;   in Loop: Header=BB141_20 Depth=1
	s_or_b32 exec_lo, exec_lo, s7
	v_dual_mov_b32 v19, v35 :: v_dual_mov_b32 v20, v0
	s_mov_b32 s7, 0
.LBB141_23:                             ;   Parent Loop BB141_20 Depth=1
                                        ; =>  This Inner Loop Header: Depth=2
	s_delay_alu instid0(VALU_DEP_1) | instskip(SKIP_4) | instid1(SALU_CYCLE_1)
	v_add_nc_u32_e32 v20, 0x100, v20
	ds_store_b64 v19, v[13:14]
	v_add_nc_u32_e32 v19, 0x800, v19
	v_cmp_lt_u32_e32 vcc_lo, 0x2ff, v20
	s_or_b32 s7, vcc_lo, s7
	s_and_not1_b32 exec_lo, exec_lo, s7
	s_cbranch_execnz .LBB141_23
; %bb.24:                               ;   in Loop: Header=BB141_20 Depth=1
	s_or_b32 exec_lo, exec_lo, s7
	s_and_saveexec_b32 s7, s1
	s_cbranch_execz .LBB141_26
; %bb.25:                               ;   in Loop: Header=BB141_20 Depth=1
	v_dual_mov_b32 v19, s44 :: v_dual_mov_b32 v20, s45
	ds_store_b64 v2, v[19:20] offset:10304
.LBB141_26:                             ;   in Loop: Header=BB141_20 Depth=1
	s_or_b32 exec_lo, exec_lo, s7
	v_dual_mov_b32 v19, s44 :: v_dual_mov_b32 v20, s45
	s_and_not1_b32 vcc_lo, exec_lo, s57
	s_waitcnt lgkmcnt(0)
	s_barrier
	buffer_gl0_inv
	s_cbranch_vccnz .LBB141_62
; %bb.27:                               ;   in Loop: Header=BB141_20 Depth=1
	v_cmp_ne_u64_e64 s7, 0, v[15:16]
	v_dual_mov_b32 v19, s44 :: v_dual_mov_b32 v20, s45
	s_mov_b64 s[20:21], s[28:29]
	s_branch .LBB141_29
.LBB141_28:                             ;   in Loop: Header=BB141_29 Depth=2
	s_or_b32 exec_lo, exec_lo, s9
	s_add_u32 s20, s20, 4
	s_addc_u32 s21, s21, 0
	s_delay_alu instid0(SALU_CYCLE_1) | instskip(NEXT) | instid1(VALU_DEP_1)
	v_cmp_lt_i64_e64 s8, s[20:21], s[48:49]
	s_and_b32 vcc_lo, exec_lo, s8
	s_cbranch_vccz .LBB141_62
.LBB141_29:                             ;   Parent Loop BB141_20 Depth=1
                                        ; =>  This Loop Header: Depth=2
                                        ;       Child Loop BB141_45 Depth 3
                                        ;         Child Loop BB141_57 Depth 4
                                        ;         Child Loop BB141_53 Depth 4
	v_add_co_u32 v21, s8, s20, v1
	s_delay_alu instid0(VALU_DEP_1) | instskip(NEXT) | instid1(VALU_DEP_1)
	v_add_co_ci_u32_e64 v22, null, s21, 0, s8
	s_waitcnt_vscnt null, 0x0
	s_barrier
	buffer_gl0_inv
	v_cmp_gt_i64_e64 s8, s[48:49], v[21:22]
	s_delay_alu instid0(VALU_DEP_1)
	s_and_saveexec_b32 s9, s8
	s_cbranch_execz .LBB141_34
; %bb.30:                               ;   in Loop: Header=BB141_29 Depth=2
	s_and_saveexec_b32 s22, s58
	s_delay_alu instid0(SALU_CYCLE_1)
	s_xor_b32 s22, exec_lo, s22
	s_cbranch_execz .LBB141_32
; %bb.31:                               ;   in Loop: Header=BB141_29 Depth=2
	v_mul_lo_u32 v25, v22, s36
	v_mul_lo_u32 v26, v21, s37
	v_mad_u64_u32 v[23:24], null, v21, s36, 0
	s_delay_alu instid0(VALU_DEP_1) | instskip(NEXT) | instid1(VALU_DEP_1)
	v_add3_u32 v24, v24, v26, v25
	v_lshlrev_b64 v[23:24], 3, v[23:24]
	s_delay_alu instid0(VALU_DEP_1) | instskip(NEXT) | instid1(VALU_DEP_2)
	v_add_co_u32 v23, vcc_lo, v4, v23
	v_add_co_ci_u32_e32 v24, vcc_lo, v37, v24, vcc_lo
	global_load_b64 v[23:24], v[23:24], off
	s_waitcnt vmcnt(0)
	ds_store_b64 v36, v[23:24]
.LBB141_32:                             ;   in Loop: Header=BB141_29 Depth=2
	s_and_not1_saveexec_b32 s22, s22
	s_cbranch_execz .LBB141_34
; %bb.33:                               ;   in Loop: Header=BB141_29 Depth=2
	ds_store_b64 v36, v[13:14]
.LBB141_34:                             ;   in Loop: Header=BB141_29 Depth=2
	s_or_b32 exec_lo, exec_lo, s9
	v_mov_b32_e32 v23, 0
	v_lshlrev_b64 v[21:22], 3, v[21:22]
	v_mov_b32_e32 v24, 0
	s_waitcnt lgkmcnt(0)
	s_barrier
	buffer_gl0_inv
	s_and_saveexec_b32 s63, s8
	s_cbranch_execz .LBB141_60
; %bb.35:                               ;   in Loop: Header=BB141_29 Depth=2
	v_add_co_u32 v23, vcc_lo, s38, v21
	v_add_co_ci_u32_e32 v24, vcc_lo, s39, v22, vcc_lo
	s_and_b32 vcc_lo, exec_lo, s7
	global_load_b64 v[25:26], v[23:24], off
	s_cbranch_vccz .LBB141_37
; %bb.36:                               ;   in Loop: Header=BB141_29 Depth=2
	v_add_co_u32 v23, vcc_lo, s10, v21
	v_add_co_ci_u32_e32 v24, vcc_lo, s11, v22, vcc_lo
	s_mov_b32 s9, 0
	global_load_b64 v[23:24], v[23:24], off
	s_branch .LBB141_38
.LBB141_37:                             ;   in Loop: Header=BB141_29 Depth=2
	s_mov_b32 s9, -1
                                        ; implicit-def: $vgpr23_vgpr24
.LBB141_38:                             ;   in Loop: Header=BB141_29 Depth=2
	s_waitcnt vmcnt(0)
	v_sub_co_u32 v25, vcc_lo, v25, s12
	v_subrev_co_ci_u32_e32 v26, vcc_lo, 0, v26, vcc_lo
	s_and_not1_b32 vcc_lo, exec_lo, s9
	s_delay_alu instid0(VALU_DEP_1)
	v_lshlrev_b64 v[25:26], 3, v[25:26]
	s_cbranch_vccnz .LBB141_40
; %bb.39:                               ;   in Loop: Header=BB141_29 Depth=2
	s_delay_alu instid0(VALU_DEP_1) | instskip(NEXT) | instid1(VALU_DEP_2)
	v_add_co_u32 v23, vcc_lo, s42, v25
	v_add_co_ci_u32_e32 v24, vcc_lo, s43, v26, vcc_lo
	global_load_b64 v[23:24], v[23:24], off
	s_waitcnt vmcnt(0)
	v_sub_co_u32 v23, vcc_lo, v23, s13
	v_subrev_co_ci_u32_e32 v24, vcc_lo, 0, v24, vcc_lo
.LBB141_40:                             ;   in Loop: Header=BB141_29 Depth=2
	s_delay_alu instid0(VALU_DEP_1) | instskip(NEXT) | instid1(VALU_DEP_2)
	v_add_co_u32 v25, vcc_lo, s59, v25
	v_add_co_ci_u32_e32 v26, vcc_lo, s60, v26, vcc_lo
	s_mov_b32 s64, exec_lo
	global_load_b64 v[25:26], v[25:26], off
	s_waitcnt vmcnt(0)
	v_sub_co_u32 v25, vcc_lo, v25, s13
	v_subrev_co_ci_u32_e32 v26, vcc_lo, 0, v26, vcc_lo
	s_delay_alu instid0(VALU_DEP_1)
	v_cmpx_lt_i64_e64 v[23:24], v[25:26]
	s_cbranch_execz .LBB141_59
; %bb.41:                               ;   in Loop: Header=BB141_29 Depth=2
	v_mad_u64_u32 v[31:32], null, s26, v23, v[5:6]
	v_mul_lo_u32 v29, s26, v24
	v_mul_lo_u32 v30, s27, v23
	v_mad_u64_u32 v[27:28], null, s40, v23, v[7:8]
	v_mul_lo_u32 v33, s40, v24
	v_mul_lo_u32 v34, s41, v23
	;; [unrolled: 1-line block ×3, first 2 shown]
	s_mov_b32 s65, 0
	v_add3_u32 v32, v30, v32, v29
	v_mad_u64_u32 v[29:30], null, s46, v31, s[18:19]
	s_delay_alu instid0(VALU_DEP_4) | instskip(NEXT) | instid1(VALU_DEP_3)
	v_add3_u32 v28, v34, v28, v33
	v_mul_lo_u32 v31, s46, v32
	s_delay_alu instid0(VALU_DEP_1)
	v_add3_u32 v30, v55, v30, v31
	v_dual_mov_b32 v32, v24 :: v_dual_mov_b32 v31, v23
	s_branch .LBB141_45
.LBB141_42:                             ;   in Loop: Header=BB141_45 Depth=3
	s_delay_alu instid0(VALU_DEP_1) | instskip(SKIP_1) | instid1(VALU_DEP_2)
	v_mul_f32_e64 v34, v57, -s35
	v_lshlrev_b32_e32 v33, 6, v55
	v_dual_mul_f32 v55, s33, v57 :: v_dual_fmac_f32 v34, s33, v56
	s_delay_alu instid0(VALU_DEP_2) | instskip(NEXT) | instid1(VALU_DEP_2)
	v_or3_b32 v33, v33, v38, v3
	v_fmac_f32_e32 v55, s35, v56
	s_delay_alu instid0(VALU_DEP_2)
	v_lshlrev_b32_e32 v33, 3, v33
	ds_add_f32 v33, v34
	ds_add_f32 v33, v55 offset:4
.LBB141_43:                             ;   in Loop: Header=BB141_45 Depth=3
	s_or_b32 exec_lo, exec_lo, s67
	s_delay_alu instid0(SALU_CYCLE_1)
	s_or_b32 s9, s9, exec_lo
.LBB141_44:                             ;   in Loop: Header=BB141_45 Depth=3
	s_or_b32 exec_lo, exec_lo, s66
	v_add_co_u32 v31, vcc_lo, v31, 1
	v_add_co_ci_u32_e32 v32, vcc_lo, 0, v32, vcc_lo
	s_xor_b32 s22, s9, -1
	v_add_co_u32 v29, s9, v29, s40
	s_delay_alu instid0(VALU_DEP_2)
	v_cmp_ge_i64_e32 vcc_lo, v[31:32], v[25:26]
	v_add_co_ci_u32_e64 v30, s9, s41, v30, s9
	s_or_b32 s9, s22, vcc_lo
	v_add_co_u32 v27, vcc_lo, v27, s40
	v_add_co_ci_u32_e32 v28, vcc_lo, s41, v28, vcc_lo
	s_and_b32 s9, exec_lo, s9
	s_delay_alu instid0(SALU_CYCLE_1) | instskip(NEXT) | instid1(SALU_CYCLE_1)
	s_or_b32 s65, s9, s65
	s_and_not1_b32 exec_lo, exec_lo, s65
	s_cbranch_execz .LBB141_58
.LBB141_45:                             ;   Parent Loop BB141_20 Depth=1
                                        ;     Parent Loop BB141_29 Depth=2
                                        ; =>    This Loop Header: Depth=3
                                        ;         Child Loop BB141_57 Depth 4
                                        ;         Child Loop BB141_53 Depth 4
	s_delay_alu instid0(VALU_DEP_1) | instskip(NEXT) | instid1(VALU_DEP_1)
	v_lshlrev_b64 v[33:34], 3, v[31:32]
	v_add_co_u32 v33, vcc_lo, s24, v33
	s_delay_alu instid0(VALU_DEP_2) | instskip(SKIP_4) | instid1(VALU_DEP_1)
	v_add_co_ci_u32_e32 v34, vcc_lo, s25, v34, vcc_lo
	global_load_b64 v[33:34], v[33:34], off
	s_waitcnt vmcnt(0)
	v_sub_co_u32 v33, vcc_lo, v33, s13
	v_subrev_co_ci_u32_e32 v34, vcc_lo, 0, v34, vcc_lo
	v_cmp_lt_i64_e64 s9, v[33:34], v[15:16]
	v_cmp_ge_i64_e32 vcc_lo, v[33:34], v[17:18]
	s_delay_alu instid0(VALU_DEP_2) | instskip(NEXT) | instid1(SALU_CYCLE_1)
	s_or_b32 s22, s9, vcc_lo
                                        ; implicit-def: $sgpr9
	s_and_saveexec_b32 s23, s22
	s_delay_alu instid0(SALU_CYCLE_1)
	s_xor_b32 s22, exec_lo, s23
	s_cbranch_execz .LBB141_49
; %bb.46:                               ;   in Loop: Header=BB141_45 Depth=3
	s_mov_b32 s23, -1
	s_and_saveexec_b32 s9, vcc_lo
; %bb.47:                               ;   in Loop: Header=BB141_45 Depth=3
	v_cmp_lt_i64_e32 vcc_lo, v[33:34], v[19:20]
	v_dual_mov_b32 v23, v31 :: v_dual_mov_b32 v24, v32
	s_xor_b32 s23, exec_lo, -1
	v_dual_cndmask_b32 v20, v20, v34 :: v_dual_cndmask_b32 v19, v19, v33
; %bb.48:                               ;   in Loop: Header=BB141_45 Depth=3
	s_or_b32 exec_lo, exec_lo, s9
	s_delay_alu instid0(SALU_CYCLE_1)
	s_and_b32 s9, s23, exec_lo
                                        ; implicit-def: $vgpr33_vgpr34
.LBB141_49:                             ;   in Loop: Header=BB141_45 Depth=3
	s_and_not1_saveexec_b32 s66, s22
	s_cbranch_execz .LBB141_44
; %bb.50:                               ;   in Loop: Header=BB141_45 Depth=3
	v_sub_nc_u32_e32 v55, v33, v15
	s_delay_alu instid0(VALU_DEP_1)
	v_lshlrev_b32_e32 v33, 2, v55
	ds_store_b32 v33, v54 offset:10240
	s_and_saveexec_b32 s67, s54
	s_cbranch_execz .LBB141_43
; %bb.51:                               ;   in Loop: Header=BB141_45 Depth=3
	s_and_not1_b32 vcc_lo, exec_lo, s55
	s_cbranch_vccnz .LBB141_55
; %bb.52:                               ;   in Loop: Header=BB141_45 Depth=3
	v_mov_b32_e32 v34, v30
	v_dual_mov_b32 v56, 0 :: v_dual_mov_b32 v33, v29
	v_dual_mov_b32 v58, v49 :: v_dual_mov_b32 v57, 0
	s_mov_b64 s[22:23], s[46:47]
	.p2align	6
.LBB141_53:                             ;   Parent Loop BB141_20 Depth=1
                                        ;     Parent Loop BB141_29 Depth=2
                                        ;       Parent Loop BB141_45 Depth=3
                                        ; =>      This Inner Loop Header: Depth=4
	global_load_b64 v[59:60], v[33:34], off offset:-4
	ds_load_b64 v[61:62], v58
	v_add_co_u32 v33, vcc_lo, v33, 8
	v_add_co_ci_u32_e32 v34, vcc_lo, 0, v34, vcc_lo
	s_add_u32 s22, s22, -1
	s_addc_u32 s23, s23, -1
	v_add_nc_u32_e32 v58, 64, v58
	s_cmp_lg_u64 s[22:23], 0
	s_waitcnt vmcnt(0) lgkmcnt(0)
	v_fmac_f32_e32 v56, v61, v59
	v_fmac_f32_e32 v57, v62, v59
	s_delay_alu instid0(VALU_DEP_2) | instskip(NEXT) | instid1(VALU_DEP_2)
	v_fma_f32 v56, -v62, v60, v56
	v_fmac_f32_e32 v57, v61, v60
	s_cbranch_scc1 .LBB141_53
; %bb.54:                               ;   in Loop: Header=BB141_45 Depth=3
	s_branch .LBB141_42
.LBB141_55:                             ;   in Loop: Header=BB141_45 Depth=3
                                        ; implicit-def: $vgpr56
                                        ; implicit-def: $vgpr57
	s_cbranch_execz .LBB141_42
; %bb.56:                               ;   in Loop: Header=BB141_45 Depth=3
	v_mov_b32_e32 v34, v28
	v_dual_mov_b32 v56, 0 :: v_dual_mov_b32 v33, v27
	v_dual_mov_b32 v58, v50 :: v_dual_mov_b32 v57, 0
	s_mov_b64 s[22:23], s[46:47]
	.p2align	6
.LBB141_57:                             ;   Parent Loop BB141_20 Depth=1
                                        ;     Parent Loop BB141_29 Depth=2
                                        ;       Parent Loop BB141_45 Depth=3
                                        ; =>      This Inner Loop Header: Depth=4
	global_load_b64 v[59:60], v[33:34], off offset:-4
	ds_load_b64 v[61:62], v58
	v_add_co_u32 v33, vcc_lo, v33, s26
	s_add_u32 s22, s22, -1
	v_add_co_ci_u32_e32 v34, vcc_lo, s27, v34, vcc_lo
	s_addc_u32 s23, s23, -1
	v_add_nc_u32_e32 v58, 8, v58
	s_cmp_eq_u64 s[22:23], 0
	s_waitcnt vmcnt(0) lgkmcnt(0)
	v_fmac_f32_e32 v56, v61, v59
	v_fmac_f32_e32 v57, v62, v59
	s_delay_alu instid0(VALU_DEP_2) | instskip(NEXT) | instid1(VALU_DEP_2)
	v_fma_f32 v56, -v62, v60, v56
	v_fmac_f32_e32 v57, v61, v60
	s_cbranch_scc0 .LBB141_57
	s_branch .LBB141_42
.LBB141_58:                             ;   in Loop: Header=BB141_29 Depth=2
	s_or_b32 exec_lo, exec_lo, s65
.LBB141_59:                             ;   in Loop: Header=BB141_29 Depth=2
	s_delay_alu instid0(SALU_CYCLE_1)
	s_or_b32 exec_lo, exec_lo, s64
.LBB141_60:                             ;   in Loop: Header=BB141_29 Depth=2
	s_delay_alu instid0(SALU_CYCLE_1)
	s_or_b32 exec_lo, exec_lo, s63
	s_waitcnt lgkmcnt(0)
	s_barrier
	buffer_gl0_inv
	s_and_saveexec_b32 s9, s8
	s_cbranch_execz .LBB141_28
; %bb.61:                               ;   in Loop: Header=BB141_29 Depth=2
	v_add_co_u32 v21, vcc_lo, s10, v21
	v_add_co_ci_u32_e32 v22, vcc_lo, s11, v22, vcc_lo
	global_store_b64 v[21:22], v[23:24], off
	s_branch .LBB141_28
.LBB141_62:                             ;   in Loop: Header=BB141_20 Depth=1
	s_and_not1_b32 vcc_lo, exec_lo, s34
	s_cbranch_vccnz .LBB141_74
; %bb.63:                               ;   in Loop: Header=BB141_20 Depth=1
	s_load_b128 s[20:23], s[30:31], 0x0
	s_waitcnt lgkmcnt(0)
	v_add_co_u32 v23, vcc_lo, s20, v39
	v_add_co_ci_u32_e32 v24, vcc_lo, s21, v40, vcc_lo
	s_sub_u32 s8, s22, s56
	s_subb_u32 s9, s23, 0
	s_mov_b32 s22, exec_lo
	s_delay_alu instid0(VALU_DEP_1)
	v_cmpx_gt_i64_e64 s[8:9], v[23:24]
	s_cbranch_execz .LBB141_73
; %bb.64:                               ;   in Loop: Header=BB141_20 Depth=1
	v_lshlrev_b64 v[25:26], 3, v[23:24]
	v_mad_u64_u32 v[21:22], null, s40, v23, v[9:10]
	v_mul_lo_u32 v27, s40, v24
	v_mul_lo_u32 v28, s41, v23
	s_delay_alu instid0(VALU_DEP_4) | instskip(SKIP_2) | instid1(VALU_DEP_4)
	v_add_co_u32 v23, vcc_lo, s16, v25
	v_add_co_ci_u32_e32 v24, vcc_lo, s17, v26, vcc_lo
	v_add_co_u32 v25, vcc_lo, v51, s20
	v_add3_u32 v22, v28, v22, v27
	v_add_co_ci_u32_e32 v26, vcc_lo, s21, v52, vcc_lo
	s_mov_b32 s20, 0
	s_branch .LBB141_67
.LBB141_65:                             ;   in Loop: Header=BB141_67 Depth=2
	s_or_b32 exec_lo, exec_lo, s23
	s_delay_alu instid0(SALU_CYCLE_1)
	s_or_b32 s7, s7, exec_lo
.LBB141_66:                             ;   in Loop: Header=BB141_67 Depth=2
	s_or_b32 exec_lo, exec_lo, s21
	v_cmp_le_i64_e32 vcc_lo, s[8:9], v[25:26]
	s_xor_b32 s21, s7, -1
	v_add_co_u32 v23, s7, v23, 32
	s_delay_alu instid0(VALU_DEP_1)
	v_add_co_ci_u32_e64 v24, s7, 0, v24, s7
	s_or_b32 s7, s21, vcc_lo
	v_add_co_u32 v21, vcc_lo, v21, s50
	v_add_co_ci_u32_e32 v22, vcc_lo, s51, v22, vcc_lo
	v_add_co_u32 v25, vcc_lo, v25, 4
	v_add_co_ci_u32_e32 v26, vcc_lo, 0, v26, vcc_lo
	s_and_b32 s7, exec_lo, s7
	s_delay_alu instid0(SALU_CYCLE_1) | instskip(NEXT) | instid1(SALU_CYCLE_1)
	s_or_b32 s20, s7, s20
	s_and_not1_b32 exec_lo, exec_lo, s20
	s_cbranch_execz .LBB141_72
.LBB141_67:                             ;   Parent Loop BB141_20 Depth=1
                                        ; =>  This Inner Loop Header: Depth=2
	global_load_b64 v[27:28], v[23:24], off
	s_waitcnt vmcnt(0)
	v_sub_co_u32 v27, vcc_lo, v27, s56
	v_subrev_co_ci_u32_e32 v28, vcc_lo, 0, v28, vcc_lo
	s_delay_alu instid0(VALU_DEP_1)
	v_cmp_lt_i64_e32 vcc_lo, v[27:28], v[17:18]
	v_cmp_lt_i64_e64 s7, v[27:28], v[15:16]
	s_xor_b32 s21, vcc_lo, -1
	s_delay_alu instid0(VALU_DEP_1) | instid1(SALU_CYCLE_1)
	s_or_b32 s21, s7, s21
                                        ; implicit-def: $sgpr7
	s_delay_alu instid0(SALU_CYCLE_1) | instskip(NEXT) | instid1(SALU_CYCLE_1)
	s_and_saveexec_b32 s23, s21
	s_xor_b32 s21, exec_lo, s23
; %bb.68:                               ;   in Loop: Header=BB141_67 Depth=2
	v_cmp_lt_i64_e64 s7, v[27:28], v[19:20]
	s_delay_alu instid0(VALU_DEP_1) | instskip(SKIP_2) | instid1(VALU_DEP_1)
	v_cndmask_b32_e64 v27, v19, v27, s7
	v_cndmask_b32_e64 v28, v20, v28, s7
	s_and_b32 s7, vcc_lo, exec_lo
	v_dual_cndmask_b32 v19, v27, v19 :: v_dual_cndmask_b32 v20, v28, v20
                                        ; implicit-def: $vgpr27
; %bb.69:                               ;   in Loop: Header=BB141_67 Depth=2
	s_and_not1_saveexec_b32 s21, s21
	s_cbranch_execz .LBB141_66
; %bb.70:                               ;   in Loop: Header=BB141_67 Depth=2
	v_sub_nc_u32_e32 v27, v27, v15
	s_delay_alu instid0(VALU_DEP_1)
	v_lshlrev_b32_e32 v28, 2, v27
	ds_store_b32 v28, v54 offset:10240
	s_and_saveexec_b32 s23, s58
	s_cbranch_execz .LBB141_65
; %bb.71:                               ;   in Loop: Header=BB141_67 Depth=2
	global_load_b64 v[28:29], v[21:22], off offset:-4
	s_waitcnt vmcnt(0)
	v_mul_f32_e64 v30, v29, -s53
	v_lshlrev_b32_e32 v27, 6, v27
	s_delay_alu instid0(VALU_DEP_2) | instskip(NEXT) | instid1(VALU_DEP_2)
	v_dual_mul_f32 v29, s52, v29 :: v_dual_fmac_f32 v30, s52, v28
	v_or3_b32 v27, v27, v38, v3
	s_delay_alu instid0(VALU_DEP_2) | instskip(NEXT) | instid1(VALU_DEP_2)
	v_fmac_f32_e32 v29, s53, v28
	v_lshlrev_b32_e32 v27, 3, v27
	ds_add_f32 v27, v30
	ds_add_f32 v27, v29 offset:4
	s_branch .LBB141_65
.LBB141_72:                             ;   in Loop: Header=BB141_20 Depth=1
	s_or_b32 exec_lo, exec_lo, s20
.LBB141_73:                             ;   in Loop: Header=BB141_20 Depth=1
	s_delay_alu instid0(SALU_CYCLE_1)
	s_or_b32 exec_lo, exec_lo, s22
.LBB141_74:                             ;   in Loop: Header=BB141_20 Depth=1
	s_and_saveexec_b32 s7, s2
	s_cbranch_execz .LBB141_79
; %bb.75:                               ;   in Loop: Header=BB141_20 Depth=1
	s_mov_b32 s20, exec_lo
	s_mov_b64 s[8:9], -1
.LBB141_76:                             ;   Parent Loop BB141_20 Depth=1
                                        ; =>  This Inner Loop Header: Depth=2
	s_ctz_i32_b32 s21, s20
	s_delay_alu instid0(SALU_CYCLE_1) | instskip(SKIP_1) | instid1(VALU_DEP_1)
	v_readlane_b32 s23, v20, s21
	v_readlane_b32 s22, v19, s21
	v_cmp_lt_u64_e64 s63, s[8:9], s[22:23]
	s_delay_alu instid0(VALU_DEP_1) | instskip(SKIP_3) | instid1(SALU_CYCLE_1)
	s_and_b32 s63, s63, exec_lo
	s_cselect_b32 s9, s9, s23
	s_cselect_b32 s8, s8, s22
	s_lshl_b32 s21, 1, s21
	s_and_not1_b32 s20, s20, s21
	s_delay_alu instid0(SALU_CYCLE_1)
	s_cmp_lg_u32 s20, 0
	s_cbranch_scc1 .LBB141_76
; %bb.77:                               ;   in Loop: Header=BB141_20 Depth=1
	v_mbcnt_lo_u32_b32 v17, exec_lo, 0
	s_mov_b32 s20, exec_lo
	s_delay_alu instid0(VALU_DEP_1)
	v_cmpx_eq_u32_e32 0, v17
	s_xor_b32 s20, exec_lo, s20
	s_cbranch_execz .LBB141_79
; %bb.78:                               ;   in Loop: Header=BB141_20 Depth=1
	v_dual_mov_b32 v18, s9 :: v_dual_mov_b32 v17, s8
	ds_min_u64 v2, v[17:18] offset:10304
.LBB141_79:                             ;   in Loop: Header=BB141_20 Depth=1
	s_or_b32 exec_lo, exec_lo, s7
	s_waitcnt lgkmcnt(0)
	s_waitcnt_vscnt null, 0x0
	s_barrier
	buffer_gl0_inv
	ds_load_b32 v18, v41
	s_waitcnt lgkmcnt(0)
	s_barrier
	buffer_gl0_inv
	s_and_saveexec_b32 s7, s3
	s_cbranch_execz .LBB141_81
; %bb.80:                               ;   in Loop: Header=BB141_20 Depth=1
	ds_load_b32 v17, v42
	s_waitcnt lgkmcnt(0)
	v_add_nc_u32_e32 v18, v17, v18
.LBB141_81:                             ;   in Loop: Header=BB141_20 Depth=1
	s_or_b32 exec_lo, exec_lo, s7
	s_barrier
	buffer_gl0_inv
	ds_store_b32 v41, v18
	s_waitcnt lgkmcnt(0)
	s_barrier
	buffer_gl0_inv
	s_and_saveexec_b32 s7, s4
	s_cbranch_execz .LBB141_83
; %bb.82:                               ;   in Loop: Header=BB141_20 Depth=1
	ds_load_b32 v17, v44
	s_waitcnt lgkmcnt(0)
	v_add_nc_u32_e32 v18, v17, v18
.LBB141_83:                             ;   in Loop: Header=BB141_20 Depth=1
	s_or_b32 exec_lo, exec_lo, s7
	s_barrier
	buffer_gl0_inv
	ds_store_b32 v41, v18
	;; [unrolled: 14-line block ×4, first 2 shown]
	s_waitcnt lgkmcnt(0)
	s_barrier
	buffer_gl0_inv
	ds_load_b32 v17, v2 offset:10300
	v_mov_b32_e32 v19, 0
	s_and_saveexec_b32 s7, s15
	s_cbranch_execz .LBB141_89
; %bb.88:                               ;   in Loop: Header=BB141_20 Depth=1
	ds_load_b32 v19, v42
.LBB141_89:                             ;   in Loop: Header=BB141_20 Depth=1
	s_or_b32 exec_lo, exec_lo, s7
	s_waitcnt lgkmcnt(0)
	v_cmp_eq_u32_e32 vcc_lo, v18, v19
	s_barrier
	buffer_gl0_inv
	s_and_b32 s8, s15, vcc_lo
	s_delay_alu instid0(SALU_CYCLE_1)
	s_and_saveexec_b32 s7, s8
	s_cbranch_execz .LBB141_91
; %bb.90:                               ;   in Loop: Header=BB141_20 Depth=1
	ds_store_b32 v41, v2
.LBB141_91:                             ;   in Loop: Header=BB141_20 Depth=1
	s_or_b32 exec_lo, exec_lo, s7
	v_add_co_u32 v18, vcc_lo, v11, -1
	v_add_co_ci_u32_e32 v19, vcc_lo, -1, v12, vcc_lo
	v_add_co_u32 v20, vcc_lo, s14, v15
	v_add_co_ci_u32_e32 v21, vcc_lo, 0, v16, vcc_lo
	v_dual_mov_b32 v22, v53 :: v_dual_mov_b32 v23, v35
	v_dual_mov_b32 v16, v2 :: v_dual_mov_b32 v15, v1
	s_mov_b32 s7, 0
	s_waitcnt lgkmcnt(0)
	s_barrier
	buffer_gl0_inv
	s_branch .LBB141_93
.LBB141_92:                             ;   in Loop: Header=BB141_93 Depth=2
	s_or_b32 exec_lo, exec_lo, s8
	v_add_co_u32 v15, vcc_lo, v15, 4
	v_add_co_ci_u32_e32 v16, vcc_lo, 0, v16, vcc_lo
	v_add_nc_u32_e32 v23, 0x800, v23
	s_delay_alu instid0(VALU_DEP_3) | instskip(SKIP_1) | instid1(VALU_DEP_2)
	v_add_nc_u32_e32 v24, -4, v15
	v_add_nc_u32_e32 v22, 16, v22
	v_cmp_lt_u32_e32 vcc_lo, 11, v24
	s_or_b32 s7, vcc_lo, s7
	s_delay_alu instid0(SALU_CYCLE_1)
	s_and_not1_b32 exec_lo, exec_lo, s7
	s_cbranch_execz .LBB141_19
.LBB141_93:                             ;   Parent Loop BB141_20 Depth=1
                                        ; =>  This Inner Loop Header: Depth=2
	ds_load_b32 v24, v22
	s_mov_b32 s8, exec_lo
	s_waitcnt lgkmcnt(0)
	v_cmpx_ne_u32_e32 0, v24
	s_cbranch_execz .LBB141_92
; %bb.94:                               ;   in Loop: Header=BB141_93 Depth=2
	v_ashrrev_i32_e32 v25, 31, v24
	v_add_co_u32 v26, vcc_lo, v11, v24
	s_delay_alu instid0(VALU_DEP_2) | instskip(SKIP_2) | instid1(VALU_DEP_3)
	v_add_co_ci_u32_e32 v27, vcc_lo, v12, v25, vcc_lo
	v_add_co_u32 v28, vcc_lo, v20, v15
	v_add_co_ci_u32_e32 v29, vcc_lo, v21, v16, vcc_lo
	v_lshlrev_b64 v[26:27], 3, v[26:27]
	s_delay_alu instid0(VALU_DEP_1) | instskip(NEXT) | instid1(VALU_DEP_2)
	v_add_co_u32 v26, vcc_lo, s61, v26
	v_add_co_ci_u32_e32 v27, vcc_lo, s62, v27, vcc_lo
	global_store_b64 v[26:27], v[28:29], off
	s_and_b32 exec_lo, exec_lo, s58
	s_cbranch_execz .LBB141_92
; %bb.95:                               ;   in Loop: Header=BB141_93 Depth=2
	v_add_co_u32 v26, vcc_lo, v18, v24
	v_add_co_ci_u32_e32 v24, vcc_lo, v19, v25, vcc_lo
	s_delay_alu instid0(VALU_DEP_2) | instskip(NEXT) | instid1(VALU_DEP_2)
	v_mul_lo_u32 v29, v26, s37
	v_mul_lo_u32 v28, v24, s36
	v_mad_u64_u32 v[24:25], null, v26, s36, 0
	ds_load_b64 v[26:27], v23
	v_add3_u32 v25, v25, v29, v28
	s_delay_alu instid0(VALU_DEP_1) | instskip(NEXT) | instid1(VALU_DEP_1)
	v_lshlrev_b64 v[24:25], 3, v[24:25]
	v_add_co_u32 v24, vcc_lo, v48, v24
	s_delay_alu instid0(VALU_DEP_2)
	v_add_co_ci_u32_e32 v25, vcc_lo, v47, v25, vcc_lo
	s_waitcnt lgkmcnt(0)
	global_store_b64 v[24:25], v[26:27], off
	s_branch .LBB141_92
.LBB141_96:
	s_endpgm
	.section	.rodata,"a",@progbits
	.p2align	6, 0x0
	.amdhsa_kernel _ZN9rocsparseL38bsrgemm_block_per_row_atomic_multipassILj256ELj16ELj8Ell21rocsparse_complex_numIfEEEv20rocsparse_direction_T3_S4_PKS4_S6_NS_24const_host_device_scalarIT4_EEPKT2_S6_PKS8_SC_S6_SE_S9_SC_S6_SE_SC_PS4_PS8_PSA_21rocsparse_index_base_SI_SI_SI_bbb
		.amdhsa_group_segment_fixed_size 10312
		.amdhsa_private_segment_fixed_size 0
		.amdhsa_kernarg_size 180
		.amdhsa_user_sgpr_count 15
		.amdhsa_user_sgpr_dispatch_ptr 0
		.amdhsa_user_sgpr_queue_ptr 0
		.amdhsa_user_sgpr_kernarg_segment_ptr 1
		.amdhsa_user_sgpr_dispatch_id 0
		.amdhsa_user_sgpr_private_segment_size 0
		.amdhsa_wavefront_size32 1
		.amdhsa_uses_dynamic_stack 0
		.amdhsa_enable_private_segment 0
		.amdhsa_system_sgpr_workgroup_id_x 1
		.amdhsa_system_sgpr_workgroup_id_y 0
		.amdhsa_system_sgpr_workgroup_id_z 0
		.amdhsa_system_sgpr_workgroup_info 0
		.amdhsa_system_vgpr_workitem_id 0
		.amdhsa_next_free_vgpr 63
		.amdhsa_next_free_sgpr 68
		.amdhsa_reserve_vcc 1
		.amdhsa_float_round_mode_32 0
		.amdhsa_float_round_mode_16_64 0
		.amdhsa_float_denorm_mode_32 3
		.amdhsa_float_denorm_mode_16_64 3
		.amdhsa_dx10_clamp 1
		.amdhsa_ieee_mode 1
		.amdhsa_fp16_overflow 0
		.amdhsa_workgroup_processor_mode 1
		.amdhsa_memory_ordered 1
		.amdhsa_forward_progress 0
		.amdhsa_shared_vgpr_count 0
		.amdhsa_exception_fp_ieee_invalid_op 0
		.amdhsa_exception_fp_denorm_src 0
		.amdhsa_exception_fp_ieee_div_zero 0
		.amdhsa_exception_fp_ieee_overflow 0
		.amdhsa_exception_fp_ieee_underflow 0
		.amdhsa_exception_fp_ieee_inexact 0
		.amdhsa_exception_int_div_zero 0
	.end_amdhsa_kernel
	.section	.text._ZN9rocsparseL38bsrgemm_block_per_row_atomic_multipassILj256ELj16ELj8Ell21rocsparse_complex_numIfEEEv20rocsparse_direction_T3_S4_PKS4_S6_NS_24const_host_device_scalarIT4_EEPKT2_S6_PKS8_SC_S6_SE_S9_SC_S6_SE_SC_PS4_PS8_PSA_21rocsparse_index_base_SI_SI_SI_bbb,"axG",@progbits,_ZN9rocsparseL38bsrgemm_block_per_row_atomic_multipassILj256ELj16ELj8Ell21rocsparse_complex_numIfEEEv20rocsparse_direction_T3_S4_PKS4_S6_NS_24const_host_device_scalarIT4_EEPKT2_S6_PKS8_SC_S6_SE_S9_SC_S6_SE_SC_PS4_PS8_PSA_21rocsparse_index_base_SI_SI_SI_bbb,comdat
.Lfunc_end141:
	.size	_ZN9rocsparseL38bsrgemm_block_per_row_atomic_multipassILj256ELj16ELj8Ell21rocsparse_complex_numIfEEEv20rocsparse_direction_T3_S4_PKS4_S6_NS_24const_host_device_scalarIT4_EEPKT2_S6_PKS8_SC_S6_SE_S9_SC_S6_SE_SC_PS4_PS8_PSA_21rocsparse_index_base_SI_SI_SI_bbb, .Lfunc_end141-_ZN9rocsparseL38bsrgemm_block_per_row_atomic_multipassILj256ELj16ELj8Ell21rocsparse_complex_numIfEEEv20rocsparse_direction_T3_S4_PKS4_S6_NS_24const_host_device_scalarIT4_EEPKT2_S6_PKS8_SC_S6_SE_S9_SC_S6_SE_SC_PS4_PS8_PSA_21rocsparse_index_base_SI_SI_SI_bbb
                                        ; -- End function
	.section	.AMDGPU.csdata,"",@progbits
; Kernel info:
; codeLenInByte = 3984
; NumSgprs: 70
; NumVgprs: 63
; ScratchSize: 0
; MemoryBound: 0
; FloatMode: 240
; IeeeMode: 1
; LDSByteSize: 10312 bytes/workgroup (compile time only)
; SGPRBlocks: 8
; VGPRBlocks: 7
; NumSGPRsForWavesPerEU: 70
; NumVGPRsForWavesPerEU: 63
; Occupancy: 16
; WaveLimiterHint : 1
; COMPUTE_PGM_RSRC2:SCRATCH_EN: 0
; COMPUTE_PGM_RSRC2:USER_SGPR: 15
; COMPUTE_PGM_RSRC2:TRAP_HANDLER: 0
; COMPUTE_PGM_RSRC2:TGID_X_EN: 1
; COMPUTE_PGM_RSRC2:TGID_Y_EN: 0
; COMPUTE_PGM_RSRC2:TGID_Z_EN: 0
; COMPUTE_PGM_RSRC2:TIDIG_COMP_CNT: 0
	.section	.text._ZN9rocsparseL38bsrgemm_block_per_row_atomic_multipassILj256ELj32ELj8Ell21rocsparse_complex_numIfEEEv20rocsparse_direction_T3_S4_PKS4_S6_NS_24const_host_device_scalarIT4_EEPKT2_S6_PKS8_SC_S6_SE_S9_SC_S6_SE_SC_PS4_PS8_PSA_21rocsparse_index_base_SI_SI_SI_bbb,"axG",@progbits,_ZN9rocsparseL38bsrgemm_block_per_row_atomic_multipassILj256ELj32ELj8Ell21rocsparse_complex_numIfEEEv20rocsparse_direction_T3_S4_PKS4_S6_NS_24const_host_device_scalarIT4_EEPKT2_S6_PKS8_SC_S6_SE_S9_SC_S6_SE_SC_PS4_PS8_PSA_21rocsparse_index_base_SI_SI_SI_bbb,comdat
	.globl	_ZN9rocsparseL38bsrgemm_block_per_row_atomic_multipassILj256ELj32ELj8Ell21rocsparse_complex_numIfEEEv20rocsparse_direction_T3_S4_PKS4_S6_NS_24const_host_device_scalarIT4_EEPKT2_S6_PKS8_SC_S6_SE_S9_SC_S6_SE_SC_PS4_PS8_PSA_21rocsparse_index_base_SI_SI_SI_bbb ; -- Begin function _ZN9rocsparseL38bsrgemm_block_per_row_atomic_multipassILj256ELj32ELj8Ell21rocsparse_complex_numIfEEEv20rocsparse_direction_T3_S4_PKS4_S6_NS_24const_host_device_scalarIT4_EEPKT2_S6_PKS8_SC_S6_SE_S9_SC_S6_SE_SC_PS4_PS8_PSA_21rocsparse_index_base_SI_SI_SI_bbb
	.p2align	8
	.type	_ZN9rocsparseL38bsrgemm_block_per_row_atomic_multipassILj256ELj32ELj8Ell21rocsparse_complex_numIfEEEv20rocsparse_direction_T3_S4_PKS4_S6_NS_24const_host_device_scalarIT4_EEPKT2_S6_PKS8_SC_S6_SE_S9_SC_S6_SE_SC_PS4_PS8_PSA_21rocsparse_index_base_SI_SI_SI_bbb,@function
_ZN9rocsparseL38bsrgemm_block_per_row_atomic_multipassILj256ELj32ELj8Ell21rocsparse_complex_numIfEEEv20rocsparse_direction_T3_S4_PKS4_S6_NS_24const_host_device_scalarIT4_EEPKT2_S6_PKS8_SC_S6_SE_S9_SC_S6_SE_SC_PS4_PS8_PSA_21rocsparse_index_base_SI_SI_SI_bbb: ; @_ZN9rocsparseL38bsrgemm_block_per_row_atomic_multipassILj256ELj32ELj8Ell21rocsparse_complex_numIfEEEv20rocsparse_direction_T3_S4_PKS4_S6_NS_24const_host_device_scalarIT4_EEPKT2_S6_PKS8_SC_S6_SE_S9_SC_S6_SE_SC_PS4_PS8_PSA_21rocsparse_index_base_SI_SI_SI_bbb
; %bb.0:
	s_mov_b32 s2, s15
	s_clause 0x5
	s_load_b32 s8, s[0:1], 0xb0
	s_load_b256 s[12:19], s[0:1], 0x90
	s_load_b256 s[20:27], s[0:1], 0x70
	;; [unrolled: 1-line block ×3, first 2 shown]
	s_load_b128 s[4:7], s[0:1], 0x18
	s_load_b256 s[44:51], s[0:1], 0x30
	s_mov_b32 s35, 0
	s_mov_b32 s33, 0
	s_waitcnt lgkmcnt(0)
	s_bitcmp1_b32 s8, 0
	s_cselect_b32 s9, -1, 0
	s_bitcmp1_b32 s8, 16
	s_cselect_b32 s3, -1, 0
	s_delay_alu instid0(SALU_CYCLE_1)
	s_xor_b32 s3, s3, -1
	s_bitcmp0_b32 s8, 0
	s_cbranch_scc1 .LBB142_5
; %bb.1:
	s_load_b64 s[34:35], s[0:1], 0x28
	s_and_not1_b32 vcc_lo, exec_lo, s3
	s_waitcnt lgkmcnt(0)
	s_mov_b32 s33, s34
	s_cbranch_vccnz .LBB142_3
; %bb.2:
	s_load_b32 s33, s[34:35], 0x0
.LBB142_3:
	s_and_not1_b32 vcc_lo, exec_lo, s3
	s_cbranch_vccnz .LBB142_5
; %bb.4:
	s_load_b32 s35, s[34:35], 0x4
.LBB142_5:
	s_bitcmp1_b32 s8, 8
	s_mov_b32 s57, 0
	s_cselect_b32 s34, -1, 0
	s_bfe_u32 s8, s8, 0x10008
	s_mov_b32 s56, 0
	s_cmp_eq_u32 s8, 0
	s_cbranch_scc1 .LBB142_11
; %bb.6:
	v_cndmask_b32_e64 v1, 0, 1, s3
	s_and_not1_b32 vcc_lo, exec_lo, s3
	s_mov_b32 s56, s40
	s_cbranch_vccnz .LBB142_8
; %bb.7:
	s_load_b32 s56, s[40:41], 0x0
.LBB142_8:
	s_delay_alu instid0(VALU_DEP_1)
	v_cmp_ne_u32_e32 vcc_lo, 1, v1
	s_cbranch_vccnz .LBB142_10
; %bb.9:
	s_load_b32 s41, s[40:41], 0x4
.LBB142_10:
	s_waitcnt lgkmcnt(0)
	s_mov_b32 s57, s41
.LBB142_11:
	s_mov_b64 s[40:41], 0
	s_cmp_eq_u64 s[6:7], 0
	s_mov_b32 s3, 0
	s_cbranch_scc1 .LBB142_13
; %bb.12:
	s_load_b64 s[4:5], s[4:5], 0x0
	s_waitcnt lgkmcnt(0)
	s_lshl_b64 s[4:5], s[4:5], 3
	s_delay_alu instid0(SALU_CYCLE_1) | instskip(SKIP_2) | instid1(SALU_CYCLE_1)
	s_add_u32 s4, s6, s4
	s_addc_u32 s5, s7, s5
	s_lshl_b64 s[2:3], s[2:3], 3
	s_add_u32 s2, s4, s2
	s_addc_u32 s3, s5, s3
	s_load_b64 s[2:3], s[2:3], 0x0
.LBB142_13:
	s_and_not1_b32 vcc_lo, exec_lo, s9
	s_cbranch_vccz .LBB142_16
; %bb.14:
	s_and_not1_b32 vcc_lo, exec_lo, s9
	s_mov_b64 s[52:53], 0
	s_cbranch_vccz .LBB142_17
.LBB142_15:
	s_load_b128 s[28:31], s[0:1], 0x8
	s_waitcnt lgkmcnt(0)
	v_cmp_lt_i64_e64 s4, s[28:29], 1
	s_delay_alu instid0(VALU_DEP_1)
	s_and_b32 vcc_lo, exec_lo, s4
	s_cbranch_vccz .LBB142_18
	s_branch .LBB142_102
.LBB142_16:
	s_waitcnt lgkmcnt(0)
	s_lshl_b64 s[4:5], s[2:3], 3
	s_delay_alu instid0(SALU_CYCLE_1)
	s_add_u32 s4, s44, s4
	s_addc_u32 s5, s45, s5
	s_load_b64 s[4:5], s[4:5], 0x0
	s_waitcnt lgkmcnt(0)
	s_sub_u32 s40, s4, s16
	s_subb_u32 s41, s5, 0
	s_and_not1_b32 vcc_lo, exec_lo, s9
	s_mov_b64 s[52:53], 0
	s_cbranch_vccnz .LBB142_15
.LBB142_17:
	s_waitcnt lgkmcnt(0)
	s_lshl_b64 s[4:5], s[2:3], 3
	s_delay_alu instid0(SALU_CYCLE_1)
	s_add_u32 s4, s44, s4
	s_addc_u32 s5, s45, s5
	s_load_b64 s[4:5], s[4:5], 0x8
	s_waitcnt lgkmcnt(0)
	s_sub_u32 s52, s4, s16
	s_subb_u32 s53, s5, 0
	s_load_b128 s[28:31], s[0:1], 0x8
	s_waitcnt lgkmcnt(0)
	v_cmp_lt_i64_e64 s4, s[28:29], 1
	s_delay_alu instid0(VALU_DEP_1)
	s_and_b32 vcc_lo, exec_lo, s4
	s_cbranch_vccnz .LBB142_102
.LBB142_18:
	v_bfe_u32 v9, v0, 3, 3
	s_lshl_b64 s[6:7], s[2:3], 3
	v_mov_b32_e32 v5, 0
	s_add_u32 s2, s24, s6
	s_addc_u32 s3, s25, s7
	v_mad_u64_u32 v[6:7], null, v9, s30, 0
	s_load_b64 s[2:3], s[2:3], 0x0
	v_dual_mov_b32 v2, v5 :: v_dual_and_b32 v3, 7, v0
	v_and_b32_e32 v15, 63, v0
	s_load_b32 s5, s[0:1], 0x0
	v_and_b32_e32 v40, 56, v0
	s_delay_alu instid0(VALU_DEP_4) | instskip(SKIP_3) | instid1(VALU_DEP_3)
	v_mov_b32_e32 v4, v7
	v_mad_u64_u32 v[11:12], null, v3, s30, 0
	v_lshrrev_b32_e32 v1, 6, v0
	s_mov_b32 s60, s19
	v_mad_u64_u32 v[7:8], null, v9, s31, v[4:5]
	v_lshlrev_b32_e32 v37, 3, v0
	s_mov_b32 s24, 0
	s_delay_alu instid0(VALU_DEP_4)
	v_mov_b32_e32 v8, v12
	v_mov_b32_e32 v4, v5
	;; [unrolled: 1-line block ×3, first 2 shown]
	s_mov_b32 s25, s24
	v_lshlrev_b64 v[13:14], 3, v[6:7]
	v_mad_u64_u32 v[6:7], null, v3, s31, v[8:9]
	s_waitcnt lgkmcnt(0)
	s_sub_u32 s54, s2, s18
	s_subb_u32 s55, s3, 0
	s_mul_i32 s2, s30, s31
	s_mul_hi_u32 s3, s30, s30
	v_lshlrev_b32_e32 v7, 3, v3
	s_add_i32 s3, s3, s2
	v_mov_b32_e32 v12, v6
	s_add_i32 s45, s3, s2
	v_add_co_u32 v16, s2, s48, v13
	s_delay_alu instid0(VALU_DEP_1) | instskip(SKIP_1) | instid1(VALU_DEP_3)
	v_add_co_ci_u32_e64 v17, s2, s49, v14, s2
	v_cmp_gt_i64_e64 s3, s[30:31], v[3:4]
	v_add_co_u32 v4, s4, v16, v7
	v_cmp_gt_u64_e32 vcc_lo, s[30:31], v[9:10]
	v_cmp_gt_i64_e64 s2, s[30:31], v[9:10]
	v_add_co_ci_u32_e64 v39, s4, 0, v17, s4
	v_and_b32_e32 v17, 31, v0
	v_lshlrev_b64 v[9:10], 3, v[11:12]
	v_cmp_lt_i64_e64 s10, s[40:41], s[52:53]
	s_and_b32 s58, s3, s2
	s_cmp_eq_u32 s5, 0
	v_lshlrev_b32_e32 v18, 2, v17
	s_cselect_b32 s8, -1, 0
	v_add_co_u32 v6, s2, s12, v9
	s_delay_alu instid0(VALU_DEP_1) | instskip(SKIP_1) | instid1(VALU_DEP_1)
	v_add_co_ci_u32_e64 v11, s2, s13, v10, s2
	v_add_co_u32 v12, s2, s12, v13
	v_add_co_ci_u32_e64 v16, s2, s13, v14, s2
	s_delay_alu instid0(VALU_DEP_4) | instskip(NEXT) | instid1(VALU_DEP_1)
	v_add_co_u32 v6, s2, v6, v40
	v_add_co_ci_u32_e64 v11, s2, 0, v11, s2
	s_delay_alu instid0(VALU_DEP_4) | instskip(NEXT) | instid1(VALU_DEP_1)
	v_add_co_u32 v12, s2, v12, v7
	v_add_co_ci_u32_e64 v16, s2, 0, v16, s2
	v_add_co_u32 v9, s2, s22, v9
	s_delay_alu instid0(VALU_DEP_1)
	v_add_co_ci_u32_e64 v10, s2, s23, v10, s2
	v_sub_co_u32 v41, s2, v1, s19
	v_add_co_u32 v19, s19, v17, -1
	s_cmp_lg_u32 s5, 0
	v_sub_co_ci_u32_e64 v42, null, 0, 0, s2
	s_cselect_b32 s59, -1, 0
	s_add_u32 s42, s42, s6
	s_addc_u32 s43, s43, s7
	v_lshl_add_u32 v44, v19, 2, 0x4800
	v_dual_mov_b32 v19, 32 :: v_dual_mov_b32 v8, v5
	v_add_nc_u32_e32 v47, 0x47f0, v18
	v_or_b32_e32 v43, 0x4800, v18
	s_and_b32 s62, s3, vcc_lo
	v_cmp_ne_u32_e64 s3, 0, v17
	v_cmp_lt_u32_e64 s4, 1, v17
	v_add_nc_u32_e32 v46, 0x47f8, v18
	v_cmp_lt_u32_e64 s5, 3, v17
	v_cmp_lt_u32_e64 s6, 7, v17
	v_add_nc_u32_e32 v48, 0x47e0, v18
	v_cmp_lt_u32_e64 s7, 15, v17
	v_add_nc_u32_e32 v49, 0x47c0, v18
	v_mov_b32_e32 v17, 0
	v_mov_b32_e32 v18, 0
	v_add_co_u32 v9, s2, v9, v40
	s_delay_alu instid0(VALU_DEP_1) | instskip(SKIP_1) | instid1(VALU_DEP_1)
	v_add_co_ci_u32_e64 v10, s2, 0, v10, s2
	v_add_co_u32 v13, s2, s22, v13
	v_add_co_ci_u32_e64 v14, s2, s23, v14, s2
	v_cndmask_b32_e64 v50, v11, v16, s8
	s_delay_alu instid0(VALU_DEP_3) | instskip(NEXT) | instid1(VALU_DEP_1)
	v_add_co_u32 v13, s2, v13, v7
	v_add_co_ci_u32_e64 v14, s2, 0, v14, s2
	s_and_b32 s61, s9, s10
	s_delay_alu instid0(VALU_DEP_2) | instskip(SKIP_1) | instid1(VALU_DEP_3)
	v_cndmask_b32_e64 v11, v9, v13, s8
	v_cndmask_b32_e64 v51, v6, v12, s8
	;; [unrolled: 1-line block ×3, first 2 shown]
	s_add_u32 s63, s50, 8
	s_addc_u32 s64, s51, 0
	v_cmp_eq_u32_e64 s2, 63, v15
	v_or_b32_e32 v15, 0x400, v0
	s_add_u32 s65, s26, -8
	v_cmp_gt_u32_e64 s0, 32, v0
	v_cmp_eq_u32_e64 s1, 0, v0
	v_lshl_or_b32 v45, v0, 2, 0x4800
	v_cmp_gt_u32_e64 s9, 0x200, v0
	v_cmp_gt_u32_e64 s10, 0x100, v0
	v_lshlrev_b32_e32 v0, 9, v1
	s_addc_u32 s66, s27, -1
	v_add_co_u32 v11, vcc_lo, v11, 4
	s_add_u32 s22, s38, 4
	v_add_co_ci_u32_e32 v12, vcc_lo, 0, v6, vcc_lo
	s_addc_u32 s23, s39, 0
	s_movk_i32 s11, 0x7c0
	v_add_co_u32 v9, s12, s22, v7
	v_add_co_u32 v53, vcc_lo, v41, 4
	v_cmp_gt_u32_e64 s8, 0x700, v15
	v_mov_b32_e32 v13, s54
	v_mov_b32_e32 v15, s24
	v_or_b32_e32 v38, 0x4000, v37
	v_or3_b32 v0, v0, v40, 0x4000
	v_add_co_ci_u32_e64 v10, null, s23, 0, s12
	v_and_or_b32 v52, v37, s11, 0x4000
	v_add_co_ci_u32_e32 v54, vcc_lo, 0, v42, vcc_lo
	v_lshl_or_b32 v55, v1, 2, 0x4800
	v_mov_b32_e32 v20, 0
	v_mov_b32_e32 v14, s55
	;; [unrolled: 1-line block ×4, first 2 shown]
	s_mul_i32 s44, s30, s30
	s_lshl_b64 s[38:39], s[30:31], 3
	s_lshl_b64 s[48:49], s[44:45], 3
	;; [unrolled: 1-line block ×3, first 2 shown]
	s_branch .LBB142_20
.LBB142_19:                             ;   in Loop: Header=BB142_20 Depth=1
	s_or_b32 exec_lo, exec_lo, s11
	s_waitcnt_vscnt null, 0x0
	s_barrier
	buffer_gl0_inv
	ds_load_b64 v[17:18], v5 offset:18560
	v_ashrrev_i32_e32 v19, 31, v6
	v_add_co_u32 v13, vcc_lo, v13, v6
	s_waitcnt lgkmcnt(0)
	s_barrier
	s_delay_alu instid0(VALU_DEP_2) | instskip(SKIP_3) | instid1(VALU_DEP_1)
	v_add_co_ci_u32_e32 v14, vcc_lo, v14, v19, vcc_lo
	buffer_gl0_inv
	v_cmp_le_i64_e32 vcc_lo, s[28:29], v[17:18]
	v_add_co_u32 v19, s11, v17, 32
	v_add_co_ci_u32_e64 v20, s11, 0, v18, s11
	s_cbranch_vccnz .LBB142_102
.LBB142_20:                             ; =>This Loop Header: Depth=1
                                        ;     Child Loop BB142_33 Depth 2
                                        ;       Child Loop BB142_49 Depth 3
                                        ;         Child Loop BB142_61 Depth 4
                                        ;         Child Loop BB142_57 Depth 4
                                        ;     Child Loop BB142_71 Depth 2
                                        ;     Child Loop BB142_80 Depth 2
	;; [unrolled: 1-line block ×3, first 2 shown]
	s_and_saveexec_b32 s11, s0
	s_cbranch_execz .LBB142_22
; %bb.21:                               ;   in Loop: Header=BB142_20 Depth=1
	ds_store_b32 v45, v5
.LBB142_22:                             ;   in Loop: Header=BB142_20 Depth=1
	s_or_b32 exec_lo, exec_lo, s11
	ds_store_2addr_stride64_b64 v37, v[15:16], v[15:16] offset1:4
	ds_store_2addr_stride64_b64 v37, v[15:16], v[15:16] offset0:8 offset1:12
	ds_store_b64 v37, v[15:16] offset:8192
	s_and_saveexec_b32 s11, s8
	s_delay_alu instid0(SALU_CYCLE_1)
	s_xor_b32 s11, exec_lo, s11
	s_cbranch_execz .LBB142_28
; %bb.23:                               ;   in Loop: Header=BB142_20 Depth=1
	v_mov_b32_e32 v6, v5
	ds_store_b64 v37, v[5:6] offset:10240
	s_and_saveexec_b32 s12, s9
	s_delay_alu instid0(SALU_CYCLE_1)
	s_xor_b32 s12, exec_lo, s12
	s_cbranch_execz .LBB142_27
; %bb.24:                               ;   in Loop: Header=BB142_20 Depth=1
	ds_store_b64 v37, v[5:6] offset:12288
	s_and_saveexec_b32 s13, s10
	s_delay_alu instid0(SALU_CYCLE_1)
	s_xor_b32 s13, exec_lo, s13
	s_cbranch_execz .LBB142_26
; %bb.25:                               ;   in Loop: Header=BB142_20 Depth=1
	v_mov_b32_e32 v6, v5
	ds_store_b64 v37, v[5:6] offset:14336
.LBB142_26:                             ;   in Loop: Header=BB142_20 Depth=1
	s_or_b32 exec_lo, exec_lo, s13
.LBB142_27:                             ;   in Loop: Header=BB142_20 Depth=1
	s_delay_alu instid0(SALU_CYCLE_1)
	s_or_b32 exec_lo, exec_lo, s12
.LBB142_28:                             ;   in Loop: Header=BB142_20 Depth=1
	s_delay_alu instid0(SALU_CYCLE_1)
	s_or_b32 exec_lo, exec_lo, s11
	s_and_saveexec_b32 s11, s1
	s_cbranch_execz .LBB142_30
; %bb.29:                               ;   in Loop: Header=BB142_20 Depth=1
	v_dual_mov_b32 v21, s28 :: v_dual_mov_b32 v22, s29
	ds_store_b64 v5, v[21:22] offset:18560
.LBB142_30:                             ;   in Loop: Header=BB142_20 Depth=1
	s_or_b32 exec_lo, exec_lo, s11
	v_dual_mov_b32 v21, s28 :: v_dual_mov_b32 v22, s29
	s_and_not1_b32 vcc_lo, exec_lo, s61
	s_waitcnt lgkmcnt(0)
	s_barrier
	buffer_gl0_inv
	s_cbranch_vccnz .LBB142_66
; %bb.31:                               ;   in Loop: Header=BB142_20 Depth=1
	v_cmp_ne_u64_e64 s11, 0, v[17:18]
	v_dual_mov_b32 v21, s28 :: v_dual_mov_b32 v22, s29
	s_mov_b64 s[24:25], s[40:41]
	s_branch .LBB142_33
.LBB142_32:                             ;   in Loop: Header=BB142_33 Depth=2
	s_or_b32 exec_lo, exec_lo, s13
	s_add_u32 s24, s24, 4
	s_addc_u32 s25, s25, 0
	s_delay_alu instid0(SALU_CYCLE_1) | instskip(NEXT) | instid1(VALU_DEP_1)
	v_cmp_lt_i64_e64 s12, s[24:25], s[52:53]
	s_and_b32 vcc_lo, exec_lo, s12
	s_cbranch_vccz .LBB142_66
.LBB142_33:                             ;   Parent Loop BB142_20 Depth=1
                                        ; =>  This Loop Header: Depth=2
                                        ;       Child Loop BB142_49 Depth 3
                                        ;         Child Loop BB142_61 Depth 4
                                        ;         Child Loop BB142_57 Depth 4
	v_add_co_u32 v23, s12, s24, v1
	s_delay_alu instid0(VALU_DEP_1) | instskip(NEXT) | instid1(VALU_DEP_1)
	v_add_co_ci_u32_e64 v24, null, s25, 0, s12
	s_waitcnt_vscnt null, 0x0
	s_barrier
	buffer_gl0_inv
	v_cmp_gt_i64_e64 s12, s[52:53], v[23:24]
	s_delay_alu instid0(VALU_DEP_1)
	s_and_saveexec_b32 s13, s12
	s_cbranch_execz .LBB142_38
; %bb.34:                               ;   in Loop: Header=BB142_33 Depth=2
	s_and_saveexec_b32 s26, s62
	s_delay_alu instid0(SALU_CYCLE_1)
	s_xor_b32 s26, exec_lo, s26
	s_cbranch_execz .LBB142_36
; %bb.35:                               ;   in Loop: Header=BB142_33 Depth=2
	v_mul_lo_u32 v6, v24, s44
	v_mul_lo_u32 v27, v23, s45
	v_mad_u64_u32 v[25:26], null, v23, s44, 0
	s_delay_alu instid0(VALU_DEP_1) | instskip(NEXT) | instid1(VALU_DEP_1)
	v_add3_u32 v26, v26, v27, v6
	v_lshlrev_b64 v[25:26], 3, v[25:26]
	s_delay_alu instid0(VALU_DEP_1) | instskip(NEXT) | instid1(VALU_DEP_2)
	v_add_co_u32 v25, vcc_lo, v4, v25
	v_add_co_ci_u32_e32 v26, vcc_lo, v39, v26, vcc_lo
	global_load_b64 v[25:26], v[25:26], off
	s_waitcnt vmcnt(0)
	ds_store_b64 v38, v[25:26]
.LBB142_36:                             ;   in Loop: Header=BB142_33 Depth=2
	s_and_not1_saveexec_b32 s26, s26
	s_cbranch_execz .LBB142_38
; %bb.37:                               ;   in Loop: Header=BB142_33 Depth=2
	v_mov_b32_e32 v6, v5
	ds_store_b64 v38, v[5:6]
.LBB142_38:                             ;   in Loop: Header=BB142_33 Depth=2
	s_or_b32 exec_lo, exec_lo, s13
	v_mov_b32_e32 v25, 0
	v_lshlrev_b64 v[23:24], 3, v[23:24]
	v_mov_b32_e32 v26, 0
	s_waitcnt lgkmcnt(0)
	s_barrier
	buffer_gl0_inv
	s_and_saveexec_b32 s67, s12
	s_cbranch_execz .LBB142_64
; %bb.39:                               ;   in Loop: Header=BB142_33 Depth=2
	v_add_co_u32 v25, vcc_lo, s46, v23
	v_add_co_ci_u32_e32 v26, vcc_lo, s47, v24, vcc_lo
	s_and_b32 vcc_lo, exec_lo, s11
	global_load_b64 v[27:28], v[25:26], off
	s_cbranch_vccz .LBB142_41
; %bb.40:                               ;   in Loop: Header=BB142_33 Depth=2
	v_add_co_u32 v25, vcc_lo, s14, v23
	v_add_co_ci_u32_e32 v26, vcc_lo, s15, v24, vcc_lo
	s_mov_b32 s13, 0
	global_load_b64 v[25:26], v[25:26], off
	s_branch .LBB142_42
.LBB142_41:                             ;   in Loop: Header=BB142_33 Depth=2
	s_mov_b32 s13, -1
                                        ; implicit-def: $vgpr25_vgpr26
.LBB142_42:                             ;   in Loop: Header=BB142_33 Depth=2
	s_waitcnt vmcnt(0)
	v_sub_co_u32 v27, vcc_lo, v27, s16
	v_subrev_co_ci_u32_e32 v28, vcc_lo, 0, v28, vcc_lo
	s_and_not1_b32 vcc_lo, exec_lo, s13
	s_delay_alu instid0(VALU_DEP_1)
	v_lshlrev_b64 v[27:28], 3, v[27:28]
	s_cbranch_vccnz .LBB142_44
; %bb.43:                               ;   in Loop: Header=BB142_33 Depth=2
	s_delay_alu instid0(VALU_DEP_1) | instskip(NEXT) | instid1(VALU_DEP_2)
	v_add_co_u32 v25, vcc_lo, s50, v27
	v_add_co_ci_u32_e32 v26, vcc_lo, s51, v28, vcc_lo
	global_load_b64 v[25:26], v[25:26], off
	s_waitcnt vmcnt(0)
	v_sub_co_u32 v25, vcc_lo, v25, s17
	v_subrev_co_ci_u32_e32 v26, vcc_lo, 0, v26, vcc_lo
.LBB142_44:                             ;   in Loop: Header=BB142_33 Depth=2
	s_delay_alu instid0(VALU_DEP_1) | instskip(NEXT) | instid1(VALU_DEP_2)
	v_add_co_u32 v27, vcc_lo, s63, v27
	v_add_co_ci_u32_e32 v28, vcc_lo, s64, v28, vcc_lo
	s_mov_b32 s68, exec_lo
	global_load_b64 v[27:28], v[27:28], off
	s_waitcnt vmcnt(0)
	v_sub_co_u32 v27, vcc_lo, v27, s17
	v_subrev_co_ci_u32_e32 v28, vcc_lo, 0, v28, vcc_lo
	s_delay_alu instid0(VALU_DEP_1)
	v_cmpx_lt_i64_e64 v[25:26], v[27:28]
	s_cbranch_execz .LBB142_63
; %bb.45:                               ;   in Loop: Header=BB142_33 Depth=2
	v_mad_u64_u32 v[33:34], null, s38, v25, v[7:8]
	v_mul_lo_u32 v6, s38, v26
	v_mul_lo_u32 v31, s39, v25
	v_mad_u64_u32 v[29:30], null, s48, v25, v[9:10]
	v_mul_lo_u32 v35, s48, v26
	s_mov_b32 s69, 0
	v_mul_lo_u32 v36, s31, v33
	s_delay_alu instid0(VALU_DEP_4) | instskip(SKIP_2) | instid1(VALU_DEP_3)
	v_add3_u32 v6, v31, v34, v6
	v_mul_lo_u32 v34, s49, v25
	v_mad_u64_u32 v[31:32], null, s30, v33, s[22:23]
	v_mul_lo_u32 v6, s30, v6
	s_delay_alu instid0(VALU_DEP_3) | instskip(SKIP_1) | instid1(VALU_DEP_3)
	v_add3_u32 v30, v34, v30, v35
	v_dual_mov_b32 v34, v26 :: v_dual_mov_b32 v33, v25
	v_add3_u32 v32, v36, v32, v6
	s_branch .LBB142_49
.LBB142_46:                             ;   in Loop: Header=BB142_49 Depth=3
	s_delay_alu instid0(VALU_DEP_1) | instskip(SKIP_1) | instid1(VALU_DEP_2)
	v_mul_f32_e64 v35, v58, -s35
	v_lshlrev_b32_e32 v6, 6, v6
	v_dual_mul_f32 v36, s33, v58 :: v_dual_fmac_f32 v35, s33, v57
	s_delay_alu instid0(VALU_DEP_2) | instskip(NEXT) | instid1(VALU_DEP_2)
	v_or3_b32 v6, v6, v40, v3
	v_fmac_f32_e32 v36, s35, v57
	s_delay_alu instid0(VALU_DEP_2)
	v_lshlrev_b32_e32 v6, 3, v6
	ds_add_f32 v6, v35
	ds_add_f32 v6, v36 offset:4
.LBB142_47:                             ;   in Loop: Header=BB142_49 Depth=3
	s_or_b32 exec_lo, exec_lo, s71
	s_delay_alu instid0(SALU_CYCLE_1)
	s_or_b32 s13, s13, exec_lo
.LBB142_48:                             ;   in Loop: Header=BB142_49 Depth=3
	s_or_b32 exec_lo, exec_lo, s70
	v_add_co_u32 v33, vcc_lo, v33, 1
	v_add_co_ci_u32_e32 v34, vcc_lo, 0, v34, vcc_lo
	s_xor_b32 s26, s13, -1
	v_add_co_u32 v31, s13, v31, s48
	s_delay_alu instid0(VALU_DEP_2)
	v_cmp_ge_i64_e32 vcc_lo, v[33:34], v[27:28]
	v_add_co_ci_u32_e64 v32, s13, s49, v32, s13
	s_or_b32 s13, s26, vcc_lo
	v_add_co_u32 v29, vcc_lo, v29, s48
	v_add_co_ci_u32_e32 v30, vcc_lo, s49, v30, vcc_lo
	s_and_b32 s13, exec_lo, s13
	s_delay_alu instid0(SALU_CYCLE_1) | instskip(NEXT) | instid1(SALU_CYCLE_1)
	s_or_b32 s69, s13, s69
	s_and_not1_b32 exec_lo, exec_lo, s69
	s_cbranch_execz .LBB142_62
.LBB142_49:                             ;   Parent Loop BB142_20 Depth=1
                                        ;     Parent Loop BB142_33 Depth=2
                                        ; =>    This Loop Header: Depth=3
                                        ;         Child Loop BB142_61 Depth 4
                                        ;         Child Loop BB142_57 Depth 4
	s_delay_alu instid0(VALU_DEP_2) | instskip(NEXT) | instid1(VALU_DEP_1)
	v_lshlrev_b64 v[35:36], 3, v[33:34]
	v_add_co_u32 v35, vcc_lo, s36, v35
	s_delay_alu instid0(VALU_DEP_2) | instskip(SKIP_4) | instid1(VALU_DEP_1)
	v_add_co_ci_u32_e32 v36, vcc_lo, s37, v36, vcc_lo
	global_load_b64 v[35:36], v[35:36], off
	s_waitcnt vmcnt(0)
	v_sub_co_u32 v35, vcc_lo, v35, s17
	v_subrev_co_ci_u32_e32 v36, vcc_lo, 0, v36, vcc_lo
	v_cmp_lt_i64_e64 s13, v[35:36], v[17:18]
	v_cmp_ge_i64_e32 vcc_lo, v[35:36], v[19:20]
	s_delay_alu instid0(VALU_DEP_2) | instskip(NEXT) | instid1(SALU_CYCLE_1)
	s_or_b32 s26, s13, vcc_lo
                                        ; implicit-def: $sgpr13
	s_and_saveexec_b32 s27, s26
	s_delay_alu instid0(SALU_CYCLE_1)
	s_xor_b32 s26, exec_lo, s27
	s_cbranch_execz .LBB142_53
; %bb.50:                               ;   in Loop: Header=BB142_49 Depth=3
	s_mov_b32 s27, -1
	s_and_saveexec_b32 s13, vcc_lo
; %bb.51:                               ;   in Loop: Header=BB142_49 Depth=3
	v_cmp_lt_i64_e32 vcc_lo, v[35:36], v[21:22]
	v_dual_mov_b32 v25, v33 :: v_dual_mov_b32 v26, v34
	s_xor_b32 s27, exec_lo, -1
	v_dual_cndmask_b32 v22, v22, v36 :: v_dual_cndmask_b32 v21, v21, v35
; %bb.52:                               ;   in Loop: Header=BB142_49 Depth=3
	s_or_b32 exec_lo, exec_lo, s13
	s_delay_alu instid0(SALU_CYCLE_1)
	s_and_b32 s13, s27, exec_lo
                                        ; implicit-def: $vgpr35_vgpr36
.LBB142_53:                             ;   in Loop: Header=BB142_49 Depth=3
	s_and_not1_saveexec_b32 s70, s26
	s_cbranch_execz .LBB142_48
; %bb.54:                               ;   in Loop: Header=BB142_49 Depth=3
	v_sub_nc_u32_e32 v6, v35, v17
	s_delay_alu instid0(VALU_DEP_1)
	v_lshlrev_b32_e32 v35, 2, v6
	ds_store_b32 v35, v56 offset:18432
	s_and_saveexec_b32 s71, s58
	s_cbranch_execz .LBB142_47
; %bb.55:                               ;   in Loop: Header=BB142_49 Depth=3
	s_and_not1_b32 vcc_lo, exec_lo, s59
	s_cbranch_vccnz .LBB142_59
; %bb.56:                               ;   in Loop: Header=BB142_49 Depth=3
	v_dual_mov_b32 v57, 0 :: v_dual_mov_b32 v36, v32
	v_dual_mov_b32 v59, v0 :: v_dual_mov_b32 v58, 0
	v_mov_b32_e32 v35, v31
	s_mov_b64 s[26:27], s[30:31]
	.p2align	6
.LBB142_57:                             ;   Parent Loop BB142_20 Depth=1
                                        ;     Parent Loop BB142_33 Depth=2
                                        ;       Parent Loop BB142_49 Depth=3
                                        ; =>      This Inner Loop Header: Depth=4
	global_load_b64 v[60:61], v[35:36], off offset:-4
	ds_load_b64 v[62:63], v59
	v_add_co_u32 v35, vcc_lo, v35, 8
	v_add_co_ci_u32_e32 v36, vcc_lo, 0, v36, vcc_lo
	s_add_u32 s26, s26, -1
	s_addc_u32 s27, s27, -1
	v_add_nc_u32_e32 v59, 64, v59
	s_cmp_lg_u64 s[26:27], 0
	s_waitcnt vmcnt(0) lgkmcnt(0)
	v_fmac_f32_e32 v57, v62, v60
	v_fmac_f32_e32 v58, v63, v60
	s_delay_alu instid0(VALU_DEP_2) | instskip(NEXT) | instid1(VALU_DEP_2)
	v_fma_f32 v57, -v63, v61, v57
	v_fmac_f32_e32 v58, v62, v61
	s_cbranch_scc1 .LBB142_57
; %bb.58:                               ;   in Loop: Header=BB142_49 Depth=3
	s_branch .LBB142_46
.LBB142_59:                             ;   in Loop: Header=BB142_49 Depth=3
                                        ; implicit-def: $vgpr57
                                        ; implicit-def: $vgpr58
	s_cbranch_execz .LBB142_46
; %bb.60:                               ;   in Loop: Header=BB142_49 Depth=3
	v_dual_mov_b32 v57, 0 :: v_dual_mov_b32 v36, v30
	v_dual_mov_b32 v59, v52 :: v_dual_mov_b32 v58, 0
	v_mov_b32_e32 v35, v29
	s_mov_b64 s[26:27], s[30:31]
	.p2align	6
.LBB142_61:                             ;   Parent Loop BB142_20 Depth=1
                                        ;     Parent Loop BB142_33 Depth=2
                                        ;       Parent Loop BB142_49 Depth=3
                                        ; =>      This Inner Loop Header: Depth=4
	global_load_b64 v[60:61], v[35:36], off offset:-4
	ds_load_b64 v[62:63], v59
	v_add_co_u32 v35, vcc_lo, v35, s38
	s_add_u32 s26, s26, -1
	v_add_co_ci_u32_e32 v36, vcc_lo, s39, v36, vcc_lo
	s_addc_u32 s27, s27, -1
	v_add_nc_u32_e32 v59, 8, v59
	s_cmp_eq_u64 s[26:27], 0
	s_waitcnt vmcnt(0) lgkmcnt(0)
	v_fmac_f32_e32 v57, v62, v60
	v_fmac_f32_e32 v58, v63, v60
	s_delay_alu instid0(VALU_DEP_2) | instskip(NEXT) | instid1(VALU_DEP_2)
	v_fma_f32 v57, -v63, v61, v57
	v_fmac_f32_e32 v58, v62, v61
	s_cbranch_scc0 .LBB142_61
	s_branch .LBB142_46
.LBB142_62:                             ;   in Loop: Header=BB142_33 Depth=2
	s_or_b32 exec_lo, exec_lo, s69
.LBB142_63:                             ;   in Loop: Header=BB142_33 Depth=2
	s_delay_alu instid0(SALU_CYCLE_1)
	s_or_b32 exec_lo, exec_lo, s68
.LBB142_64:                             ;   in Loop: Header=BB142_33 Depth=2
	s_delay_alu instid0(SALU_CYCLE_1)
	s_or_b32 exec_lo, exec_lo, s67
	s_waitcnt lgkmcnt(0)
	s_barrier
	buffer_gl0_inv
	s_and_saveexec_b32 s13, s12
	s_cbranch_execz .LBB142_32
; %bb.65:                               ;   in Loop: Header=BB142_33 Depth=2
	v_add_co_u32 v23, vcc_lo, s14, v23
	v_add_co_ci_u32_e32 v24, vcc_lo, s15, v24, vcc_lo
	global_store_b64 v[23:24], v[25:26], off
	s_branch .LBB142_32
.LBB142_66:                             ;   in Loop: Header=BB142_20 Depth=1
	s_and_not1_b32 vcc_lo, exec_lo, s34
	s_cbranch_vccnz .LBB142_78
; %bb.67:                               ;   in Loop: Header=BB142_20 Depth=1
	s_load_b128 s[24:27], s[42:43], 0x0
	s_waitcnt lgkmcnt(0)
	v_add_co_u32 v25, vcc_lo, s24, v41
	v_add_co_ci_u32_e32 v26, vcc_lo, s25, v42, vcc_lo
	s_sub_u32 s12, s26, s60
	s_subb_u32 s13, s27, 0
	s_mov_b32 s26, exec_lo
	s_delay_alu instid0(VALU_DEP_1)
	v_cmpx_gt_i64_e64 s[12:13], v[25:26]
	s_cbranch_execz .LBB142_77
; %bb.68:                               ;   in Loop: Header=BB142_20 Depth=1
	v_lshlrev_b64 v[27:28], 3, v[25:26]
	v_mad_u64_u32 v[23:24], null, s48, v25, v[11:12]
	v_mul_lo_u32 v6, s48, v26
	v_mul_lo_u32 v29, s49, v25
	s_delay_alu instid0(VALU_DEP_4) | instskip(SKIP_2) | instid1(VALU_DEP_4)
	v_add_co_u32 v25, vcc_lo, s20, v27
	v_add_co_ci_u32_e32 v26, vcc_lo, s21, v28, vcc_lo
	v_add_co_u32 v27, vcc_lo, v53, s24
	v_add3_u32 v24, v29, v24, v6
	v_add_co_ci_u32_e32 v28, vcc_lo, s25, v54, vcc_lo
	s_mov_b32 s24, 0
	s_branch .LBB142_71
.LBB142_69:                             ;   in Loop: Header=BB142_71 Depth=2
	s_or_b32 exec_lo, exec_lo, s27
	s_delay_alu instid0(SALU_CYCLE_1)
	s_or_b32 s11, s11, exec_lo
.LBB142_70:                             ;   in Loop: Header=BB142_71 Depth=2
	s_or_b32 exec_lo, exec_lo, s25
	v_cmp_le_i64_e32 vcc_lo, s[12:13], v[27:28]
	s_xor_b32 s25, s11, -1
	v_add_co_u32 v25, s11, v25, 32
	s_delay_alu instid0(VALU_DEP_1)
	v_add_co_ci_u32_e64 v26, s11, 0, v26, s11
	s_or_b32 s11, s25, vcc_lo
	v_add_co_u32 v23, vcc_lo, v23, s54
	v_add_co_ci_u32_e32 v24, vcc_lo, s55, v24, vcc_lo
	v_add_co_u32 v27, vcc_lo, v27, 4
	v_add_co_ci_u32_e32 v28, vcc_lo, 0, v28, vcc_lo
	s_and_b32 s11, exec_lo, s11
	s_delay_alu instid0(SALU_CYCLE_1) | instskip(NEXT) | instid1(SALU_CYCLE_1)
	s_or_b32 s24, s11, s24
	s_and_not1_b32 exec_lo, exec_lo, s24
	s_cbranch_execz .LBB142_76
.LBB142_71:                             ;   Parent Loop BB142_20 Depth=1
                                        ; =>  This Inner Loop Header: Depth=2
	global_load_b64 v[29:30], v[25:26], off
	s_waitcnt vmcnt(0)
	v_sub_co_u32 v29, vcc_lo, v29, s60
	v_subrev_co_ci_u32_e32 v30, vcc_lo, 0, v30, vcc_lo
	s_delay_alu instid0(VALU_DEP_1)
	v_cmp_lt_i64_e32 vcc_lo, v[29:30], v[19:20]
	v_cmp_lt_i64_e64 s11, v[29:30], v[17:18]
	s_xor_b32 s25, vcc_lo, -1
	s_delay_alu instid0(VALU_DEP_1) | instid1(SALU_CYCLE_1)
	s_or_b32 s25, s11, s25
                                        ; implicit-def: $sgpr11
	s_delay_alu instid0(SALU_CYCLE_1) | instskip(NEXT) | instid1(SALU_CYCLE_1)
	s_and_saveexec_b32 s27, s25
	s_xor_b32 s25, exec_lo, s27
; %bb.72:                               ;   in Loop: Header=BB142_71 Depth=2
	v_cmp_lt_i64_e64 s11, v[29:30], v[21:22]
	s_delay_alu instid0(VALU_DEP_1) | instskip(SKIP_2) | instid1(VALU_DEP_1)
	v_cndmask_b32_e64 v6, v21, v29, s11
	v_cndmask_b32_e64 v29, v22, v30, s11
	s_and_b32 s11, vcc_lo, exec_lo
	v_dual_cndmask_b32 v21, v6, v21 :: v_dual_cndmask_b32 v22, v29, v22
                                        ; implicit-def: $vgpr29
; %bb.73:                               ;   in Loop: Header=BB142_71 Depth=2
	s_and_not1_saveexec_b32 s25, s25
	s_cbranch_execz .LBB142_70
; %bb.74:                               ;   in Loop: Header=BB142_71 Depth=2
	v_sub_nc_u32_e32 v6, v29, v17
	s_delay_alu instid0(VALU_DEP_1)
	v_lshlrev_b32_e32 v29, 2, v6
	ds_store_b32 v29, v56 offset:18432
	s_and_saveexec_b32 s27, s62
	s_cbranch_execz .LBB142_69
; %bb.75:                               ;   in Loop: Header=BB142_71 Depth=2
	global_load_b64 v[29:30], v[23:24], off offset:-4
	s_waitcnt vmcnt(0)
	v_mul_f32_e64 v31, v30, -s57
	v_lshlrev_b32_e32 v6, 6, v6
	s_delay_alu instid0(VALU_DEP_2) | instskip(NEXT) | instid1(VALU_DEP_2)
	v_dual_mul_f32 v30, s56, v30 :: v_dual_fmac_f32 v31, s56, v29
	v_or3_b32 v6, v6, v40, v3
	s_delay_alu instid0(VALU_DEP_2) | instskip(NEXT) | instid1(VALU_DEP_2)
	v_fmac_f32_e32 v30, s57, v29
	v_lshlrev_b32_e32 v6, 3, v6
	ds_add_f32 v6, v31
	ds_add_f32 v6, v30 offset:4
	s_branch .LBB142_69
.LBB142_76:                             ;   in Loop: Header=BB142_20 Depth=1
	s_or_b32 exec_lo, exec_lo, s24
.LBB142_77:                             ;   in Loop: Header=BB142_20 Depth=1
	s_delay_alu instid0(SALU_CYCLE_1)
	s_or_b32 exec_lo, exec_lo, s26
.LBB142_78:                             ;   in Loop: Header=BB142_20 Depth=1
	s_and_saveexec_b32 s11, s2
	s_cbranch_execz .LBB142_83
; %bb.79:                               ;   in Loop: Header=BB142_20 Depth=1
	s_mov_b32 s24, exec_lo
	s_mov_b64 s[12:13], -1
.LBB142_80:                             ;   Parent Loop BB142_20 Depth=1
                                        ; =>  This Inner Loop Header: Depth=2
	s_ctz_i32_b32 s25, s24
	s_delay_alu instid0(SALU_CYCLE_1) | instskip(SKIP_1) | instid1(VALU_DEP_1)
	v_readlane_b32 s27, v22, s25
	v_readlane_b32 s26, v21, s25
	v_cmp_lt_u64_e64 s67, s[12:13], s[26:27]
	s_delay_alu instid0(VALU_DEP_1) | instskip(SKIP_3) | instid1(SALU_CYCLE_1)
	s_and_b32 s67, s67, exec_lo
	s_cselect_b32 s13, s13, s27
	s_cselect_b32 s12, s12, s26
	s_lshl_b32 s25, 1, s25
	s_and_not1_b32 s24, s24, s25
	s_delay_alu instid0(SALU_CYCLE_1)
	s_cmp_lg_u32 s24, 0
	s_cbranch_scc1 .LBB142_80
; %bb.81:                               ;   in Loop: Header=BB142_20 Depth=1
	v_mbcnt_lo_u32_b32 v6, exec_lo, 0
	s_mov_b32 s24, exec_lo
	s_delay_alu instid0(VALU_DEP_1)
	v_cmpx_eq_u32_e32 0, v6
	s_xor_b32 s24, exec_lo, s24
	s_cbranch_execz .LBB142_83
; %bb.82:                               ;   in Loop: Header=BB142_20 Depth=1
	v_dual_mov_b32 v20, s13 :: v_dual_mov_b32 v19, s12
	ds_min_u64 v5, v[19:20] offset:18560
.LBB142_83:                             ;   in Loop: Header=BB142_20 Depth=1
	s_or_b32 exec_lo, exec_lo, s11
	s_waitcnt lgkmcnt(0)
	s_waitcnt_vscnt null, 0x0
	s_barrier
	buffer_gl0_inv
	ds_load_b32 v19, v43
	s_waitcnt lgkmcnt(0)
	s_barrier
	buffer_gl0_inv
	s_and_saveexec_b32 s11, s3
	s_cbranch_execz .LBB142_85
; %bb.84:                               ;   in Loop: Header=BB142_20 Depth=1
	ds_load_b32 v6, v44
	s_waitcnt lgkmcnt(0)
	v_add_nc_u32_e32 v19, v6, v19
.LBB142_85:                             ;   in Loop: Header=BB142_20 Depth=1
	s_or_b32 exec_lo, exec_lo, s11
	s_barrier
	buffer_gl0_inv
	ds_store_b32 v43, v19
	s_waitcnt lgkmcnt(0)
	s_barrier
	buffer_gl0_inv
	s_and_saveexec_b32 s11, s4
	s_cbranch_execz .LBB142_87
; %bb.86:                               ;   in Loop: Header=BB142_20 Depth=1
	ds_load_b32 v6, v46
	s_waitcnt lgkmcnt(0)
	v_add_nc_u32_e32 v19, v6, v19
.LBB142_87:                             ;   in Loop: Header=BB142_20 Depth=1
	s_or_b32 exec_lo, exec_lo, s11
	s_barrier
	buffer_gl0_inv
	ds_store_b32 v43, v19
	;; [unrolled: 14-line block ×5, first 2 shown]
	s_waitcnt lgkmcnt(0)
	s_barrier
	buffer_gl0_inv
	ds_load_b32 v6, v5 offset:18556
	v_mov_b32_e32 v20, 0
	s_and_saveexec_b32 s11, s19
	s_cbranch_execz .LBB142_95
; %bb.94:                               ;   in Loop: Header=BB142_20 Depth=1
	ds_load_b32 v20, v44
.LBB142_95:                             ;   in Loop: Header=BB142_20 Depth=1
	s_or_b32 exec_lo, exec_lo, s11
	s_waitcnt lgkmcnt(0)
	v_cmp_eq_u32_e32 vcc_lo, v19, v20
	s_barrier
	buffer_gl0_inv
	s_and_b32 s12, s19, vcc_lo
	s_delay_alu instid0(SALU_CYCLE_1)
	s_and_saveexec_b32 s11, s12
	s_cbranch_execz .LBB142_97
; %bb.96:                               ;   in Loop: Header=BB142_20 Depth=1
	ds_store_b32 v43, v5
.LBB142_97:                             ;   in Loop: Header=BB142_20 Depth=1
	s_or_b32 exec_lo, exec_lo, s11
	v_add_co_u32 v19, vcc_lo, v13, -1
	v_add_co_ci_u32_e32 v20, vcc_lo, -1, v14, vcc_lo
	v_add_co_u32 v21, vcc_lo, s18, v17
	v_add_co_ci_u32_e32 v22, vcc_lo, 0, v18, vcc_lo
	v_dual_mov_b32 v23, v55 :: v_dual_mov_b32 v24, v37
	v_dual_mov_b32 v18, v2 :: v_dual_mov_b32 v17, v1
	s_mov_b32 s11, 0
	s_waitcnt lgkmcnt(0)
	s_barrier
	buffer_gl0_inv
	s_branch .LBB142_99
.LBB142_98:                             ;   in Loop: Header=BB142_99 Depth=2
	s_or_b32 exec_lo, exec_lo, s12
	v_add_co_u32 v17, vcc_lo, v17, 4
	v_add_co_ci_u32_e32 v18, vcc_lo, 0, v18, vcc_lo
	v_add_nc_u32_e32 v24, 0x800, v24
	s_delay_alu instid0(VALU_DEP_3) | instskip(SKIP_1) | instid1(VALU_DEP_2)
	v_add_nc_u32_e32 v25, -4, v17
	v_add_nc_u32_e32 v23, 16, v23
	v_cmp_lt_u32_e32 vcc_lo, 27, v25
	s_or_b32 s11, vcc_lo, s11
	s_delay_alu instid0(SALU_CYCLE_1)
	s_and_not1_b32 exec_lo, exec_lo, s11
	s_cbranch_execz .LBB142_19
.LBB142_99:                             ;   Parent Loop BB142_20 Depth=1
                                        ; =>  This Inner Loop Header: Depth=2
	ds_load_b32 v25, v23
	s_mov_b32 s12, exec_lo
	s_waitcnt lgkmcnt(0)
	v_cmpx_ne_u32_e32 0, v25
	s_cbranch_execz .LBB142_98
; %bb.100:                              ;   in Loop: Header=BB142_99 Depth=2
	v_ashrrev_i32_e32 v26, 31, v25
	v_add_co_u32 v27, vcc_lo, v13, v25
	s_delay_alu instid0(VALU_DEP_2) | instskip(SKIP_2) | instid1(VALU_DEP_3)
	v_add_co_ci_u32_e32 v28, vcc_lo, v14, v26, vcc_lo
	v_add_co_u32 v29, vcc_lo, v21, v17
	v_add_co_ci_u32_e32 v30, vcc_lo, v22, v18, vcc_lo
	v_lshlrev_b64 v[27:28], 3, v[27:28]
	s_delay_alu instid0(VALU_DEP_1) | instskip(NEXT) | instid1(VALU_DEP_2)
	v_add_co_u32 v27, vcc_lo, s65, v27
	v_add_co_ci_u32_e32 v28, vcc_lo, s66, v28, vcc_lo
	global_store_b64 v[27:28], v[29:30], off
	s_and_b32 exec_lo, exec_lo, s62
	s_cbranch_execz .LBB142_98
; %bb.101:                              ;   in Loop: Header=BB142_99 Depth=2
	v_add_co_u32 v27, vcc_lo, v19, v25
	v_add_co_ci_u32_e32 v25, vcc_lo, v20, v26, vcc_lo
	s_delay_alu instid0(VALU_DEP_2) | instskip(NEXT) | instid1(VALU_DEP_2)
	v_mul_lo_u32 v30, v27, s45
	v_mul_lo_u32 v29, v25, s44
	v_mad_u64_u32 v[25:26], null, v27, s44, 0
	ds_load_b64 v[27:28], v24
	v_add3_u32 v26, v26, v30, v29
	s_delay_alu instid0(VALU_DEP_1) | instskip(NEXT) | instid1(VALU_DEP_1)
	v_lshlrev_b64 v[25:26], 3, v[25:26]
	v_add_co_u32 v25, vcc_lo, v51, v25
	s_delay_alu instid0(VALU_DEP_2)
	v_add_co_ci_u32_e32 v26, vcc_lo, v50, v26, vcc_lo
	s_waitcnt lgkmcnt(0)
	global_store_b64 v[25:26], v[27:28], off
	s_branch .LBB142_98
.LBB142_102:
	s_endpgm
	.section	.rodata,"a",@progbits
	.p2align	6, 0x0
	.amdhsa_kernel _ZN9rocsparseL38bsrgemm_block_per_row_atomic_multipassILj256ELj32ELj8Ell21rocsparse_complex_numIfEEEv20rocsparse_direction_T3_S4_PKS4_S6_NS_24const_host_device_scalarIT4_EEPKT2_S6_PKS8_SC_S6_SE_S9_SC_S6_SE_SC_PS4_PS8_PSA_21rocsparse_index_base_SI_SI_SI_bbb
		.amdhsa_group_segment_fixed_size 18568
		.amdhsa_private_segment_fixed_size 0
		.amdhsa_kernarg_size 180
		.amdhsa_user_sgpr_count 15
		.amdhsa_user_sgpr_dispatch_ptr 0
		.amdhsa_user_sgpr_queue_ptr 0
		.amdhsa_user_sgpr_kernarg_segment_ptr 1
		.amdhsa_user_sgpr_dispatch_id 0
		.amdhsa_user_sgpr_private_segment_size 0
		.amdhsa_wavefront_size32 1
		.amdhsa_uses_dynamic_stack 0
		.amdhsa_enable_private_segment 0
		.amdhsa_system_sgpr_workgroup_id_x 1
		.amdhsa_system_sgpr_workgroup_id_y 0
		.amdhsa_system_sgpr_workgroup_id_z 0
		.amdhsa_system_sgpr_workgroup_info 0
		.amdhsa_system_vgpr_workitem_id 0
		.amdhsa_next_free_vgpr 64
		.amdhsa_next_free_sgpr 72
		.amdhsa_reserve_vcc 1
		.amdhsa_float_round_mode_32 0
		.amdhsa_float_round_mode_16_64 0
		.amdhsa_float_denorm_mode_32 3
		.amdhsa_float_denorm_mode_16_64 3
		.amdhsa_dx10_clamp 1
		.amdhsa_ieee_mode 1
		.amdhsa_fp16_overflow 0
		.amdhsa_workgroup_processor_mode 1
		.amdhsa_memory_ordered 1
		.amdhsa_forward_progress 0
		.amdhsa_shared_vgpr_count 0
		.amdhsa_exception_fp_ieee_invalid_op 0
		.amdhsa_exception_fp_denorm_src 0
		.amdhsa_exception_fp_ieee_div_zero 0
		.amdhsa_exception_fp_ieee_overflow 0
		.amdhsa_exception_fp_ieee_underflow 0
		.amdhsa_exception_fp_ieee_inexact 0
		.amdhsa_exception_int_div_zero 0
	.end_amdhsa_kernel
	.section	.text._ZN9rocsparseL38bsrgemm_block_per_row_atomic_multipassILj256ELj32ELj8Ell21rocsparse_complex_numIfEEEv20rocsparse_direction_T3_S4_PKS4_S6_NS_24const_host_device_scalarIT4_EEPKT2_S6_PKS8_SC_S6_SE_S9_SC_S6_SE_SC_PS4_PS8_PSA_21rocsparse_index_base_SI_SI_SI_bbb,"axG",@progbits,_ZN9rocsparseL38bsrgemm_block_per_row_atomic_multipassILj256ELj32ELj8Ell21rocsparse_complex_numIfEEEv20rocsparse_direction_T3_S4_PKS4_S6_NS_24const_host_device_scalarIT4_EEPKT2_S6_PKS8_SC_S6_SE_S9_SC_S6_SE_SC_PS4_PS8_PSA_21rocsparse_index_base_SI_SI_SI_bbb,comdat
.Lfunc_end142:
	.size	_ZN9rocsparseL38bsrgemm_block_per_row_atomic_multipassILj256ELj32ELj8Ell21rocsparse_complex_numIfEEEv20rocsparse_direction_T3_S4_PKS4_S6_NS_24const_host_device_scalarIT4_EEPKT2_S6_PKS8_SC_S6_SE_S9_SC_S6_SE_SC_PS4_PS8_PSA_21rocsparse_index_base_SI_SI_SI_bbb, .Lfunc_end142-_ZN9rocsparseL38bsrgemm_block_per_row_atomic_multipassILj256ELj32ELj8Ell21rocsparse_complex_numIfEEEv20rocsparse_direction_T3_S4_PKS4_S6_NS_24const_host_device_scalarIT4_EEPKT2_S6_PKS8_SC_S6_SE_S9_SC_S6_SE_SC_PS4_PS8_PSA_21rocsparse_index_base_SI_SI_SI_bbb
                                        ; -- End function
	.section	.AMDGPU.csdata,"",@progbits
; Kernel info:
; codeLenInByte = 4176
; NumSgprs: 74
; NumVgprs: 64
; ScratchSize: 0
; MemoryBound: 0
; FloatMode: 240
; IeeeMode: 1
; LDSByteSize: 18568 bytes/workgroup (compile time only)
; SGPRBlocks: 9
; VGPRBlocks: 7
; NumSGPRsForWavesPerEU: 74
; NumVGPRsForWavesPerEU: 64
; Occupancy: 14
; WaveLimiterHint : 1
; COMPUTE_PGM_RSRC2:SCRATCH_EN: 0
; COMPUTE_PGM_RSRC2:USER_SGPR: 15
; COMPUTE_PGM_RSRC2:TRAP_HANDLER: 0
; COMPUTE_PGM_RSRC2:TGID_X_EN: 1
; COMPUTE_PGM_RSRC2:TGID_Y_EN: 0
; COMPUTE_PGM_RSRC2:TGID_Z_EN: 0
; COMPUTE_PGM_RSRC2:TIDIG_COMP_CNT: 0
	.section	.text._ZN9rocsparseL31bsrgemm_block_per_row_multipassILj256ELj8ELj16Ell21rocsparse_complex_numIfEEEv20rocsparse_direction_T3_S4_PKS4_S6_NS_24const_host_device_scalarIT4_EEPKT2_S6_PKS8_SC_S6_SE_S9_SC_S6_SE_SC_PS4_PS8_PSA_21rocsparse_index_base_SI_SI_SI_bbb,"axG",@progbits,_ZN9rocsparseL31bsrgemm_block_per_row_multipassILj256ELj8ELj16Ell21rocsparse_complex_numIfEEEv20rocsparse_direction_T3_S4_PKS4_S6_NS_24const_host_device_scalarIT4_EEPKT2_S6_PKS8_SC_S6_SE_S9_SC_S6_SE_SC_PS4_PS8_PSA_21rocsparse_index_base_SI_SI_SI_bbb,comdat
	.globl	_ZN9rocsparseL31bsrgemm_block_per_row_multipassILj256ELj8ELj16Ell21rocsparse_complex_numIfEEEv20rocsparse_direction_T3_S4_PKS4_S6_NS_24const_host_device_scalarIT4_EEPKT2_S6_PKS8_SC_S6_SE_S9_SC_S6_SE_SC_PS4_PS8_PSA_21rocsparse_index_base_SI_SI_SI_bbb ; -- Begin function _ZN9rocsparseL31bsrgemm_block_per_row_multipassILj256ELj8ELj16Ell21rocsparse_complex_numIfEEEv20rocsparse_direction_T3_S4_PKS4_S6_NS_24const_host_device_scalarIT4_EEPKT2_S6_PKS8_SC_S6_SE_S9_SC_S6_SE_SC_PS4_PS8_PSA_21rocsparse_index_base_SI_SI_SI_bbb
	.p2align	8
	.type	_ZN9rocsparseL31bsrgemm_block_per_row_multipassILj256ELj8ELj16Ell21rocsparse_complex_numIfEEEv20rocsparse_direction_T3_S4_PKS4_S6_NS_24const_host_device_scalarIT4_EEPKT2_S6_PKS8_SC_S6_SE_S9_SC_S6_SE_SC_PS4_PS8_PSA_21rocsparse_index_base_SI_SI_SI_bbb,@function
_ZN9rocsparseL31bsrgemm_block_per_row_multipassILj256ELj8ELj16Ell21rocsparse_complex_numIfEEEv20rocsparse_direction_T3_S4_PKS4_S6_NS_24const_host_device_scalarIT4_EEPKT2_S6_PKS8_SC_S6_SE_S9_SC_S6_SE_SC_PS4_PS8_PSA_21rocsparse_index_base_SI_SI_SI_bbb: ; @_ZN9rocsparseL31bsrgemm_block_per_row_multipassILj256ELj8ELj16Ell21rocsparse_complex_numIfEEEv20rocsparse_direction_T3_S4_PKS4_S6_NS_24const_host_device_scalarIT4_EEPKT2_S6_PKS8_SC_S6_SE_S9_SC_S6_SE_SC_PS4_PS8_PSA_21rocsparse_index_base_SI_SI_SI_bbb
; %bb.0:
	s_mov_b32 s2, s15
	s_clause 0x5
	s_load_b32 s3, s[0:1], 0xb0
	s_load_b256 s[4:11], s[0:1], 0x90
	s_load_b256 s[12:19], s[0:1], 0x70
	;; [unrolled: 1-line block ×3, first 2 shown]
	s_load_b128 s[28:31], s[0:1], 0x18
	s_load_b256 s[36:43], s[0:1], 0x30
	s_mov_b32 s35, 0
	s_waitcnt lgkmcnt(0)
	s_bitcmp1_b32 s3, 0
	s_cselect_b32 s46, -1, 0
	s_bitcmp1_b32 s3, 16
	s_cselect_b32 s33, -1, 0
	s_delay_alu instid0(SALU_CYCLE_1) | instskip(SKIP_3) | instid1(VALU_DEP_1)
	s_xor_b32 s44, s33, -1
	s_bitcmp0_b32 s3, 0
	v_cndmask_b32_e64 v1, 0, 1, s44
	s_mov_b32 s33, 0
	v_cmp_ne_u32_e32 vcc_lo, 1, v1
	s_cbranch_scc1 .LBB143_5
; %bb.1:
	s_load_b64 s[34:35], s[0:1], 0x28
	s_and_b32 vcc_lo, exec_lo, vcc_lo
	s_waitcnt lgkmcnt(0)
	s_mov_b32 s33, s34
	s_cbranch_vccnz .LBB143_3
; %bb.2:
	s_load_b32 s33, s[34:35], 0x0
.LBB143_3:
	s_and_not1_b32 vcc_lo, exec_lo, s44
	s_cbranch_vccnz .LBB143_5
; %bb.4:
	s_load_b32 s35, s[34:35], 0x4
.LBB143_5:
	s_bitcmp1_b32 s3, 8
	s_mov_b32 s65, 0
	s_cselect_b32 s34, -1, 0
	s_bfe_u32 s3, s3, 0x10008
	s_mov_b32 s64, 0
	s_cmp_eq_u32 s3, 0
	s_cbranch_scc1 .LBB143_11
; %bb.6:
	v_cmp_ne_u32_e32 vcc_lo, 1, v1
	s_mov_b32 s64, s24
	s_cbranch_vccnz .LBB143_8
; %bb.7:
	s_load_b32 s64, s[24:25], 0x0
.LBB143_8:
	v_cmp_ne_u32_e32 vcc_lo, 1, v1
	s_cbranch_vccnz .LBB143_10
; %bb.9:
	s_load_b32 s25, s[24:25], 0x4
.LBB143_10:
	s_waitcnt lgkmcnt(0)
	s_mov_b32 s65, s25
.LBB143_11:
	s_mov_b64 s[24:25], 0
	s_cmp_eq_u64 s[30:31], 0
	s_mov_b32 s3, 0
	s_cbranch_scc1 .LBB143_13
; %bb.12:
	s_load_b64 s[28:29], s[28:29], 0x0
	s_waitcnt lgkmcnt(0)
	s_lshl_b64 s[28:29], s[28:29], 3
	s_delay_alu instid0(SALU_CYCLE_1) | instskip(SKIP_2) | instid1(SALU_CYCLE_1)
	s_add_u32 s28, s30, s28
	s_addc_u32 s29, s31, s29
	s_lshl_b64 s[2:3], s[2:3], 3
	s_add_u32 s2, s28, s2
	s_addc_u32 s3, s29, s3
	s_load_b64 s[2:3], s[2:3], 0x0
.LBB143_13:
	s_and_not1_b32 vcc_lo, exec_lo, s46
	s_cbranch_vccz .LBB143_16
; %bb.14:
	s_and_not1_b32 vcc_lo, exec_lo, s46
	s_mov_b64 s[44:45], 0
	s_cbranch_vccz .LBB143_17
.LBB143_15:
	s_load_b128 s[28:31], s[0:1], 0x8
	s_waitcnt lgkmcnt(0)
	v_cmp_lt_i64_e64 s36, s[28:29], 1
	s_delay_alu instid0(VALU_DEP_1)
	s_and_b32 vcc_lo, exec_lo, s36
	s_cbranch_vccz .LBB143_18
	s_branch .LBB143_105
.LBB143_16:
	s_waitcnt lgkmcnt(0)
	s_lshl_b64 s[24:25], s[2:3], 3
	s_delay_alu instid0(SALU_CYCLE_1)
	s_add_u32 s24, s36, s24
	s_addc_u32 s25, s37, s25
	s_load_b64 s[24:25], s[24:25], 0x0
	s_waitcnt lgkmcnt(0)
	s_sub_u32 s24, s24, s8
	s_subb_u32 s25, s25, 0
	s_and_not1_b32 vcc_lo, exec_lo, s46
	s_mov_b64 s[44:45], 0
	s_cbranch_vccnz .LBB143_15
.LBB143_17:
	s_waitcnt lgkmcnt(0)
	s_lshl_b64 s[28:29], s[2:3], 3
	s_delay_alu instid0(SALU_CYCLE_1)
	s_add_u32 s28, s36, s28
	s_addc_u32 s29, s37, s29
	s_load_b64 s[28:29], s[28:29], 0x8
	s_waitcnt lgkmcnt(0)
	s_sub_u32 s44, s28, s8
	s_subb_u32 s45, s29, 0
	s_load_b128 s[28:31], s[0:1], 0x8
	s_waitcnt lgkmcnt(0)
	v_cmp_lt_i64_e64 s36, s[28:29], 1
	s_delay_alu instid0(VALU_DEP_1)
	s_and_b32 vcc_lo, exec_lo, s36
	s_cbranch_vccnz .LBB143_105
.LBB143_18:
	v_and_b32_e32 v1, 15, v0
	v_lshrrev_b32_e32 v6, 4, v0
	s_lshl_b64 s[48:49], s[2:3], 3
	v_cmp_lt_i64_e64 s47, s[24:25], s[44:45]
	s_add_u32 s2, s16, s48
	v_mad_u64_u32 v[4:5], null, v1, s30, 0
	v_mad_u64_u32 v[8:9], null, v6, s30, 0
	s_addc_u32 s3, s17, s49
	s_load_b32 s16, s[0:1], 0x0
	s_load_b64 s[2:3], s[2:3], 0x0
	s_mul_i32 s36, s30, s30
	s_delay_alu instid0(VALU_DEP_2) | instskip(SKIP_1) | instid1(VALU_DEP_2)
	v_mov_b32_e32 v2, v5
	s_mov_b32 s17, 0
	v_mov_b32_e32 v5, v9
	v_cmp_gt_u32_e64 s0, 8, v0
	v_mov_b32_e32 v39, 1
	v_mad_u64_u32 v[9:10], null, v1, s31, v[2:3]
	v_dual_mov_b32 v3, 0 :: v_dual_lshlrev_b32 v12, 3, v6
	s_delay_alu instid0(VALU_DEP_1) | instskip(SKIP_1) | instid1(VALU_DEP_4)
	v_mov_b32_e32 v2, v3
	v_mad_u64_u32 v[10:11], null, v6, s31, v[5:6]
	v_mov_b32_e32 v5, v9
	v_mov_b32_e32 v7, v3
	s_delay_alu instid0(VALU_DEP_4)
	v_cmp_gt_i64_e32 vcc_lo, s[30:31], v[1:2]
	s_waitcnt lgkmcnt(0)
	s_sub_u32 s50, s2, s10
	s_subb_u32 s51, s3, 0
	v_mov_b32_e32 v17, s50
	v_mov_b32_e32 v9, v10
	v_lshlrev_b64 v[10:11], 3, v[4:5]
	v_dual_mov_b32 v18, s51 :: v_dual_lshlrev_b32 v5, 3, v1
	s_cmp_eq_u32 s16, 0
	s_delay_alu instid0(VALU_DEP_3) | instskip(SKIP_1) | instid1(VALU_DEP_3)
	v_lshlrev_b64 v[8:9], 3, v[8:9]
	s_mul_i32 s3, s30, s31
	v_add_co_u32 v2, s1, s14, v10
	s_delay_alu instid0(VALU_DEP_1) | instskip(NEXT) | instid1(VALU_DEP_3)
	v_add_co_ci_u32_e64 v4, s1, s15, v11, s1
	v_add_co_u32 v13, s1, s14, v8
	s_delay_alu instid0(VALU_DEP_1) | instskip(NEXT) | instid1(VALU_DEP_4)
	v_add_co_ci_u32_e64 v14, s1, s15, v9, s1
	v_add_co_u32 v15, s1, v2, v12
	s_delay_alu instid0(VALU_DEP_1) | instskip(NEXT) | instid1(VALU_DEP_4)
	v_add_co_ci_u32_e64 v4, s1, 0, v4, s1
	v_add_co_u32 v13, s1, v13, v5
	s_delay_alu instid0(VALU_DEP_1)
	v_add_co_ci_u32_e64 v14, s1, 0, v14, s1
	s_cselect_b32 s1, -1, 0
	s_cmp_lg_u32 s16, 0
	s_mul_hi_u32 s2, s30, s30
	s_cselect_b32 s66, -1, 0
	s_add_i32 s14, s2, s3
	v_cmp_gt_u64_e64 s2, s[30:31], v[6:7]
	s_add_i32 s37, s14, s3
	v_add_co_u32 v7, s3, s4, v10
	s_delay_alu instid0(VALU_DEP_1) | instskip(SKIP_1) | instid1(VALU_DEP_2)
	v_add_co_ci_u32_e64 v10, s3, s5, v11, s3
	s_add_u32 s26, s26, s48
	v_add_co_u32 v31, s3, v7, v12
	s_delay_alu instid0(VALU_DEP_1) | instskip(SKIP_1) | instid1(VALU_DEP_1)
	v_add_co_ci_u32_e64 v32, s3, 0, v10, s3
	v_add_co_u32 v7, s3, s4, v8
	v_add_co_ci_u32_e64 v8, s3, s5, v9, s3
	s_addc_u32 s27, s27, s49
	s_delay_alu instid0(VALU_DEP_2)
	v_add_co_u32 v33, s3, v7, v5
	s_and_b32 s67, s46, s47
	s_and_b32 s68, vcc_lo, s2
	v_add_co_ci_u32_e64 v34, s3, 0, v8, s3
	s_add_u32 s69, s42, 8
	s_addc_u32 s70, s43, 0
	s_mul_i32 s2, s24, s37
	s_mul_hi_u32 s3, s24, s36
	s_add_u32 s71, s18, -8
	s_addc_u32 s72, s19, -1
	s_add_i32 s2, s3, s2
	s_mul_i32 s3, s25, s36
	v_or_b32_e32 v7, 0x400, v0
	s_add_i32 s3, s2, s3
	s_mul_i32 s2, s24, s36
	s_mul_i32 s14, s24, s30
	s_lshl_b64 s[4:5], s[2:3], 3
	s_mul_i32 s3, s24, s31
	s_add_u32 s52, s40, s4
	s_addc_u32 s53, s41, s5
	s_lshl_b64 s[46:47], s[36:37], 3
	s_lshl_b64 s[48:49], s[30:31], 3
	s_mul_hi_u32 s4, s24, s30
	s_add_u32 s22, s22, 4
	s_addc_u32 s23, s23, 0
	s_add_i32 s4, s4, s3
	s_mul_i32 s5, s25, s30
	v_and_b32_e32 v2, 0xf0, v0
	s_add_i32 s15, s4, s5
	v_cndmask_b32_e64 v4, v4, v14, s1
	s_lshl_b64 s[14:15], s[14:15], 3
	v_cndmask_b32_e64 v13, v15, v13, s1
	v_cndmask_b32_e64 v37, v32, v34, s1
	;; [unrolled: 1-line block ×3, first 2 shown]
	v_cmp_gt_u32_e64 s1, 0x700, v7
	v_add_co_u32 v7, s14, s14, v12
	v_or_b32_e32 v9, v2, v1
	v_add_co_ci_u32_e64 v8, null, s15, 0, s14
	s_delay_alu instid0(VALU_DEP_3) | instskip(SKIP_1) | instid1(VALU_DEP_3)
	v_mul_lo_u32 v15, s31, v7
	s_mov_b32 s16, s11
	v_lshlrev_b32_e32 v36, 3, v9
	v_add_co_u32 v9, s14, s52, v12
	v_mul_lo_u32 v14, s30, v8
	v_mad_u64_u32 v[11:12], null, s30, v7, s[40:41]
	v_add_co_ci_u32_e64 v10, null, s53, 0, s14
	s_delay_alu instid0(VALU_DEP_4) | instskip(SKIP_1) | instid1(VALU_DEP_4)
	v_add_co_u32 v7, vcc_lo, v9, 4
	v_add_co_u32 v9, s14, s22, v5
	v_add3_u32 v12, v15, v12, v14
	s_delay_alu instid0(VALU_DEP_4)
	v_add_co_ci_u32_e32 v8, vcc_lo, 0, v10, vcc_lo
	v_add_co_ci_u32_e64 v10, null, s23, 0, s14
	s_lshl_b64 s[14:15], s[16:17], 3
	v_add_co_u32 v11, vcc_lo, v11, 4
	s_sub_u32 s73, s12, s14
	v_add_co_ci_u32_e32 v12, vcc_lo, 0, v12, vcc_lo
	s_subb_u32 s74, s13, s15
	s_mov_b32 s13, s17
	v_add_co_u32 v13, vcc_lo, v13, 4
	s_mov_b32 s12, s17
	v_dual_mov_b32 v16, s13 :: v_dual_lshlrev_b32 v35, 3, v0
	v_mov_b32_e32 v6, v3
	v_cmp_gt_u32_e64 s2, 0x200, v0
	v_cmp_gt_u32_e64 s3, 0x100, v0
	v_add_co_ci_u32_e32 v14, vcc_lo, 0, v4, vcc_lo
	v_mov_b32_e32 v15, s12
	s_sub_u32 s11, 1, s11
	s_mov_b64 s[4:5], 8
	s_subb_u32 s17, 0, 0
	s_mov_b64 s[50:51], 0
	s_branch .LBB143_21
.LBB143_19:                             ;   in Loop: Header=BB143_21 Depth=1
	s_or_b32 exec_lo, exec_lo, s4
.LBB143_20:                             ;   in Loop: Header=BB143_21 Depth=1
	v_cmp_lt_i64_e64 s4, s[40:41], s[28:29]
	s_waitcnt lgkmcnt(0)
	v_dual_mov_b32 v17, v19 :: v_dual_mov_b32 v18, v20
	s_waitcnt_vscnt null, 0x0
	s_barrier
	buffer_gl0_inv
	s_and_b32 vcc_lo, s4, exec_lo
	s_cselect_b32 s50, s40, s28
	s_cselect_b32 s51, s41, s29
	s_add_u32 s4, s50, 8
	s_addc_u32 s5, s51, 0
	s_barrier
	buffer_gl0_inv
	s_cbranch_vccz .LBB143_105
.LBB143_21:                             ; =>This Loop Header: Depth=1
                                        ;     Child Loop BB143_31 Depth 2
                                        ;       Child Loop BB143_36 Depth 3
                                        ;         Child Loop BB143_48 Depth 4
                                        ;         Child Loop BB143_44 Depth 4
                                        ;     Child Loop BB143_60 Depth 2
	s_and_saveexec_b32 s12, s0
	s_cbranch_execz .LBB143_23
; %bb.22:                               ;   in Loop: Header=BB143_21 Depth=1
	ds_store_b8 v0, v3 offset:16384
.LBB143_23:                             ;   in Loop: Header=BB143_21 Depth=1
	s_or_b32 exec_lo, exec_lo, s12
	ds_store_2addr_stride64_b64 v35, v[15:16], v[15:16] offset1:4
	ds_store_2addr_stride64_b64 v35, v[15:16], v[15:16] offset0:8 offset1:12
	ds_store_b64 v35, v[15:16] offset:8192
	s_and_saveexec_b32 s12, s1
	s_delay_alu instid0(SALU_CYCLE_1)
	s_xor_b32 s12, exec_lo, s12
	s_cbranch_execz .LBB143_29
; %bb.24:                               ;   in Loop: Header=BB143_21 Depth=1
	v_mov_b32_e32 v4, v3
	ds_store_b64 v35, v[3:4] offset:10240
	s_and_saveexec_b32 s13, s2
	s_delay_alu instid0(SALU_CYCLE_1)
	s_xor_b32 s13, exec_lo, s13
	s_cbranch_execz .LBB143_28
; %bb.25:                               ;   in Loop: Header=BB143_21 Depth=1
	ds_store_b64 v35, v[3:4] offset:12288
	s_and_saveexec_b32 s14, s3
	s_delay_alu instid0(SALU_CYCLE_1)
	s_xor_b32 s14, exec_lo, s14
	s_cbranch_execz .LBB143_27
; %bb.26:                               ;   in Loop: Header=BB143_21 Depth=1
	v_mov_b32_e32 v4, v3
	ds_store_b64 v35, v[3:4] offset:14336
.LBB143_27:                             ;   in Loop: Header=BB143_21 Depth=1
	s_or_b32 exec_lo, exec_lo, s14
.LBB143_28:                             ;   in Loop: Header=BB143_21 Depth=1
	s_delay_alu instid0(SALU_CYCLE_1)
	s_or_b32 exec_lo, exec_lo, s13
.LBB143_29:                             ;   in Loop: Header=BB143_21 Depth=1
	s_delay_alu instid0(SALU_CYCLE_1) | instskip(NEXT) | instid1(SALU_CYCLE_1)
	s_or_b32 exec_lo, exec_lo, s12
	s_and_not1_b32 vcc_lo, exec_lo, s67
	s_mov_b64 s[40:41], s[28:29]
	s_waitcnt lgkmcnt(0)
	s_barrier
	buffer_gl0_inv
	s_cbranch_vccnz .LBB143_57
; %bb.30:                               ;   in Loop: Header=BB143_21 Depth=1
	v_dual_mov_b32 v20, v12 :: v_dual_mov_b32 v19, v11
	v_dual_mov_b32 v22, v8 :: v_dual_mov_b32 v21, v7
	s_cmp_lg_u64 s[50:51], 0
	s_mov_b64 s[52:53], s[28:29]
	s_cselect_b32 s75, -1, 0
	s_mov_b64 s[12:13], s[24:25]
.LBB143_31:                             ;   Parent Loop BB143_21 Depth=1
                                        ; =>  This Loop Header: Depth=2
                                        ;       Child Loop BB143_36 Depth 3
                                        ;         Child Loop BB143_48 Depth 4
                                        ;         Child Loop BB143_44 Depth 4
	s_delay_alu instid0(SALU_CYCLE_1) | instskip(NEXT) | instid1(SALU_CYCLE_1)
	s_lshl_b64 s[14:15], s[12:13], 3
	s_add_u32 s40, s38, s14
	s_addc_u32 s41, s39, s15
	s_load_b64 s[40:41], s[40:41], 0x0
	s_waitcnt lgkmcnt(0)
	s_sub_u32 s40, s40, s8
	s_subb_u32 s41, s41, 0
	s_and_b32 vcc_lo, exec_lo, s75
	s_cbranch_vccz .LBB143_56
; %bb.32:                               ;   in Loop: Header=BB143_31 Depth=2
	s_add_u32 s54, s6, s14
	s_addc_u32 s55, s7, s15
	global_load_b64 v[23:24], v3, s[54:55]
	s_waitcnt vmcnt(0)
	v_readfirstlane_b32 s54, v23
	v_readfirstlane_b32 s55, v24
	s_cbranch_execnz .LBB143_34
.LBB143_33:                             ;   in Loop: Header=BB143_31 Depth=2
	s_lshl_b64 s[54:55], s[40:41], 3
	s_delay_alu instid0(SALU_CYCLE_1)
	s_add_u32 s54, s42, s54
	s_addc_u32 s55, s43, s55
	s_load_b64 s[54:55], s[54:55], 0x0
	s_waitcnt lgkmcnt(0)
	s_sub_u32 s54, s54, s9
	s_subb_u32 s55, s55, 0
.LBB143_34:                             ;   in Loop: Header=BB143_31 Depth=2
	s_lshl_b64 s[40:41], s[40:41], 3
	s_delay_alu instid0(SALU_CYCLE_1)
	s_add_u32 s40, s69, s40
	s_addc_u32 s41, s70, s41
	s_load_b64 s[40:41], s[40:41], 0x0
	s_waitcnt lgkmcnt(0)
	s_sub_u32 s56, s40, s9
	s_subb_u32 s57, s41, 0
	s_delay_alu instid0(SALU_CYCLE_1) | instskip(NEXT) | instid1(VALU_DEP_1)
	v_cmp_ge_i64_e64 s40, s[54:55], s[56:57]
	s_and_b32 vcc_lo, exec_lo, s40
	s_cbranch_vccnz .LBB143_53
; %bb.35:                               ;   in Loop: Header=BB143_31 Depth=2
	v_mad_u64_u32 v[25:26], null, s48, s54, v[5:6]
	s_mul_i32 s40, s49, s54
	s_mul_i32 s41, s48, s55
	s_mov_b64 s[58:59], s[54:55]
	s_delay_alu instid0(VALU_DEP_1) | instskip(NEXT) | instid1(VALU_DEP_2)
	v_add3_u32 v4, s41, s40, v26
	v_mul_lo_u32 v27, s31, v25
	v_mad_u64_u32 v[23:24], null, s30, v25, s[22:23]
	v_mad_u64_u32 v[25:26], null, s46, s54, v[9:10]
	s_delay_alu instid0(VALU_DEP_4)
	v_mul_lo_u32 v4, s30, v4
	s_mul_i32 s40, s47, s54
	s_mul_i32 s41, s46, s55
	s_delay_alu instid0(VALU_DEP_2) | instid1(SALU_CYCLE_1)
	v_add3_u32 v26, s41, s40, v26
	s_delay_alu instid0(VALU_DEP_2)
	v_add3_u32 v24, v27, v24, v4
.LBB143_36:                             ;   Parent Loop BB143_21 Depth=1
                                        ;     Parent Loop BB143_31 Depth=2
                                        ; =>    This Loop Header: Depth=3
                                        ;         Child Loop BB143_48 Depth 4
                                        ;         Child Loop BB143_44 Depth 4
	s_lshl_b64 s[40:41], s[58:59], 3
	s_mov_b32 s77, -1
	s_add_u32 s40, s20, s40
	s_addc_u32 s41, s21, s41
                                        ; implicit-def: $sgpr76
                                        ; implicit-def: $sgpr60_sgpr61
	s_load_b64 s[40:41], s[40:41], 0x0
	s_waitcnt lgkmcnt(0)
	s_sub_u32 s62, s40, s9
	s_subb_u32 s63, s41, 0
	s_delay_alu instid0(SALU_CYCLE_1) | instskip(SKIP_2) | instid1(VALU_DEP_2)
	v_cmp_ge_i64_e64 s40, s[62:63], s[50:51]
	v_cmp_lt_i64_e64 s41, s[62:63], s[4:5]
	v_cmp_ge_i64_e64 s78, s[62:63], s[4:5]
	s_and_b32 s40, s40, s41
	s_delay_alu instid0(SALU_CYCLE_1)
	s_and_not1_b32 vcc_lo, exec_lo, s40
                                        ; implicit-def: $sgpr40_sgpr41
	s_cbranch_vccz .LBB143_40
; %bb.37:                               ;   in Loop: Header=BB143_36 Depth=3
	s_mov_b32 s76, -1
	s_delay_alu instid0(VALU_DEP_1)
	s_and_not1_b32 vcc_lo, exec_lo, s78
	s_mov_b64 s[40:41], s[52:53]
	s_mov_b64 s[60:61], s[54:55]
	s_cbranch_vccnz .LBB143_39
; %bb.38:                               ;   in Loop: Header=BB143_36 Depth=3
	v_cmp_lt_i64_e64 s40, s[62:63], s[52:53]
	s_mov_b32 s76, 0
	s_mov_b64 s[60:61], s[58:59]
	s_delay_alu instid0(VALU_DEP_1)
	s_and_b32 s40, s40, exec_lo
	s_cselect_b32 s41, s63, s53
	s_cselect_b32 s40, s62, s52
.LBB143_39:                             ;   in Loop: Header=BB143_36 Depth=3
	s_mov_b32 s77, 0
.LBB143_40:                             ;   in Loop: Header=BB143_36 Depth=3
	s_delay_alu instid0(SALU_CYCLE_1)
	s_and_not1_b32 vcc_lo, exec_lo, s77
	s_cbranch_vccnz .LBB143_51
; %bb.41:                               ;   in Loop: Header=BB143_36 Depth=3
	s_sub_i32 s61, s62, s50
	s_delay_alu instid0(SALU_CYCLE_1)
	v_mov_b32_e32 v4, s61
	ds_store_b8 v4, v39 offset:16384
	s_and_saveexec_b32 s60, s68
	s_cbranch_execz .LBB143_50
; %bb.42:                               ;   in Loop: Header=BB143_36 Depth=3
	s_and_not1_b32 vcc_lo, exec_lo, s66
	s_cbranch_vccnz .LBB143_46
; %bb.43:                               ;   in Loop: Header=BB143_36 Depth=3
	v_mov_b32_e32 v28, v24
	v_dual_mov_b32 v30, v22 :: v_dual_mov_b32 v29, v21
	v_dual_mov_b32 v4, 0 :: v_dual_mov_b32 v27, v23
	v_mov_b32_e32 v40, 0
	s_mov_b64 s[40:41], s[30:31]
	.p2align	6
.LBB143_44:                             ;   Parent Loop BB143_21 Depth=1
                                        ;     Parent Loop BB143_31 Depth=2
                                        ;       Parent Loop BB143_36 Depth=3
                                        ; =>      This Inner Loop Header: Depth=4
	global_load_b64 v[41:42], v[29:30], off offset:-4
	global_load_b64 v[43:44], v[27:28], off offset:-4
	v_add_co_u32 v29, vcc_lo, v29, s48
	v_add_co_ci_u32_e32 v30, vcc_lo, s49, v30, vcc_lo
	v_add_co_u32 v27, vcc_lo, v27, 8
	v_add_co_ci_u32_e32 v28, vcc_lo, 0, v28, vcc_lo
	s_add_u32 s40, s40, -1
	s_addc_u32 s41, s41, -1
	s_delay_alu instid0(SALU_CYCLE_1) | instskip(SKIP_3) | instid1(VALU_DEP_2)
	s_cmp_lg_u64 s[40:41], 0
	s_waitcnt vmcnt(0)
	v_fmac_f32_e32 v4, v41, v43
	v_fmac_f32_e32 v40, v42, v43
	v_fma_f32 v4, -v42, v44, v4
	s_delay_alu instid0(VALU_DEP_2)
	v_fmac_f32_e32 v40, v41, v44
	s_cbranch_scc1 .LBB143_44
; %bb.45:                               ;   in Loop: Header=BB143_36 Depth=3
	s_branch .LBB143_49
.LBB143_46:                             ;   in Loop: Header=BB143_36 Depth=3
                                        ; implicit-def: $vgpr4
                                        ; implicit-def: $vgpr40
	s_cbranch_execz .LBB143_49
; %bb.47:                               ;   in Loop: Header=BB143_36 Depth=3
	v_mov_b32_e32 v28, v20
	v_dual_mov_b32 v30, v26 :: v_dual_mov_b32 v29, v25
	v_dual_mov_b32 v4, 0 :: v_dual_mov_b32 v27, v19
	v_mov_b32_e32 v40, 0
	s_mov_b64 s[40:41], s[30:31]
	.p2align	6
.LBB143_48:                             ;   Parent Loop BB143_21 Depth=1
                                        ;     Parent Loop BB143_31 Depth=2
                                        ;       Parent Loop BB143_36 Depth=3
                                        ; =>      This Inner Loop Header: Depth=4
	global_load_b64 v[41:42], v[27:28], off offset:-4
	global_load_b64 v[43:44], v[29:30], off offset:-4
	v_add_co_u32 v29, vcc_lo, v29, s48
	v_add_co_ci_u32_e32 v30, vcc_lo, s49, v30, vcc_lo
	v_add_co_u32 v27, vcc_lo, v27, 8
	v_add_co_ci_u32_e32 v28, vcc_lo, 0, v28, vcc_lo
	s_add_u32 s40, s40, -1
	s_addc_u32 s41, s41, -1
	s_delay_alu instid0(SALU_CYCLE_1) | instskip(SKIP_3) | instid1(VALU_DEP_2)
	s_cmp_eq_u64 s[40:41], 0
	s_waitcnt vmcnt(0)
	v_fmac_f32_e32 v4, v41, v43
	v_fmac_f32_e32 v40, v42, v43
	v_fma_f32 v4, -v42, v44, v4
	s_delay_alu instid0(VALU_DEP_2)
	v_fmac_f32_e32 v40, v41, v44
	s_cbranch_scc0 .LBB143_48
.LBB143_49:                             ;   in Loop: Header=BB143_36 Depth=3
	s_lshl_b32 s40, s61, 8
	s_delay_alu instid0(SALU_CYCLE_1) | instskip(NEXT) | instid1(VALU_DEP_1)
	v_or3_b32 v27, s40, v2, v1
	v_lshlrev_b32_e32 v29, 3, v27
	ds_load_b64 v[27:28], v29
	s_waitcnt lgkmcnt(0)
	v_fmac_f32_e32 v28, s35, v4
	v_fma_f32 v27, s33, v4, v27
	s_delay_alu instid0(VALU_DEP_2) | instskip(NEXT) | instid1(VALU_DEP_2)
	v_fmac_f32_e32 v28, s33, v40
	v_fma_f32 v27, -s35, v40, v27
	ds_store_b64 v29, v[27:28]
.LBB143_50:                             ;   in Loop: Header=BB143_36 Depth=3
	s_or_b32 exec_lo, exec_lo, s60
	s_mov_b32 s76, -1
	s_mov_b64 s[40:41], s[52:53]
	s_mov_b64 s[60:61], s[54:55]
	s_waitcnt lgkmcnt(0)
	s_waitcnt_vscnt null, 0x0
	s_barrier
	buffer_gl0_inv
.LBB143_51:                             ;   in Loop: Header=BB143_36 Depth=3
	s_add_u32 s58, s58, 1
	s_addc_u32 s59, s59, 0
	v_add_co_u32 v23, vcc_lo, v23, s46
	v_cmp_lt_i64_e64 s52, s[58:59], s[56:57]
	v_add_co_ci_u32_e32 v24, vcc_lo, s47, v24, vcc_lo
	v_add_co_u32 v25, vcc_lo, v25, s46
	v_add_co_ci_u32_e32 v26, vcc_lo, s47, v26, vcc_lo
	s_delay_alu instid0(VALU_DEP_4) | instskip(NEXT) | instid1(SALU_CYCLE_1)
	s_and_b32 s52, s76, s52
	s_and_b32 vcc_lo, exec_lo, s52
	s_cbranch_vccz .LBB143_54
; %bb.52:                               ;   in Loop: Header=BB143_36 Depth=3
	s_mov_b64 s[52:53], s[40:41]
	s_mov_b64 s[54:55], s[60:61]
	s_branch .LBB143_36
.LBB143_53:                             ;   in Loop: Header=BB143_31 Depth=2
	s_mov_b64 s[40:41], s[52:53]
	s_mov_b64 s[60:61], s[54:55]
.LBB143_54:                             ;   in Loop: Header=BB143_31 Depth=2
	s_add_u32 s14, s6, s14
	s_addc_u32 s15, s7, s15
	s_add_u32 s12, s12, 1
	s_addc_u32 s13, s13, 0
	v_add_co_u32 v21, vcc_lo, v21, s46
	v_cmp_lt_i64_e64 s52, s[12:13], s[44:45]
	v_add_co_ci_u32_e32 v22, vcc_lo, s47, v22, vcc_lo
	v_add_co_u32 v19, vcc_lo, v19, s46
	v_dual_mov_b32 v23, s60 :: v_dual_mov_b32 v24, s61
	v_add_co_ci_u32_e32 v20, vcc_lo, s47, v20, vcc_lo
	s_and_b32 vcc_lo, exec_lo, s52
	global_store_b64 v3, v[23:24], s[14:15]
	s_cbranch_vccz .LBB143_57
; %bb.55:                               ;   in Loop: Header=BB143_31 Depth=2
	s_mov_b64 s[52:53], s[40:41]
	s_branch .LBB143_31
.LBB143_56:                             ;   in Loop: Header=BB143_31 Depth=2
                                        ; implicit-def: $sgpr54_sgpr55
	s_branch .LBB143_33
.LBB143_57:                             ;   in Loop: Header=BB143_21 Depth=1
	s_and_not1_b32 vcc_lo, exec_lo, s34
	s_cbranch_vccnz .LBB143_69
; %bb.58:                               ;   in Loop: Header=BB143_21 Depth=1
	s_load_b128 s[12:15], s[26:27], 0x0
	s_waitcnt lgkmcnt(0)
	v_cmp_ge_i64_e64 s52, s[12:13], s[14:15]
	s_delay_alu instid0(VALU_DEP_1)
	s_and_b32 vcc_lo, exec_lo, s52
	s_cbranch_vccnz .LBB143_69
; %bb.59:                               ;   in Loop: Header=BB143_21 Depth=1
	s_sub_u32 s14, s14, s16
	s_subb_u32 s15, s15, 0
	s_sub_u32 s54, s12, s16
	s_subb_u32 s55, s13, 0
	v_mad_u64_u32 v[19:20], null, s46, s54, v[13:14]
	s_lshl_b64 s[52:53], s[12:13], 3
	s_mul_i32 s54, s47, s54
	s_mul_i32 s55, s46, s55
	s_add_u32 s52, s73, s52
	s_addc_u32 s53, s74, s53
	s_add_u32 s12, s11, s12
	s_delay_alu instid0(VALU_DEP_1)
	v_add3_u32 v20, s55, s54, v20
	s_addc_u32 s13, s17, s13
.LBB143_60:                             ;   Parent Loop BB143_21 Depth=1
                                        ; =>  This Inner Loop Header: Depth=2
	s_load_b64 s[54:55], s[52:53], 0x0
	s_mov_b32 s59, -1
	s_waitcnt lgkmcnt(0)
	s_sub_u32 s56, s54, s16
	s_subb_u32 s57, s55, 0
	s_delay_alu instid0(SALU_CYCLE_1) | instskip(SKIP_1) | instid1(VALU_DEP_1)
	v_cmp_ge_i64_e64 s54, s[56:57], s[50:51]
	v_cmp_lt_i64_e64 s58, s[56:57], s[4:5]
	s_and_b32 s54, s54, s58
	s_delay_alu instid0(SALU_CYCLE_1)
	s_and_not1_b32 vcc_lo, exec_lo, s54
                                        ; implicit-def: $sgpr54_sgpr55
	s_cbranch_vccz .LBB143_62
; %bb.61:                               ;   in Loop: Header=BB143_60 Depth=2
	v_cmp_lt_i64_e64 s54, s[56:57], s[40:41]
	s_mov_b32 s59, 0
	s_delay_alu instid0(VALU_DEP_1)
	s_and_b32 s54, s54, exec_lo
	s_cselect_b32 s54, s56, s40
	s_cselect_b32 s55, s57, s41
	s_and_b32 s57, s58, exec_lo
	s_cselect_b32 s55, s41, s55
	s_cselect_b32 s54, s40, s54
.LBB143_62:                             ;   in Loop: Header=BB143_60 Depth=2
	s_and_not1_b32 vcc_lo, exec_lo, s59
	s_cbranch_vccnz .LBB143_66
; %bb.63:                               ;   in Loop: Header=BB143_60 Depth=2
	s_sub_i32 s55, s56, s50
	s_delay_alu instid0(SALU_CYCLE_1)
	v_mov_b32_e32 v4, s55
	ds_store_b8 v4, v39 offset:16384
	s_and_saveexec_b32 s54, s68
	s_cbranch_execz .LBB143_65
; %bb.64:                               ;   in Loop: Header=BB143_60 Depth=2
	global_load_b64 v[21:22], v[19:20], off offset:-4
	s_lshl_b32 s55, s55, 8
	s_delay_alu instid0(SALU_CYCLE_1) | instskip(NEXT) | instid1(VALU_DEP_1)
	v_or3_b32 v4, s55, v2, v1
	v_lshlrev_b32_e32 v4, 3, v4
	ds_load_b64 v[23:24], v4
	s_waitcnt vmcnt(0) lgkmcnt(0)
	v_fma_f32 v23, s64, v21, v23
	v_fmac_f32_e32 v24, s65, v21
	s_delay_alu instid0(VALU_DEP_2) | instskip(NEXT) | instid1(VALU_DEP_2)
	v_fma_f32 v23, -s65, v22, v23
	v_fmac_f32_e32 v24, s64, v22
	ds_store_b64 v4, v[23:24]
.LBB143_65:                             ;   in Loop: Header=BB143_60 Depth=2
	s_or_b32 exec_lo, exec_lo, s54
	s_mov_b32 s58, -1
	s_mov_b64 s[54:55], s[40:41]
	s_waitcnt lgkmcnt(0)
	s_waitcnt_vscnt null, 0x0
	s_barrier
	buffer_gl0_inv
.LBB143_66:                             ;   in Loop: Header=BB143_60 Depth=2
	v_cmp_lt_i64_e64 s40, s[12:13], s[14:15]
	v_add_co_u32 v19, vcc_lo, v19, s46
	v_add_co_ci_u32_e32 v20, vcc_lo, s47, v20, vcc_lo
	s_delay_alu instid0(VALU_DEP_3)
	s_and_b32 s40, s58, s40
	s_add_u32 s52, s52, 8
	s_addc_u32 s53, s53, 0
	s_add_u32 s12, s12, 1
	s_addc_u32 s13, s13, 0
	s_and_b32 vcc_lo, exec_lo, s40
	s_cbranch_vccz .LBB143_68
; %bb.67:                               ;   in Loop: Header=BB143_60 Depth=2
	s_mov_b64 s[40:41], s[54:55]
	s_branch .LBB143_60
.LBB143_68:                             ;   in Loop: Header=BB143_21 Depth=1
	s_mov_b64 s[40:41], s[54:55]
.LBB143_69:                             ;   in Loop: Header=BB143_21 Depth=1
	s_waitcnt_vscnt null, 0x0
	s_barrier
	buffer_gl0_inv
	ds_load_u8 v4, v3 offset:16384
	s_add_u32 s12, s50, s10
	s_addc_u32 s13, s51, 0
	s_mov_b32 s5, 0
	s_waitcnt lgkmcnt(0)
	v_cmp_eq_u32_e32 vcc_lo, 0, v4
	s_cbranch_vccnz .LBB143_73
; %bb.70:                               ;   in Loop: Header=BB143_21 Depth=1
	v_lshlrev_b64 v[19:20], 3, v[17:18]
	v_dual_mov_b32 v22, s13 :: v_dual_mov_b32 v21, s12
	s_delay_alu instid0(VALU_DEP_2) | instskip(NEXT) | instid1(VALU_DEP_3)
	v_add_co_u32 v19, vcc_lo, s18, v19
	v_add_co_ci_u32_e32 v20, vcc_lo, s19, v20, vcc_lo
	global_store_b64 v[19:20], v[21:22], off
	s_and_saveexec_b32 s4, s68
	s_cbranch_execz .LBB143_72
; %bb.71:                               ;   in Loop: Header=BB143_21 Depth=1
	v_mul_lo_u32 v4, v18, s36
	v_mul_lo_u32 v23, v17, s37
	v_mad_u64_u32 v[19:20], null, v17, s36, 0
	ds_load_b64 v[21:22], v35
	v_add3_u32 v20, v20, v23, v4
	s_delay_alu instid0(VALU_DEP_1) | instskip(NEXT) | instid1(VALU_DEP_1)
	v_lshlrev_b64 v[19:20], 3, v[19:20]
	v_add_co_u32 v19, vcc_lo, v38, v19
	s_delay_alu instid0(VALU_DEP_2)
	v_add_co_ci_u32_e32 v20, vcc_lo, v37, v20, vcc_lo
	s_waitcnt lgkmcnt(0)
	global_store_b64 v[19:20], v[21:22], off
.LBB143_72:                             ;   in Loop: Header=BB143_21 Depth=1
	s_or_b32 exec_lo, exec_lo, s4
	s_mov_b32 s5, 1
.LBB143_73:                             ;   in Loop: Header=BB143_21 Depth=1
	ds_load_u8 v4, v3 offset:16385
	s_waitcnt lgkmcnt(0)
	v_cmp_eq_u32_e32 vcc_lo, 0, v4
	v_add_co_u32 v4, s4, v17, -1
	s_delay_alu instid0(VALU_DEP_1)
	v_add_co_ci_u32_e64 v21, s4, -1, v18, s4
	s_cbranch_vccz .LBB143_79
; %bb.74:                               ;   in Loop: Header=BB143_21 Depth=1
	ds_load_u8 v19, v3 offset:16386
	s_waitcnt lgkmcnt(0)
	v_cmp_eq_u32_e32 vcc_lo, 0, v19
	s_cbranch_vccz .LBB143_82
.LBB143_75:                             ;   in Loop: Header=BB143_21 Depth=1
	ds_load_u8 v19, v3 offset:16387
	s_waitcnt lgkmcnt(0)
	v_cmp_eq_u32_e32 vcc_lo, 0, v19
	s_cbranch_vccz .LBB143_85
.LBB143_76:                             ;   in Loop: Header=BB143_21 Depth=1
	ds_load_u8 v19, v3 offset:16388
	s_waitcnt lgkmcnt(0)
	v_cmp_eq_u32_e32 vcc_lo, 0, v19
	s_cbranch_vccz .LBB143_88
.LBB143_77:                             ;   in Loop: Header=BB143_21 Depth=1
	ds_load_u8 v19, v3 offset:16389
	s_waitcnt lgkmcnt(0)
	v_cmp_eq_u32_e32 vcc_lo, 0, v19
	s_cbranch_vccz .LBB143_91
.LBB143_78:                             ;   in Loop: Header=BB143_21 Depth=1
	ds_load_u8 v19, v3 offset:16390
	s_waitcnt lgkmcnt(0)
	v_cmp_eq_u32_e32 vcc_lo, 0, v19
	s_cbranch_vccz .LBB143_94
	s_branch .LBB143_97
.LBB143_79:                             ;   in Loop: Header=BB143_21 Depth=1
	s_add_i32 s5, s5, 1
	s_add_u32 s14, s12, 1
	v_add_co_u32 v19, vcc_lo, v17, s5
	v_add_co_ci_u32_e32 v20, vcc_lo, 0, v18, vcc_lo
	s_addc_u32 s15, s13, 0
	s_delay_alu instid0(SALU_CYCLE_1) | instskip(NEXT) | instid1(VALU_DEP_2)
	v_dual_mov_b32 v23, s15 :: v_dual_mov_b32 v22, s14
	v_lshlrev_b64 v[19:20], 3, v[19:20]
	s_delay_alu instid0(VALU_DEP_1) | instskip(NEXT) | instid1(VALU_DEP_2)
	v_add_co_u32 v19, vcc_lo, s71, v19
	v_add_co_ci_u32_e32 v20, vcc_lo, s72, v20, vcc_lo
	global_store_b64 v[19:20], v[22:23], off
	s_and_saveexec_b32 s4, s68
	s_cbranch_execz .LBB143_81
; %bb.80:                               ;   in Loop: Header=BB143_21 Depth=1
	v_add_co_u32 v22, vcc_lo, v4, s5
	v_add_co_ci_u32_e32 v19, vcc_lo, 0, v21, vcc_lo
	s_delay_alu instid0(VALU_DEP_2) | instskip(NEXT) | instid1(VALU_DEP_2)
	v_mul_lo_u32 v25, v22, s37
	v_mul_lo_u32 v24, v19, s36
	v_mad_u64_u32 v[19:20], null, v22, s36, 0
	ds_load_b64 v[22:23], v36 offset:2048
	v_add3_u32 v20, v20, v25, v24
	s_delay_alu instid0(VALU_DEP_1) | instskip(NEXT) | instid1(VALU_DEP_1)
	v_lshlrev_b64 v[19:20], 3, v[19:20]
	v_add_co_u32 v19, vcc_lo, v38, v19
	s_delay_alu instid0(VALU_DEP_2)
	v_add_co_ci_u32_e32 v20, vcc_lo, v37, v20, vcc_lo
	s_waitcnt lgkmcnt(0)
	global_store_b64 v[19:20], v[22:23], off
.LBB143_81:                             ;   in Loop: Header=BB143_21 Depth=1
	s_or_b32 exec_lo, exec_lo, s4
	ds_load_u8 v19, v3 offset:16386
	s_waitcnt lgkmcnt(0)
	v_cmp_eq_u32_e32 vcc_lo, 0, v19
	s_cbranch_vccnz .LBB143_75
.LBB143_82:                             ;   in Loop: Header=BB143_21 Depth=1
	s_add_i32 s5, s5, 1
	s_add_u32 s14, s12, 2
	v_add_co_u32 v19, vcc_lo, v17, s5
	v_add_co_ci_u32_e32 v20, vcc_lo, 0, v18, vcc_lo
	s_addc_u32 s15, s13, 0
	s_delay_alu instid0(SALU_CYCLE_1) | instskip(NEXT) | instid1(VALU_DEP_2)
	v_dual_mov_b32 v23, s15 :: v_dual_mov_b32 v22, s14
	v_lshlrev_b64 v[19:20], 3, v[19:20]
	s_delay_alu instid0(VALU_DEP_1) | instskip(NEXT) | instid1(VALU_DEP_2)
	v_add_co_u32 v19, vcc_lo, s71, v19
	v_add_co_ci_u32_e32 v20, vcc_lo, s72, v20, vcc_lo
	global_store_b64 v[19:20], v[22:23], off
	s_and_saveexec_b32 s4, s68
	s_cbranch_execz .LBB143_84
; %bb.83:                               ;   in Loop: Header=BB143_21 Depth=1
	v_add_co_u32 v22, vcc_lo, v4, s5
	v_add_co_ci_u32_e32 v19, vcc_lo, 0, v21, vcc_lo
	s_delay_alu instid0(VALU_DEP_2) | instskip(NEXT) | instid1(VALU_DEP_2)
	v_mul_lo_u32 v25, v22, s37
	v_mul_lo_u32 v24, v19, s36
	v_mad_u64_u32 v[19:20], null, v22, s36, 0
	ds_load_b64 v[22:23], v36 offset:4096
	v_add3_u32 v20, v20, v25, v24
	s_delay_alu instid0(VALU_DEP_1) | instskip(NEXT) | instid1(VALU_DEP_1)
	v_lshlrev_b64 v[19:20], 3, v[19:20]
	v_add_co_u32 v19, vcc_lo, v38, v19
	s_delay_alu instid0(VALU_DEP_2)
	v_add_co_ci_u32_e32 v20, vcc_lo, v37, v20, vcc_lo
	s_waitcnt lgkmcnt(0)
	global_store_b64 v[19:20], v[22:23], off
.LBB143_84:                             ;   in Loop: Header=BB143_21 Depth=1
	s_or_b32 exec_lo, exec_lo, s4
	ds_load_u8 v19, v3 offset:16387
	s_waitcnt lgkmcnt(0)
	v_cmp_eq_u32_e32 vcc_lo, 0, v19
	s_cbranch_vccnz .LBB143_76
.LBB143_85:                             ;   in Loop: Header=BB143_21 Depth=1
	s_add_i32 s5, s5, 1
	s_add_u32 s14, s12, 3
	v_add_co_u32 v19, vcc_lo, v17, s5
	v_add_co_ci_u32_e32 v20, vcc_lo, 0, v18, vcc_lo
	s_addc_u32 s15, s13, 0
	s_delay_alu instid0(SALU_CYCLE_1) | instskip(NEXT) | instid1(VALU_DEP_2)
	v_dual_mov_b32 v23, s15 :: v_dual_mov_b32 v22, s14
	v_lshlrev_b64 v[19:20], 3, v[19:20]
	s_delay_alu instid0(VALU_DEP_1) | instskip(NEXT) | instid1(VALU_DEP_2)
	v_add_co_u32 v19, vcc_lo, s71, v19
	v_add_co_ci_u32_e32 v20, vcc_lo, s72, v20, vcc_lo
	global_store_b64 v[19:20], v[22:23], off
	s_and_saveexec_b32 s4, s68
	s_cbranch_execz .LBB143_87
; %bb.86:                               ;   in Loop: Header=BB143_21 Depth=1
	v_add_co_u32 v22, vcc_lo, v4, s5
	v_add_co_ci_u32_e32 v19, vcc_lo, 0, v21, vcc_lo
	s_delay_alu instid0(VALU_DEP_2) | instskip(NEXT) | instid1(VALU_DEP_2)
	v_mul_lo_u32 v25, v22, s37
	v_mul_lo_u32 v24, v19, s36
	v_mad_u64_u32 v[19:20], null, v22, s36, 0
	ds_load_b64 v[22:23], v36 offset:6144
	v_add3_u32 v20, v20, v25, v24
	s_delay_alu instid0(VALU_DEP_1) | instskip(NEXT) | instid1(VALU_DEP_1)
	v_lshlrev_b64 v[19:20], 3, v[19:20]
	v_add_co_u32 v19, vcc_lo, v38, v19
	s_delay_alu instid0(VALU_DEP_2)
	v_add_co_ci_u32_e32 v20, vcc_lo, v37, v20, vcc_lo
	s_waitcnt lgkmcnt(0)
	global_store_b64 v[19:20], v[22:23], off
.LBB143_87:                             ;   in Loop: Header=BB143_21 Depth=1
	s_or_b32 exec_lo, exec_lo, s4
	ds_load_u8 v19, v3 offset:16388
	s_waitcnt lgkmcnt(0)
	v_cmp_eq_u32_e32 vcc_lo, 0, v19
	s_cbranch_vccnz .LBB143_77
.LBB143_88:                             ;   in Loop: Header=BB143_21 Depth=1
	s_add_i32 s5, s5, 1
	s_add_u32 s14, s12, 4
	v_add_co_u32 v19, vcc_lo, v17, s5
	v_add_co_ci_u32_e32 v20, vcc_lo, 0, v18, vcc_lo
	s_addc_u32 s15, s13, 0
	s_delay_alu instid0(SALU_CYCLE_1) | instskip(NEXT) | instid1(VALU_DEP_2)
	v_dual_mov_b32 v23, s15 :: v_dual_mov_b32 v22, s14
	v_lshlrev_b64 v[19:20], 3, v[19:20]
	s_delay_alu instid0(VALU_DEP_1) | instskip(NEXT) | instid1(VALU_DEP_2)
	v_add_co_u32 v19, vcc_lo, s71, v19
	v_add_co_ci_u32_e32 v20, vcc_lo, s72, v20, vcc_lo
	global_store_b64 v[19:20], v[22:23], off
	s_and_saveexec_b32 s4, s68
	s_cbranch_execz .LBB143_90
; %bb.89:                               ;   in Loop: Header=BB143_21 Depth=1
	v_add_co_u32 v22, vcc_lo, v4, s5
	v_add_co_ci_u32_e32 v19, vcc_lo, 0, v21, vcc_lo
	s_delay_alu instid0(VALU_DEP_2) | instskip(NEXT) | instid1(VALU_DEP_2)
	v_mul_lo_u32 v25, v22, s37
	v_mul_lo_u32 v24, v19, s36
	v_mad_u64_u32 v[19:20], null, v22, s36, 0
	ds_load_b64 v[22:23], v35 offset:8192
	v_add3_u32 v20, v20, v25, v24
	s_delay_alu instid0(VALU_DEP_1) | instskip(NEXT) | instid1(VALU_DEP_1)
	v_lshlrev_b64 v[19:20], 3, v[19:20]
	v_add_co_u32 v19, vcc_lo, v38, v19
	s_delay_alu instid0(VALU_DEP_2)
	v_add_co_ci_u32_e32 v20, vcc_lo, v37, v20, vcc_lo
	s_waitcnt lgkmcnt(0)
	global_store_b64 v[19:20], v[22:23], off
.LBB143_90:                             ;   in Loop: Header=BB143_21 Depth=1
	s_or_b32 exec_lo, exec_lo, s4
	ds_load_u8 v19, v3 offset:16389
	s_waitcnt lgkmcnt(0)
	v_cmp_eq_u32_e32 vcc_lo, 0, v19
	s_cbranch_vccnz .LBB143_78
.LBB143_91:                             ;   in Loop: Header=BB143_21 Depth=1
	s_add_i32 s5, s5, 1
	s_add_u32 s14, s12, 5
	v_add_co_u32 v19, vcc_lo, v17, s5
	v_add_co_ci_u32_e32 v20, vcc_lo, 0, v18, vcc_lo
	s_addc_u32 s15, s13, 0
	s_delay_alu instid0(SALU_CYCLE_1) | instskip(NEXT) | instid1(VALU_DEP_2)
	v_dual_mov_b32 v23, s15 :: v_dual_mov_b32 v22, s14
	v_lshlrev_b64 v[19:20], 3, v[19:20]
	s_delay_alu instid0(VALU_DEP_1) | instskip(NEXT) | instid1(VALU_DEP_2)
	v_add_co_u32 v19, vcc_lo, s71, v19
	v_add_co_ci_u32_e32 v20, vcc_lo, s72, v20, vcc_lo
	global_store_b64 v[19:20], v[22:23], off
	s_and_saveexec_b32 s4, s68
	s_cbranch_execz .LBB143_93
; %bb.92:                               ;   in Loop: Header=BB143_21 Depth=1
	v_add_co_u32 v22, vcc_lo, v4, s5
	v_add_co_ci_u32_e32 v19, vcc_lo, 0, v21, vcc_lo
	s_delay_alu instid0(VALU_DEP_2) | instskip(NEXT) | instid1(VALU_DEP_2)
	v_mul_lo_u32 v25, v22, s37
	v_mul_lo_u32 v24, v19, s36
	v_mad_u64_u32 v[19:20], null, v22, s36, 0
	ds_load_b64 v[22:23], v36 offset:10240
	v_add3_u32 v20, v20, v25, v24
	s_delay_alu instid0(VALU_DEP_1) | instskip(NEXT) | instid1(VALU_DEP_1)
	v_lshlrev_b64 v[19:20], 3, v[19:20]
	v_add_co_u32 v19, vcc_lo, v38, v19
	s_delay_alu instid0(VALU_DEP_2)
	v_add_co_ci_u32_e32 v20, vcc_lo, v37, v20, vcc_lo
	s_waitcnt lgkmcnt(0)
	global_store_b64 v[19:20], v[22:23], off
.LBB143_93:                             ;   in Loop: Header=BB143_21 Depth=1
	s_or_b32 exec_lo, exec_lo, s4
	ds_load_u8 v19, v3 offset:16390
	s_waitcnt lgkmcnt(0)
	v_cmp_eq_u32_e32 vcc_lo, 0, v19
	s_cbranch_vccnz .LBB143_97
.LBB143_94:                             ;   in Loop: Header=BB143_21 Depth=1
	s_add_i32 s5, s5, 1
	s_add_u32 s14, s12, 6
	v_add_co_u32 v19, vcc_lo, v17, s5
	v_add_co_ci_u32_e32 v20, vcc_lo, 0, v18, vcc_lo
	s_addc_u32 s15, s13, 0
	s_delay_alu instid0(SALU_CYCLE_1) | instskip(NEXT) | instid1(VALU_DEP_2)
	v_dual_mov_b32 v23, s15 :: v_dual_mov_b32 v22, s14
	v_lshlrev_b64 v[19:20], 3, v[19:20]
	s_delay_alu instid0(VALU_DEP_1) | instskip(NEXT) | instid1(VALU_DEP_2)
	v_add_co_u32 v19, vcc_lo, s71, v19
	v_add_co_ci_u32_e32 v20, vcc_lo, s72, v20, vcc_lo
	global_store_b64 v[19:20], v[22:23], off
	s_and_saveexec_b32 s4, s68
	s_cbranch_execz .LBB143_96
; %bb.95:                               ;   in Loop: Header=BB143_21 Depth=1
	v_add_co_u32 v22, vcc_lo, v4, s5
	v_add_co_ci_u32_e32 v19, vcc_lo, 0, v21, vcc_lo
	s_delay_alu instid0(VALU_DEP_2) | instskip(NEXT) | instid1(VALU_DEP_2)
	v_mul_lo_u32 v25, v22, s37
	v_mul_lo_u32 v24, v19, s36
	v_mad_u64_u32 v[19:20], null, v22, s36, 0
	ds_load_b64 v[22:23], v36 offset:12288
	v_add3_u32 v20, v20, v25, v24
	s_delay_alu instid0(VALU_DEP_1) | instskip(NEXT) | instid1(VALU_DEP_1)
	v_lshlrev_b64 v[19:20], 3, v[19:20]
	v_add_co_u32 v19, vcc_lo, v38, v19
	s_delay_alu instid0(VALU_DEP_2)
	v_add_co_ci_u32_e32 v20, vcc_lo, v37, v20, vcc_lo
	s_waitcnt lgkmcnt(0)
	global_store_b64 v[19:20], v[22:23], off
.LBB143_96:                             ;   in Loop: Header=BB143_21 Depth=1
	s_or_b32 exec_lo, exec_lo, s4
.LBB143_97:                             ;   in Loop: Header=BB143_21 Depth=1
	ds_load_u8 v19, v3 offset:16391
	s_waitcnt lgkmcnt(0)
	v_and_b32_e32 v19, 1, v19
	s_delay_alu instid0(VALU_DEP_1)
	v_cmp_eq_u32_e32 vcc_lo, 1, v19
	s_cbranch_vccnz .LBB143_99
; %bb.98:                               ;   in Loop: Header=BB143_21 Depth=1
	v_add_co_u32 v19, vcc_lo, s5, v17
	v_add_co_ci_u32_e32 v20, vcc_lo, 0, v18, vcc_lo
	s_cbranch_execnz .LBB143_20
	s_branch .LBB143_100
.LBB143_99:                             ;   in Loop: Header=BB143_21 Depth=1
                                        ; implicit-def: $vgpr19_vgpr20
.LBB143_100:                            ;   in Loop: Header=BB143_21 Depth=1
	s_add_i32 s5, s5, 1
	s_add_u32 s12, s12, 7
	v_add_co_u32 v19, vcc_lo, v17, s5
	v_add_co_ci_u32_e32 v20, vcc_lo, 0, v18, vcc_lo
	s_addc_u32 s13, s13, 0
	s_delay_alu instid0(SALU_CYCLE_1) | instskip(NEXT) | instid1(VALU_DEP_2)
	v_dual_mov_b32 v23, s13 :: v_dual_mov_b32 v22, s12
	v_lshlrev_b64 v[17:18], 3, v[19:20]
	s_delay_alu instid0(VALU_DEP_1) | instskip(NEXT) | instid1(VALU_DEP_2)
	v_add_co_u32 v17, vcc_lo, s71, v17
	v_add_co_ci_u32_e32 v18, vcc_lo, s72, v18, vcc_lo
	global_store_b64 v[17:18], v[22:23], off
	s_and_saveexec_b32 s4, s68
	s_cbranch_execz .LBB143_19
; %bb.101:                              ;   in Loop: Header=BB143_21 Depth=1
	v_add_co_u32 v4, vcc_lo, v4, s5
	v_add_co_ci_u32_e32 v17, vcc_lo, 0, v21, vcc_lo
	s_and_not1_b32 vcc_lo, exec_lo, s66
	s_delay_alu instid0(VALU_DEP_2) | instskip(SKIP_1) | instid1(VALU_DEP_3)
	v_mul_lo_u32 v24, v4, s37
	v_mad_u64_u32 v[21:22], null, v4, s36, 0
	v_mul_lo_u32 v23, v17, s36
	ds_load_b64 v[17:18], v36 offset:14336
	v_add3_u32 v22, v22, v24, v23
	s_delay_alu instid0(VALU_DEP_1)
	v_lshlrev_b64 v[21:22], 3, v[21:22]
	s_cbranch_vccnz .LBB143_103
; %bb.102:                              ;   in Loop: Header=BB143_21 Depth=1
	s_delay_alu instid0(VALU_DEP_1) | instskip(NEXT) | instid1(VALU_DEP_2)
	v_add_co_u32 v23, vcc_lo, v31, v21
	v_add_co_ci_u32_e32 v24, vcc_lo, v32, v22, vcc_lo
	s_waitcnt lgkmcnt(0)
	global_store_b64 v[23:24], v[17:18], off
	s_cbranch_execnz .LBB143_19
	s_branch .LBB143_104
.LBB143_103:                            ;   in Loop: Header=BB143_21 Depth=1
.LBB143_104:                            ;   in Loop: Header=BB143_21 Depth=1
	s_delay_alu instid0(VALU_DEP_1) | instskip(NEXT) | instid1(VALU_DEP_2)
	v_add_co_u32 v21, vcc_lo, v33, v21
	v_add_co_ci_u32_e32 v22, vcc_lo, v34, v22, vcc_lo
	s_waitcnt lgkmcnt(0)
	global_store_b64 v[21:22], v[17:18], off
	s_branch .LBB143_19
.LBB143_105:
	s_endpgm
	.section	.rodata,"a",@progbits
	.p2align	6, 0x0
	.amdhsa_kernel _ZN9rocsparseL31bsrgemm_block_per_row_multipassILj256ELj8ELj16Ell21rocsparse_complex_numIfEEEv20rocsparse_direction_T3_S4_PKS4_S6_NS_24const_host_device_scalarIT4_EEPKT2_S6_PKS8_SC_S6_SE_S9_SC_S6_SE_SC_PS4_PS8_PSA_21rocsparse_index_base_SI_SI_SI_bbb
		.amdhsa_group_segment_fixed_size 16392
		.amdhsa_private_segment_fixed_size 0
		.amdhsa_kernarg_size 180
		.amdhsa_user_sgpr_count 15
		.amdhsa_user_sgpr_dispatch_ptr 0
		.amdhsa_user_sgpr_queue_ptr 0
		.amdhsa_user_sgpr_kernarg_segment_ptr 1
		.amdhsa_user_sgpr_dispatch_id 0
		.amdhsa_user_sgpr_private_segment_size 0
		.amdhsa_wavefront_size32 1
		.amdhsa_uses_dynamic_stack 0
		.amdhsa_enable_private_segment 0
		.amdhsa_system_sgpr_workgroup_id_x 1
		.amdhsa_system_sgpr_workgroup_id_y 0
		.amdhsa_system_sgpr_workgroup_id_z 0
		.amdhsa_system_sgpr_workgroup_info 0
		.amdhsa_system_vgpr_workitem_id 0
		.amdhsa_next_free_vgpr 45
		.amdhsa_next_free_sgpr 79
		.amdhsa_reserve_vcc 1
		.amdhsa_float_round_mode_32 0
		.amdhsa_float_round_mode_16_64 0
		.amdhsa_float_denorm_mode_32 3
		.amdhsa_float_denorm_mode_16_64 3
		.amdhsa_dx10_clamp 1
		.amdhsa_ieee_mode 1
		.amdhsa_fp16_overflow 0
		.amdhsa_workgroup_processor_mode 1
		.amdhsa_memory_ordered 1
		.amdhsa_forward_progress 0
		.amdhsa_shared_vgpr_count 0
		.amdhsa_exception_fp_ieee_invalid_op 0
		.amdhsa_exception_fp_denorm_src 0
		.amdhsa_exception_fp_ieee_div_zero 0
		.amdhsa_exception_fp_ieee_overflow 0
		.amdhsa_exception_fp_ieee_underflow 0
		.amdhsa_exception_fp_ieee_inexact 0
		.amdhsa_exception_int_div_zero 0
	.end_amdhsa_kernel
	.section	.text._ZN9rocsparseL31bsrgemm_block_per_row_multipassILj256ELj8ELj16Ell21rocsparse_complex_numIfEEEv20rocsparse_direction_T3_S4_PKS4_S6_NS_24const_host_device_scalarIT4_EEPKT2_S6_PKS8_SC_S6_SE_S9_SC_S6_SE_SC_PS4_PS8_PSA_21rocsparse_index_base_SI_SI_SI_bbb,"axG",@progbits,_ZN9rocsparseL31bsrgemm_block_per_row_multipassILj256ELj8ELj16Ell21rocsparse_complex_numIfEEEv20rocsparse_direction_T3_S4_PKS4_S6_NS_24const_host_device_scalarIT4_EEPKT2_S6_PKS8_SC_S6_SE_S9_SC_S6_SE_SC_PS4_PS8_PSA_21rocsparse_index_base_SI_SI_SI_bbb,comdat
.Lfunc_end143:
	.size	_ZN9rocsparseL31bsrgemm_block_per_row_multipassILj256ELj8ELj16Ell21rocsparse_complex_numIfEEEv20rocsparse_direction_T3_S4_PKS4_S6_NS_24const_host_device_scalarIT4_EEPKT2_S6_PKS8_SC_S6_SE_S9_SC_S6_SE_SC_PS4_PS8_PSA_21rocsparse_index_base_SI_SI_SI_bbb, .Lfunc_end143-_ZN9rocsparseL31bsrgemm_block_per_row_multipassILj256ELj8ELj16Ell21rocsparse_complex_numIfEEEv20rocsparse_direction_T3_S4_PKS4_S6_NS_24const_host_device_scalarIT4_EEPKT2_S6_PKS8_SC_S6_SE_S9_SC_S6_SE_SC_PS4_PS8_PSA_21rocsparse_index_base_SI_SI_SI_bbb
                                        ; -- End function
	.section	.AMDGPU.csdata,"",@progbits
; Kernel info:
; codeLenInByte = 4664
; NumSgprs: 81
; NumVgprs: 45
; ScratchSize: 0
; MemoryBound: 1
; FloatMode: 240
; IeeeMode: 1
; LDSByteSize: 16392 bytes/workgroup (compile time only)
; SGPRBlocks: 10
; VGPRBlocks: 5
; NumSGPRsForWavesPerEU: 81
; NumVGPRsForWavesPerEU: 45
; Occupancy: 14
; WaveLimiterHint : 1
; COMPUTE_PGM_RSRC2:SCRATCH_EN: 0
; COMPUTE_PGM_RSRC2:USER_SGPR: 15
; COMPUTE_PGM_RSRC2:TRAP_HANDLER: 0
; COMPUTE_PGM_RSRC2:TGID_X_EN: 1
; COMPUTE_PGM_RSRC2:TGID_Y_EN: 0
; COMPUTE_PGM_RSRC2:TGID_Z_EN: 0
; COMPUTE_PGM_RSRC2:TIDIG_COMP_CNT: 0
	.section	.text._ZN9rocsparseL31bsrgemm_block_per_row_multipassILj256ELj2ELj32Ell21rocsparse_complex_numIfEEEv20rocsparse_direction_T3_S4_PKS4_S6_NS_24const_host_device_scalarIT4_EEPKT2_S6_PKS8_SC_S6_SE_S9_SC_S6_SE_SC_PS4_PS8_PSA_21rocsparse_index_base_SI_SI_SI_bbb,"axG",@progbits,_ZN9rocsparseL31bsrgemm_block_per_row_multipassILj256ELj2ELj32Ell21rocsparse_complex_numIfEEEv20rocsparse_direction_T3_S4_PKS4_S6_NS_24const_host_device_scalarIT4_EEPKT2_S6_PKS8_SC_S6_SE_S9_SC_S6_SE_SC_PS4_PS8_PSA_21rocsparse_index_base_SI_SI_SI_bbb,comdat
	.globl	_ZN9rocsparseL31bsrgemm_block_per_row_multipassILj256ELj2ELj32Ell21rocsparse_complex_numIfEEEv20rocsparse_direction_T3_S4_PKS4_S6_NS_24const_host_device_scalarIT4_EEPKT2_S6_PKS8_SC_S6_SE_S9_SC_S6_SE_SC_PS4_PS8_PSA_21rocsparse_index_base_SI_SI_SI_bbb ; -- Begin function _ZN9rocsparseL31bsrgemm_block_per_row_multipassILj256ELj2ELj32Ell21rocsparse_complex_numIfEEEv20rocsparse_direction_T3_S4_PKS4_S6_NS_24const_host_device_scalarIT4_EEPKT2_S6_PKS8_SC_S6_SE_S9_SC_S6_SE_SC_PS4_PS8_PSA_21rocsparse_index_base_SI_SI_SI_bbb
	.p2align	8
	.type	_ZN9rocsparseL31bsrgemm_block_per_row_multipassILj256ELj2ELj32Ell21rocsparse_complex_numIfEEEv20rocsparse_direction_T3_S4_PKS4_S6_NS_24const_host_device_scalarIT4_EEPKT2_S6_PKS8_SC_S6_SE_S9_SC_S6_SE_SC_PS4_PS8_PSA_21rocsparse_index_base_SI_SI_SI_bbb,@function
_ZN9rocsparseL31bsrgemm_block_per_row_multipassILj256ELj2ELj32Ell21rocsparse_complex_numIfEEEv20rocsparse_direction_T3_S4_PKS4_S6_NS_24const_host_device_scalarIT4_EEPKT2_S6_PKS8_SC_S6_SE_S9_SC_S6_SE_SC_PS4_PS8_PSA_21rocsparse_index_base_SI_SI_SI_bbb: ; @_ZN9rocsparseL31bsrgemm_block_per_row_multipassILj256ELj2ELj32Ell21rocsparse_complex_numIfEEEv20rocsparse_direction_T3_S4_PKS4_S6_NS_24const_host_device_scalarIT4_EEPKT2_S6_PKS8_SC_S6_SE_S9_SC_S6_SE_SC_PS4_PS8_PSA_21rocsparse_index_base_SI_SI_SI_bbb
; %bb.0:
	s_mov_b32 s2, s15
	s_clause 0x5
	s_load_b32 s3, s[0:1], 0xb0
	s_load_b256 s[4:11], s[0:1], 0x90
	s_load_b256 s[12:19], s[0:1], 0x70
	;; [unrolled: 1-line block ×3, first 2 shown]
	s_load_b128 s[28:31], s[0:1], 0x18
	s_load_b256 s[36:43], s[0:1], 0x30
	s_mov_b32 s35, 0
	s_waitcnt lgkmcnt(0)
	s_bitcmp1_b32 s3, 0
	s_cselect_b32 s50, -1, 0
	s_bitcmp1_b32 s3, 16
	s_cselect_b32 s33, -1, 0
	s_delay_alu instid0(SALU_CYCLE_1) | instskip(SKIP_3) | instid1(VALU_DEP_1)
	s_xor_b32 s44, s33, -1
	s_bitcmp0_b32 s3, 0
	v_cndmask_b32_e64 v1, 0, 1, s44
	s_mov_b32 s33, 0
	v_cmp_ne_u32_e32 vcc_lo, 1, v1
	s_cbranch_scc1 .LBB144_5
; %bb.1:
	s_load_b64 s[34:35], s[0:1], 0x28
	s_and_b32 vcc_lo, exec_lo, vcc_lo
	s_waitcnt lgkmcnt(0)
	s_mov_b32 s33, s34
	s_cbranch_vccnz .LBB144_3
; %bb.2:
	s_load_b32 s33, s[34:35], 0x0
.LBB144_3:
	s_and_not1_b32 vcc_lo, exec_lo, s44
	s_cbranch_vccnz .LBB144_5
; %bb.4:
	s_load_b32 s35, s[34:35], 0x4
.LBB144_5:
	s_bitcmp1_b32 s3, 8
	s_mov_b32 s73, 0
	s_cselect_b32 s34, -1, 0
	s_bfe_u32 s3, s3, 0x10008
	s_mov_b32 s72, 0
	s_cmp_eq_u32 s3, 0
	s_cbranch_scc1 .LBB144_11
; %bb.6:
	v_cmp_ne_u32_e32 vcc_lo, 1, v1
	s_mov_b32 s72, s24
	s_cbranch_vccnz .LBB144_8
; %bb.7:
	s_load_b32 s72, s[24:25], 0x0
.LBB144_8:
	v_cmp_ne_u32_e32 vcc_lo, 1, v1
	s_cbranch_vccnz .LBB144_10
; %bb.9:
	s_load_b32 s25, s[24:25], 0x4
.LBB144_10:
	s_waitcnt lgkmcnt(0)
	s_mov_b32 s73, s25
.LBB144_11:
	s_mov_b64 s[44:45], 0
	s_cmp_eq_u64 s[30:31], 0
	s_mov_b32 s3, 0
	s_cbranch_scc1 .LBB144_13
; %bb.12:
	s_load_b64 s[24:25], s[28:29], 0x0
	s_waitcnt lgkmcnt(0)
	s_lshl_b64 s[24:25], s[24:25], 3
	s_delay_alu instid0(SALU_CYCLE_1) | instskip(SKIP_2) | instid1(SALU_CYCLE_1)
	s_add_u32 s24, s30, s24
	s_addc_u32 s25, s31, s25
	s_lshl_b64 s[2:3], s[2:3], 3
	s_add_u32 s2, s24, s2
	s_addc_u32 s3, s25, s3
	s_load_b64 s[2:3], s[2:3], 0x0
.LBB144_13:
	s_and_not1_b32 vcc_lo, exec_lo, s50
	s_cbranch_vccz .LBB144_16
; %bb.14:
	s_and_not1_b32 vcc_lo, exec_lo, s50
	s_mov_b64 s[46:47], 0
	s_cbranch_vccz .LBB144_17
.LBB144_15:
	s_load_b128 s[28:31], s[0:1], 0x8
	s_waitcnt lgkmcnt(0)
	v_cmp_lt_i64_e64 s24, s[28:29], 1
	s_delay_alu instid0(VALU_DEP_1)
	s_and_b32 vcc_lo, exec_lo, s24
	s_cbranch_vccz .LBB144_18
	s_branch .LBB144_121
.LBB144_16:
	s_waitcnt lgkmcnt(0)
	s_lshl_b64 s[24:25], s[2:3], 3
	s_delay_alu instid0(SALU_CYCLE_1)
	s_add_u32 s24, s36, s24
	s_addc_u32 s25, s37, s25
	s_load_b64 s[24:25], s[24:25], 0x0
	s_waitcnt lgkmcnt(0)
	s_sub_u32 s44, s24, s8
	s_subb_u32 s45, s25, 0
	s_and_not1_b32 vcc_lo, exec_lo, s50
	s_mov_b64 s[46:47], 0
	s_cbranch_vccnz .LBB144_15
.LBB144_17:
	s_waitcnt lgkmcnt(0)
	s_lshl_b64 s[24:25], s[2:3], 3
	s_delay_alu instid0(SALU_CYCLE_1)
	s_add_u32 s24, s36, s24
	s_addc_u32 s25, s37, s25
	s_load_b64 s[24:25], s[24:25], 0x8
	s_waitcnt lgkmcnt(0)
	s_sub_u32 s46, s24, s8
	s_subb_u32 s47, s25, 0
	s_load_b128 s[28:31], s[0:1], 0x8
	s_waitcnt lgkmcnt(0)
	v_cmp_lt_i64_e64 s24, s[28:29], 1
	s_delay_alu instid0(VALU_DEP_1)
	s_and_b32 vcc_lo, exec_lo, s24
	s_cbranch_vccnz .LBB144_121
.LBB144_18:
	s_lshl_b64 s[2:3], s[2:3], 3
	v_lshrrev_b32_e32 v4, 3, v0
	s_add_u32 s16, s16, s2
	s_addc_u32 s17, s17, s3
	v_mov_b32_e32 v3, 0
	s_load_b64 s[24:25], s[16:17], 0x0
	s_load_b32 s37, s[0:1], 0x0
	v_mad_u64_u32 v[6:7], null, v4, s30, 0
	v_and_b32_e32 v1, 7, v0
	v_mov_b32_e32 v5, v3
	v_lshlrev_b32_e32 v45, 5, v4
	s_mul_i32 s48, s30, s31
	s_mul_hi_u32 s49, s30, s30
	v_cmp_lt_i64_e64 s51, s[44:45], s[46:47]
	v_mov_b32_e32 v2, v7
	v_cmp_gt_u64_e32 vcc_lo, s[30:31], v[4:5]
	v_or_b32_e32 v13, 8, v1
	v_or_b32_e32 v15, 16, v1
	s_mul_i32 s36, s30, s30
	v_mad_u64_u32 v[7:8], null, v4, s31, v[2:3]
	v_lshlrev_b64 v[4:5], 3, v[4:5]
	s_delay_alu instid0(VALU_DEP_3) | instskip(SKIP_4) | instid1(VALU_DEP_3)
	v_mad_u64_u32 v[9:10], null, v15, s30, 0
	s_waitcnt lgkmcnt(0)
	s_sub_u32 s56, s24, s10
	s_subb_u32 s57, s25, 0
	s_cmp_eq_u32 s37, 0
	v_lshlrev_b64 v[7:8], 3, v[6:7]
	s_cselect_b32 s1, -1, 0
	s_cmp_lg_u32 s37, 0
	s_mov_b32 s17, 0
	s_cselect_b32 s74, -1, 0
	s_add_i32 s24, s49, s48
	s_mov_b32 s16, s11
	s_add_i32 s37, s24, s48
	s_add_u32 s48, s26, s2
	v_add_co_u32 v46, s2, s4, v4
	s_delay_alu instid0(VALU_DEP_1)
	v_add_co_ci_u32_e64 v47, s2, s5, v5, s2
	v_mad_u64_u32 v[5:6], null, v1, s30, 0
	s_addc_u32 s49, s27, s3
	s_mul_i32 s24, s45, s36
	v_cmp_gt_u32_e64 s0, 2, v0
	v_lshlrev_b32_e32 v53, 3, v0
	s_delay_alu instid0(VALU_DEP_3) | instskip(SKIP_2) | instid1(VALU_DEP_3)
	v_dual_mov_b32 v65, 1 :: v_dual_mov_b32 v4, v6
	v_mov_b32_e32 v2, v3
	v_mov_b32_e32 v19, v3
	v_mad_u64_u32 v[17:18], null, v1, s31, v[4:5]
	s_delay_alu instid0(VALU_DEP_3) | instskip(SKIP_1) | instid1(VALU_DEP_1)
	v_cmp_gt_i64_e64 s2, s[30:31], v[1:2]
	v_add_co_u32 v2, s3, s4, v7
	v_add_co_ci_u32_e64 v48, s3, s5, v8, s3
	v_mad_u64_u32 v[7:8], null, v13, s30, 0
	s_delay_alu instid0(VALU_DEP_4) | instskip(SKIP_2) | instid1(VALU_DEP_2)
	s_and_b32 s75, s2, vcc_lo
	v_or_b32_e32 v18, 24, v1
	s_and_b32 s5, s50, s51
	v_mov_b32_e32 v4, v8
	s_delay_alu instid0(VALU_DEP_2) | instskip(SKIP_1) | instid1(VALU_DEP_3)
	v_cmp_gt_i64_e64 s4, s[30:31], v[18:19]
	v_mad_u64_u32 v[11:12], null, v18, s30, 0
	v_mad_u64_u32 v[20:21], null, v13, s31, v[4:5]
	v_mov_b32_e32 v4, v10
	s_delay_alu instid0(VALU_DEP_4) | instskip(SKIP_1) | instid1(VALU_DEP_3)
	s_and_b32 s78, s4, vcc_lo
	s_mul_hi_u32 s4, s44, s36
	v_mov_b32_e32 v6, v12
	s_delay_alu instid0(VALU_DEP_2) | instskip(SKIP_2) | instid1(VALU_DEP_4)
	v_mad_u64_u32 v[21:22], null, v15, s31, v[4:5]
	v_or_b32_e32 v4, v45, v1
	v_mov_b32_e32 v14, v3
	v_mad_u64_u32 v[22:23], null, v18, s31, v[6:7]
	s_delay_alu instid0(VALU_DEP_3) | instskip(NEXT) | instid1(VALU_DEP_3)
	v_dual_mov_b32 v6, v17 :: v_dual_lshlrev_b32 v49, 3, v4
	v_cmp_gt_i64_e64 s2, s[30:31], v[13:14]
	v_or_b32_e32 v14, v45, v15
	v_mov_b32_e32 v16, v3
	v_or_b32_e32 v13, v45, v13
	v_or_b32_e32 v4, 0x400, v0
	v_dual_mov_b32 v8, v20 :: v_dual_lshlrev_b32 v17, 3, v1
	v_lshlrev_b32_e32 v51, 3, v14
	v_cmp_gt_i64_e64 s3, s[30:31], v[15:16]
	s_and_b32 s76, s2, vcc_lo
	v_lshlrev_b32_e32 v50, 3, v13
	v_and_b32_e32 v13, 0xf8, v0
	v_or_b32_e32 v15, v45, v18
	v_cmp_gt_u32_e64 s2, 0x700, v4
	s_and_b32 s77, s3, vcc_lo
	s_add_u32 s79, s42, 8
	s_addc_u32 s80, s43, 0
	s_mul_i32 s3, s44, s37
	s_add_u32 s81, s18, -8
	s_addc_u32 s82, s19, -1
	s_add_i32 s4, s4, s3
	v_mov_b32_e32 v10, v21
	s_add_i32 s25, s4, s24
	s_mul_i32 s24, s44, s36
	v_lshlrev_b32_e32 v52, 3, v15
	s_lshl_b64 s[24:25], s[24:25], 3
	v_mov_b32_e32 v12, v22
	s_add_u32 s26, s40, s24
	s_addc_u32 s27, s41, s25
	s_lshl_b64 s[50:51], s[36:37], 3
	s_lshl_b64 s[52:53], s[30:31], 3
	s_mul_i32 s24, s44, s31
	s_mul_hi_u32 s25, s44, s30
	s_add_u32 s54, s22, 4
	s_addc_u32 s55, s23, 0
	s_add_i32 s24, s25, s24
	s_mul_i32 s25, s45, s30
	v_add_co_u32 v4, s26, s26, v13
	s_add_i32 s25, s24, s25
	s_mul_i32 s24, s44, s30
	v_add_co_ci_u32_e64 v16, null, s27, 0, s26
	s_lshl_b64 s[24:25], s[24:25], 3
	v_add_co_u32 v15, vcc_lo, v4, 4
	v_add_co_u32 v18, s24, s24, v13
	s_delay_alu instid0(VALU_DEP_1) | instskip(SKIP_1) | instid1(VALU_DEP_3)
	v_add_co_ci_u32_e64 v19, null, s25, 0, s24
	v_add_co_u32 v22, s24, v17, s22
	v_mul_lo_u32 v21, s31, v18
	s_delay_alu instid0(VALU_DEP_3)
	v_mul_lo_u32 v4, s30, v19
	v_mad_u64_u32 v[19:20], null, s30, v18, s[40:41]
	v_add_co_ci_u32_e64 v23, null, 0, s23, s24
	v_add_co_ci_u32_e32 v16, vcc_lo, 0, v16, vcc_lo
	v_or_b32_e32 v56, 64, v17
	v_or_b32_e32 v57, 0x80, v17
	v_add_co_u32 v54, vcc_lo, v22, 4
	v_add3_u32 v4, v21, v20, v4
	v_add_co_ci_u32_e32 v55, vcc_lo, 0, v23, vcc_lo
	v_add_co_u32 v19, vcc_lo, v19, 4
	v_add_co_u32 v58, s24, s22, v56
	v_add_co_u32 v60, s22, s22, v57
	v_add_co_ci_u32_e32 v20, vcc_lo, 0, v4, vcc_lo
	v_add_co_ci_u32_e64 v59, null, s23, 0, s24
	v_add_co_ci_u32_e64 v61, null, s23, 0, s22
	s_lshl_b64 s[22:23], s[16:17], 3
	v_add_co_u32 v63, vcc_lo, 0xc4, v22
	v_cmp_gt_u32_e64 s3, 0x200, v0
	v_cmp_gt_u32_e64 s4, 0x100, v0
	v_mov_b32_e32 v14, v3
	v_mov_b32_e32 v18, v3
	v_or_b32_e32 v62, 0xc0, v17
	v_add_co_ci_u32_e32 v64, vcc_lo, 0, v23, vcc_lo
	s_sub_u32 s83, s12, s22
	s_subb_u32 s84, s13, s23
	s_sub_u32 s11, 1, s11
	s_subb_u32 s85, 0, 0
	s_mov_b64 s[40:41], 2
	s_mov_b64 s[22:23], 0
	s_mov_b32 s12, s17
	s_mov_b32 s13, s17
	s_branch .LBB144_21
.LBB144_19:                             ;   in Loop: Header=BB144_21 Depth=1
	s_or_b32 exec_lo, exec_lo, s17
.LBB144_20:                             ;   in Loop: Header=BB144_21 Depth=1
	v_cmp_lt_i64_e64 s17, s[64:65], s[28:29]
	s_mov_b64 s[56:57], s[24:25]
	s_waitcnt_vscnt null, 0x0
	s_barrier
	buffer_gl0_inv
	s_and_b32 vcc_lo, s17, exec_lo
	s_cselect_b32 s22, s64, s28
	s_cselect_b32 s23, s65, s29
	s_add_u32 s40, s22, 2
	s_addc_u32 s41, s23, 0
	s_barrier
	buffer_gl0_inv
	s_cbranch_vccz .LBB144_121
.LBB144_21:                             ; =>This Loop Header: Depth=1
                                        ;     Child Loop BB144_31 Depth 2
                                        ;       Child Loop BB144_36 Depth 3
                                        ;         Child Loop BB144_51 Depth 4
                                        ;         Child Loop BB144_47 Depth 4
	;; [unrolled: 1-line block ×8, first 2 shown]
                                        ;     Child Loop BB144_89 Depth 2
	s_and_saveexec_b32 s17, s0
	s_cbranch_execz .LBB144_23
; %bb.22:                               ;   in Loop: Header=BB144_21 Depth=1
	ds_store_b8 v0, v3 offset:16384
.LBB144_23:                             ;   in Loop: Header=BB144_21 Depth=1
	s_or_b32 exec_lo, exec_lo, s17
	v_dual_mov_b32 v22, s13 :: v_dual_mov_b32 v21, s12
	ds_store_2addr_stride64_b64 v53, v[21:22], v[21:22] offset1:4
	ds_store_2addr_stride64_b64 v53, v[21:22], v[21:22] offset0:8 offset1:12
	ds_store_b64 v53, v[21:22] offset:8192
	s_and_saveexec_b32 s17, s2
	s_delay_alu instid0(SALU_CYCLE_1)
	s_xor_b32 s17, exec_lo, s17
	s_cbranch_execz .LBB144_29
; %bb.24:                               ;   in Loop: Header=BB144_21 Depth=1
	v_mov_b32_e32 v4, v3
	ds_store_b64 v53, v[3:4] offset:10240
	s_and_saveexec_b32 s24, s3
	s_delay_alu instid0(SALU_CYCLE_1)
	s_xor_b32 s24, exec_lo, s24
	s_cbranch_execz .LBB144_28
; %bb.25:                               ;   in Loop: Header=BB144_21 Depth=1
	ds_store_b64 v53, v[3:4] offset:12288
	s_and_saveexec_b32 s25, s4
	s_delay_alu instid0(SALU_CYCLE_1)
	s_xor_b32 s25, exec_lo, s25
	s_cbranch_execz .LBB144_27
; %bb.26:                               ;   in Loop: Header=BB144_21 Depth=1
	v_mov_b32_e32 v4, v3
	ds_store_b64 v53, v[3:4] offset:14336
.LBB144_27:                             ;   in Loop: Header=BB144_21 Depth=1
	s_or_b32 exec_lo, exec_lo, s25
.LBB144_28:                             ;   in Loop: Header=BB144_21 Depth=1
	s_delay_alu instid0(SALU_CYCLE_1)
	s_or_b32 exec_lo, exec_lo, s24
.LBB144_29:                             ;   in Loop: Header=BB144_21 Depth=1
	s_delay_alu instid0(SALU_CYCLE_1) | instskip(NEXT) | instid1(SALU_CYCLE_1)
	s_or_b32 exec_lo, exec_lo, s17
	s_and_not1_b32 vcc_lo, exec_lo, s5
	s_mov_b64 s[64:65], s[28:29]
	s_waitcnt lgkmcnt(0)
	s_barrier
	buffer_gl0_inv
	s_cbranch_vccnz .LBB144_84
; %bb.30:                               ;   in Loop: Header=BB144_21 Depth=1
	v_dual_mov_b32 v22, v20 :: v_dual_mov_b32 v21, v19
	v_dual_mov_b32 v24, v16 :: v_dual_mov_b32 v23, v15
	s_cmp_lg_u64 s[22:23], 0
	s_mov_b64 s[58:59], s[28:29]
	s_cselect_b32 s17, -1, 0
	s_mov_b64 s[24:25], s[44:45]
.LBB144_31:                             ;   Parent Loop BB144_21 Depth=1
                                        ; =>  This Loop Header: Depth=2
                                        ;       Child Loop BB144_36 Depth 3
                                        ;         Child Loop BB144_51 Depth 4
                                        ;         Child Loop BB144_47 Depth 4
                                        ;         Child Loop BB144_59 Depth 4
                                        ;         Child Loop BB144_55 Depth 4
                                        ;         Child Loop BB144_67 Depth 4
                                        ;         Child Loop BB144_63 Depth 4
                                        ;         Child Loop BB144_75 Depth 4
                                        ;         Child Loop BB144_71 Depth 4
	s_delay_alu instid0(SALU_CYCLE_1) | instskip(NEXT) | instid1(SALU_CYCLE_1)
	s_lshl_b64 s[26:27], s[24:25], 3
	s_add_u32 s60, s38, s26
	s_addc_u32 s61, s39, s27
	s_load_b64 s[60:61], s[60:61], 0x0
	s_waitcnt lgkmcnt(0)
	s_sub_u32 s60, s60, s8
	s_subb_u32 s61, s61, 0
	s_and_b32 vcc_lo, exec_lo, s17
	s_cbranch_vccz .LBB144_83
; %bb.32:                               ;   in Loop: Header=BB144_31 Depth=2
	s_add_u32 s62, s6, s26
	s_addc_u32 s63, s7, s27
	global_load_b64 v[25:26], v3, s[62:63]
	s_waitcnt vmcnt(0)
	v_readfirstlane_b32 s62, v25
	v_readfirstlane_b32 s63, v26
	s_cbranch_execnz .LBB144_34
.LBB144_33:                             ;   in Loop: Header=BB144_31 Depth=2
	s_lshl_b64 s[62:63], s[60:61], 3
	s_delay_alu instid0(SALU_CYCLE_1)
	s_add_u32 s62, s42, s62
	s_addc_u32 s63, s43, s63
	s_load_b64 s[62:63], s[62:63], 0x0
	s_waitcnt lgkmcnt(0)
	s_sub_u32 s62, s62, s9
	s_subb_u32 s63, s63, 0
.LBB144_34:                             ;   in Loop: Header=BB144_31 Depth=2
	s_lshl_b64 s[60:61], s[60:61], 3
	s_delay_alu instid0(SALU_CYCLE_1)
	s_add_u32 s60, s79, s60
	s_addc_u32 s61, s80, s61
	s_load_b64 s[60:61], s[60:61], 0x0
	s_waitcnt lgkmcnt(0)
	s_sub_u32 s60, s60, s9
	s_subb_u32 s61, s61, 0
	s_delay_alu instid0(SALU_CYCLE_1) | instskip(NEXT) | instid1(VALU_DEP_1)
	v_cmp_ge_i64_e64 s64, s[62:63], s[60:61]
	s_and_b32 vcc_lo, exec_lo, s64
	s_cbranch_vccnz .LBB144_80
; %bb.35:                               ;   in Loop: Header=BB144_31 Depth=2
	s_mul_i32 s64, s52, s63
	s_mul_hi_u32 s65, s52, s62
	s_mul_i32 s66, s53, s62
	s_add_i32 s64, s65, s64
	s_mul_i32 s65, s52, s62
	s_add_i32 s64, s64, s66
	v_add_co_u32 v4, s66, v17, s65
	s_delay_alu instid0(VALU_DEP_1) | instskip(SKIP_1) | instid1(VALU_DEP_2)
	v_add_co_ci_u32_e64 v25, null, 0, s64, s66
	s_mul_i32 s66, s50, s63
	v_mul_lo_u32 v29, s31, v4
	s_delay_alu instid0(VALU_DEP_2) | instskip(SKIP_2) | instid1(VALU_DEP_1)
	v_mul_lo_u32 v30, s30, v25
	v_mad_u64_u32 v[25:26], null, s30, v4, s[54:55]
	v_add_co_u32 v4, s67, v56, s65
	v_add_co_ci_u32_e64 v27, null, 0, s64, s67
	s_mul_hi_u32 s67, s50, s62
	s_delay_alu instid0(VALU_DEP_2) | instskip(SKIP_1) | instid1(VALU_DEP_2)
	v_mul_lo_u32 v32, s31, v4
	s_add_i32 s66, s67, s66
	v_mul_lo_u32 v31, s30, v27
	v_mad_u64_u32 v[27:28], null, s30, v4, s[54:55]
	v_add_co_u32 v4, s68, v57, s65
	v_add_co_u32 v35, s65, v62, s65
	s_mul_i32 s67, s51, s62
	v_add_co_ci_u32_e64 v33, null, 0, s64, s65
	s_delay_alu instid0(VALU_DEP_4) | instskip(SKIP_4) | instid1(VALU_DEP_2)
	v_add3_u32 v28, v32, v28, v31
	v_add_co_ci_u32_e64 v31, null, 0, s64, s68
	s_add_i32 s66, s66, s67
	s_mul_i32 s67, s50, s62
	v_mul_lo_u32 v38, s31, v4
	v_mul_lo_u32 v37, s30, v31
	v_mad_u64_u32 v[31:32], null, s30, v4, s[54:55]
	v_add3_u32 v26, v29, v26, v30
	v_add_co_u32 v29, vcc_lo, v54, s67
	v_mul_lo_u32 v4, s30, v33
	v_mul_lo_u32 v39, s31, v35
	v_mad_u64_u32 v[33:34], null, s30, v35, s[54:55]
	v_add_co_ci_u32_e32 v30, vcc_lo, s66, v55, vcc_lo
	v_add_co_u32 v35, vcc_lo, v58, s67
	v_add_co_ci_u32_e32 v36, vcc_lo, s66, v59, vcc_lo
	v_add3_u32 v32, v38, v32, v37
	v_add_co_u32 v37, vcc_lo, v60, s67
	v_add_co_ci_u32_e32 v38, vcc_lo, s66, v61, vcc_lo
	v_add3_u32 v34, v39, v34, v4
	v_add_co_u32 v39, vcc_lo, v63, s67
	v_add_co_ci_u32_e32 v40, vcc_lo, s66, v64, vcc_lo
	s_mov_b64 s[66:67], s[62:63]
.LBB144_36:                             ;   Parent Loop BB144_21 Depth=1
                                        ;     Parent Loop BB144_31 Depth=2
                                        ; =>    This Loop Header: Depth=3
                                        ;         Child Loop BB144_51 Depth 4
                                        ;         Child Loop BB144_47 Depth 4
	;; [unrolled: 1-line block ×8, first 2 shown]
	s_delay_alu instid0(SALU_CYCLE_1)
	s_lshl_b64 s[64:65], s[66:67], 3
	s_mov_b32 s87, -1
	s_add_u32 s64, s20, s64
	s_addc_u32 s65, s21, s65
                                        ; implicit-def: $sgpr86
                                        ; implicit-def: $sgpr68_sgpr69
	s_load_b64 s[64:65], s[64:65], 0x0
	s_waitcnt lgkmcnt(0)
	s_sub_u32 s70, s64, s9
	s_subb_u32 s71, s65, 0
	s_delay_alu instid0(SALU_CYCLE_1) | instskip(SKIP_2) | instid1(VALU_DEP_2)
	v_cmp_ge_i64_e64 s64, s[70:71], s[22:23]
	v_cmp_lt_i64_e64 s65, s[70:71], s[40:41]
	v_cmp_ge_i64_e64 s88, s[70:71], s[40:41]
	s_and_b32 s64, s64, s65
	s_delay_alu instid0(SALU_CYCLE_1)
	s_and_not1_b32 vcc_lo, exec_lo, s64
                                        ; implicit-def: $sgpr64_sgpr65
	s_cbranch_vccz .LBB144_40
; %bb.37:                               ;   in Loop: Header=BB144_36 Depth=3
	s_mov_b32 s86, -1
	s_delay_alu instid0(VALU_DEP_1)
	s_and_not1_b32 vcc_lo, exec_lo, s88
	s_mov_b64 s[64:65], s[58:59]
	s_mov_b64 s[68:69], s[62:63]
	s_cbranch_vccnz .LBB144_39
; %bb.38:                               ;   in Loop: Header=BB144_36 Depth=3
	v_cmp_lt_i64_e64 s64, s[70:71], s[58:59]
	s_mov_b32 s86, 0
	s_mov_b64 s[68:69], s[66:67]
	s_delay_alu instid0(VALU_DEP_1)
	s_and_b32 s64, s64, exec_lo
	s_cselect_b32 s65, s71, s59
	s_cselect_b32 s64, s70, s58
.LBB144_39:                             ;   in Loop: Header=BB144_36 Depth=3
	s_mov_b32 s87, 0
.LBB144_40:                             ;   in Loop: Header=BB144_36 Depth=3
	s_delay_alu instid0(SALU_CYCLE_1)
	s_and_not1_b32 vcc_lo, exec_lo, s87
	s_cbranch_vccnz .LBB144_78
; %bb.41:                               ;   in Loop: Header=BB144_36 Depth=3
	s_sub_i32 s64, s70, s22
	s_delay_alu instid0(SALU_CYCLE_1)
	v_mov_b32_e32 v41, s64
	v_lshl_add_u32 v4, s64, 10, v45
	ds_store_b8 v41, v65 offset:16384
	s_and_saveexec_b32 s68, s75
	s_cbranch_execnz .LBB144_45
; %bb.42:                               ;   in Loop: Header=BB144_36 Depth=3
	s_or_b32 exec_lo, exec_lo, s68
	s_and_saveexec_b32 s68, s76
	s_cbranch_execnz .LBB144_53
.LBB144_43:                             ;   in Loop: Header=BB144_36 Depth=3
	s_or_b32 exec_lo, exec_lo, s68
	s_and_saveexec_b32 s68, s77
	s_cbranch_execnz .LBB144_61
.LBB144_44:                             ;   in Loop: Header=BB144_36 Depth=3
	s_or_b32 exec_lo, exec_lo, s68
	s_and_saveexec_b32 s68, s78
	s_cbranch_execnz .LBB144_69
	s_branch .LBB144_77
.LBB144_45:                             ;   in Loop: Header=BB144_36 Depth=3
	s_and_not1_b32 vcc_lo, exec_lo, s74
	s_cbranch_vccnz .LBB144_49
; %bb.46:                               ;   in Loop: Header=BB144_36 Depth=3
	v_mov_b32_e32 v42, v26
	v_dual_mov_b32 v44, v24 :: v_dual_mov_b32 v67, 0
	v_dual_mov_b32 v66, 0 :: v_dual_mov_b32 v41, v25
	v_mov_b32_e32 v43, v23
	s_mov_b64 s[64:65], s[30:31]
	.p2align	6
.LBB144_47:                             ;   Parent Loop BB144_21 Depth=1
                                        ;     Parent Loop BB144_31 Depth=2
                                        ;       Parent Loop BB144_36 Depth=3
                                        ; =>      This Inner Loop Header: Depth=4
	global_load_b64 v[68:69], v[43:44], off offset:-4
	global_load_b64 v[70:71], v[41:42], off offset:-4
	v_add_co_u32 v43, vcc_lo, v43, s52
	v_add_co_ci_u32_e32 v44, vcc_lo, s53, v44, vcc_lo
	v_add_co_u32 v41, vcc_lo, v41, 8
	v_add_co_ci_u32_e32 v42, vcc_lo, 0, v42, vcc_lo
	s_add_u32 s64, s64, -1
	s_addc_u32 s65, s65, -1
	s_delay_alu instid0(SALU_CYCLE_1) | instskip(SKIP_3) | instid1(VALU_DEP_2)
	s_cmp_lg_u64 s[64:65], 0
	s_waitcnt vmcnt(0)
	v_fmac_f32_e32 v66, v68, v70
	v_fmac_f32_e32 v67, v69, v70
	v_fma_f32 v66, -v69, v71, v66
	s_delay_alu instid0(VALU_DEP_2)
	v_fmac_f32_e32 v67, v68, v71
	s_cbranch_scc1 .LBB144_47
; %bb.48:                               ;   in Loop: Header=BB144_36 Depth=3
	s_branch .LBB144_52
.LBB144_49:                             ;   in Loop: Header=BB144_36 Depth=3
                                        ; implicit-def: $vgpr66
                                        ; implicit-def: $vgpr67
	s_cbranch_execz .LBB144_52
; %bb.50:                               ;   in Loop: Header=BB144_36 Depth=3
	v_mov_b32_e32 v42, v22
	v_dual_mov_b32 v44, v30 :: v_dual_mov_b32 v67, 0
	v_dual_mov_b32 v66, 0 :: v_dual_mov_b32 v41, v21
	v_mov_b32_e32 v43, v29
	s_mov_b64 s[64:65], s[30:31]
	.p2align	6
.LBB144_51:                             ;   Parent Loop BB144_21 Depth=1
                                        ;     Parent Loop BB144_31 Depth=2
                                        ;       Parent Loop BB144_36 Depth=3
                                        ; =>      This Inner Loop Header: Depth=4
	global_load_b64 v[68:69], v[41:42], off offset:-4
	global_load_b64 v[70:71], v[43:44], off offset:-4
	v_add_co_u32 v43, vcc_lo, v43, s52
	v_add_co_ci_u32_e32 v44, vcc_lo, s53, v44, vcc_lo
	v_add_co_u32 v41, vcc_lo, v41, 8
	v_add_co_ci_u32_e32 v42, vcc_lo, 0, v42, vcc_lo
	s_add_u32 s64, s64, -1
	s_addc_u32 s65, s65, -1
	s_delay_alu instid0(SALU_CYCLE_1) | instskip(SKIP_3) | instid1(VALU_DEP_2)
	s_cmp_eq_u64 s[64:65], 0
	s_waitcnt vmcnt(0)
	v_fmac_f32_e32 v66, v68, v70
	v_fmac_f32_e32 v67, v69, v70
	v_fma_f32 v66, -v69, v71, v66
	s_delay_alu instid0(VALU_DEP_2)
	v_fmac_f32_e32 v67, v68, v71
	s_cbranch_scc0 .LBB144_51
.LBB144_52:                             ;   in Loop: Header=BB144_36 Depth=3
	v_or_b32_e32 v41, v4, v1
	s_delay_alu instid0(VALU_DEP_1) | instskip(SKIP_4) | instid1(VALU_DEP_2)
	v_lshlrev_b32_e32 v43, 3, v41
	ds_load_b64 v[41:42], v43
	s_waitcnt lgkmcnt(0)
	v_fmac_f32_e32 v42, s35, v66
	v_fma_f32 v41, s33, v66, v41
	v_fmac_f32_e32 v42, s33, v67
	s_delay_alu instid0(VALU_DEP_2)
	v_fma_f32 v41, -s35, v67, v41
	ds_store_b64 v43, v[41:42]
	s_or_b32 exec_lo, exec_lo, s68
	s_and_saveexec_b32 s68, s76
	s_cbranch_execz .LBB144_43
.LBB144_53:                             ;   in Loop: Header=BB144_36 Depth=3
	s_and_not1_b32 vcc_lo, exec_lo, s74
	s_cbranch_vccnz .LBB144_57
; %bb.54:                               ;   in Loop: Header=BB144_36 Depth=3
	v_mov_b32_e32 v42, v28
	v_dual_mov_b32 v44, v24 :: v_dual_mov_b32 v67, 0
	v_dual_mov_b32 v66, 0 :: v_dual_mov_b32 v41, v27
	v_mov_b32_e32 v43, v23
	s_mov_b64 s[64:65], s[30:31]
	.p2align	6
.LBB144_55:                             ;   Parent Loop BB144_21 Depth=1
                                        ;     Parent Loop BB144_31 Depth=2
                                        ;       Parent Loop BB144_36 Depth=3
                                        ; =>      This Inner Loop Header: Depth=4
	global_load_b64 v[68:69], v[43:44], off offset:-4
	global_load_b64 v[70:71], v[41:42], off offset:-4
	v_add_co_u32 v43, vcc_lo, v43, s52
	v_add_co_ci_u32_e32 v44, vcc_lo, s53, v44, vcc_lo
	v_add_co_u32 v41, vcc_lo, v41, 8
	s_add_u32 s64, s64, -1
	v_add_co_ci_u32_e32 v42, vcc_lo, 0, v42, vcc_lo
	s_addc_u32 s65, s65, -1
	s_delay_alu instid0(SALU_CYCLE_1) | instskip(SKIP_3) | instid1(VALU_DEP_2)
	s_cmp_eq_u64 s[64:65], 0
	s_waitcnt vmcnt(0)
	v_fmac_f32_e32 v66, v68, v70
	v_fmac_f32_e32 v67, v69, v70
	v_fma_f32 v66, -v69, v71, v66
	s_delay_alu instid0(VALU_DEP_2)
	v_fmac_f32_e32 v67, v68, v71
	s_cbranch_scc0 .LBB144_55
; %bb.56:                               ;   in Loop: Header=BB144_36 Depth=3
	s_branch .LBB144_60
.LBB144_57:                             ;   in Loop: Header=BB144_36 Depth=3
                                        ; implicit-def: $vgpr66
                                        ; implicit-def: $vgpr67
	s_cbranch_execz .LBB144_60
; %bb.58:                               ;   in Loop: Header=BB144_36 Depth=3
	v_mov_b32_e32 v42, v22
	v_dual_mov_b32 v44, v36 :: v_dual_mov_b32 v67, 0
	v_dual_mov_b32 v66, 0 :: v_dual_mov_b32 v41, v21
	v_mov_b32_e32 v43, v35
	s_mov_b64 s[64:65], s[30:31]
	.p2align	6
.LBB144_59:                             ;   Parent Loop BB144_21 Depth=1
                                        ;     Parent Loop BB144_31 Depth=2
                                        ;       Parent Loop BB144_36 Depth=3
                                        ; =>      This Inner Loop Header: Depth=4
	global_load_b64 v[68:69], v[41:42], off offset:-4
	global_load_b64 v[70:71], v[43:44], off
	v_add_co_u32 v43, vcc_lo, v43, s52
	v_add_co_ci_u32_e32 v44, vcc_lo, s53, v44, vcc_lo
	v_add_co_u32 v41, vcc_lo, v41, 8
	s_add_u32 s64, s64, -1
	v_add_co_ci_u32_e32 v42, vcc_lo, 0, v42, vcc_lo
	s_addc_u32 s65, s65, -1
	s_delay_alu instid0(SALU_CYCLE_1) | instskip(SKIP_3) | instid1(VALU_DEP_2)
	s_cmp_eq_u64 s[64:65], 0
	s_waitcnt vmcnt(0)
	v_fmac_f32_e32 v66, v68, v70
	v_fmac_f32_e32 v67, v69, v70
	v_fma_f32 v66, -v69, v71, v66
	s_delay_alu instid0(VALU_DEP_2)
	v_fmac_f32_e32 v67, v68, v71
	s_cbranch_scc0 .LBB144_59
.LBB144_60:                             ;   in Loop: Header=BB144_36 Depth=3
	v_add_lshl_u32 v43, v4, v1, 3
	ds_load_b64 v[41:42], v43 offset:64
	s_waitcnt lgkmcnt(0)
	v_fma_f32 v41, s33, v66, v41
	v_fmac_f32_e32 v42, s35, v66
	s_delay_alu instid0(VALU_DEP_2) | instskip(NEXT) | instid1(VALU_DEP_2)
	v_fma_f32 v41, -s35, v67, v41
	v_fmac_f32_e32 v42, s33, v67
	ds_store_b64 v43, v[41:42] offset:64
	s_or_b32 exec_lo, exec_lo, s68
	s_and_saveexec_b32 s68, s77
	s_cbranch_execz .LBB144_44
.LBB144_61:                             ;   in Loop: Header=BB144_36 Depth=3
	s_and_not1_b32 vcc_lo, exec_lo, s74
	s_cbranch_vccnz .LBB144_65
; %bb.62:                               ;   in Loop: Header=BB144_36 Depth=3
	v_mov_b32_e32 v42, v32
	v_dual_mov_b32 v44, v24 :: v_dual_mov_b32 v67, 0
	v_dual_mov_b32 v66, 0 :: v_dual_mov_b32 v41, v31
	v_mov_b32_e32 v43, v23
	s_mov_b64 s[64:65], s[30:31]
	.p2align	6
.LBB144_63:                             ;   Parent Loop BB144_21 Depth=1
                                        ;     Parent Loop BB144_31 Depth=2
                                        ;       Parent Loop BB144_36 Depth=3
                                        ; =>      This Inner Loop Header: Depth=4
	global_load_b64 v[68:69], v[43:44], off offset:-4
	global_load_b64 v[70:71], v[41:42], off offset:-4
	v_add_co_u32 v43, vcc_lo, v43, s52
	v_add_co_ci_u32_e32 v44, vcc_lo, s53, v44, vcc_lo
	v_add_co_u32 v41, vcc_lo, v41, 8
	s_add_u32 s64, s64, -1
	v_add_co_ci_u32_e32 v42, vcc_lo, 0, v42, vcc_lo
	s_addc_u32 s65, s65, -1
	s_delay_alu instid0(SALU_CYCLE_1) | instskip(SKIP_3) | instid1(VALU_DEP_2)
	s_cmp_eq_u64 s[64:65], 0
	s_waitcnt vmcnt(0)
	v_fmac_f32_e32 v66, v68, v70
	v_fmac_f32_e32 v67, v69, v70
	v_fma_f32 v66, -v69, v71, v66
	s_delay_alu instid0(VALU_DEP_2)
	v_fmac_f32_e32 v67, v68, v71
	s_cbranch_scc0 .LBB144_63
; %bb.64:                               ;   in Loop: Header=BB144_36 Depth=3
	s_branch .LBB144_68
.LBB144_65:                             ;   in Loop: Header=BB144_36 Depth=3
                                        ; implicit-def: $vgpr66
                                        ; implicit-def: $vgpr67
	s_cbranch_execz .LBB144_68
; %bb.66:                               ;   in Loop: Header=BB144_36 Depth=3
	v_mov_b32_e32 v42, v22
	v_dual_mov_b32 v44, v38 :: v_dual_mov_b32 v67, 0
	v_dual_mov_b32 v66, 0 :: v_dual_mov_b32 v41, v21
	v_mov_b32_e32 v43, v37
	s_mov_b64 s[64:65], s[30:31]
	.p2align	6
.LBB144_67:                             ;   Parent Loop BB144_21 Depth=1
                                        ;     Parent Loop BB144_31 Depth=2
                                        ;       Parent Loop BB144_36 Depth=3
                                        ; =>      This Inner Loop Header: Depth=4
	global_load_b64 v[68:69], v[41:42], off offset:-4
	global_load_b64 v[70:71], v[43:44], off
	v_add_co_u32 v43, vcc_lo, v43, s52
	v_add_co_ci_u32_e32 v44, vcc_lo, s53, v44, vcc_lo
	v_add_co_u32 v41, vcc_lo, v41, 8
	s_add_u32 s64, s64, -1
	v_add_co_ci_u32_e32 v42, vcc_lo, 0, v42, vcc_lo
	s_addc_u32 s65, s65, -1
	s_delay_alu instid0(SALU_CYCLE_1) | instskip(SKIP_3) | instid1(VALU_DEP_2)
	s_cmp_eq_u64 s[64:65], 0
	s_waitcnt vmcnt(0)
	v_fmac_f32_e32 v66, v68, v70
	v_fmac_f32_e32 v67, v69, v70
	v_fma_f32 v66, -v69, v71, v66
	s_delay_alu instid0(VALU_DEP_2)
	v_fmac_f32_e32 v67, v68, v71
	s_cbranch_scc0 .LBB144_67
.LBB144_68:                             ;   in Loop: Header=BB144_36 Depth=3
	v_add_lshl_u32 v43, v4, v1, 3
	ds_load_b64 v[41:42], v43 offset:128
	s_waitcnt lgkmcnt(0)
	v_fma_f32 v41, s33, v66, v41
	v_fmac_f32_e32 v42, s35, v66
	s_delay_alu instid0(VALU_DEP_2) | instskip(NEXT) | instid1(VALU_DEP_2)
	v_fma_f32 v41, -s35, v67, v41
	v_fmac_f32_e32 v42, s33, v67
	ds_store_b64 v43, v[41:42] offset:128
	s_or_b32 exec_lo, exec_lo, s68
	s_and_saveexec_b32 s68, s78
	s_cbranch_execz .LBB144_77
.LBB144_69:                             ;   in Loop: Header=BB144_36 Depth=3
	s_and_not1_b32 vcc_lo, exec_lo, s74
	s_cbranch_vccnz .LBB144_73
; %bb.70:                               ;   in Loop: Header=BB144_36 Depth=3
	v_mov_b32_e32 v42, v34
	v_dual_mov_b32 v44, v24 :: v_dual_mov_b32 v67, 0
	v_dual_mov_b32 v66, 0 :: v_dual_mov_b32 v41, v33
	v_mov_b32_e32 v43, v23
	s_mov_b64 s[64:65], s[30:31]
	.p2align	6
.LBB144_71:                             ;   Parent Loop BB144_21 Depth=1
                                        ;     Parent Loop BB144_31 Depth=2
                                        ;       Parent Loop BB144_36 Depth=3
                                        ; =>      This Inner Loop Header: Depth=4
	global_load_b64 v[68:69], v[43:44], off offset:-4
	global_load_b64 v[70:71], v[41:42], off offset:-4
	v_add_co_u32 v43, vcc_lo, v43, s52
	v_add_co_ci_u32_e32 v44, vcc_lo, s53, v44, vcc_lo
	v_add_co_u32 v41, vcc_lo, v41, 8
	s_add_u32 s64, s64, -1
	v_add_co_ci_u32_e32 v42, vcc_lo, 0, v42, vcc_lo
	s_addc_u32 s65, s65, -1
	s_delay_alu instid0(SALU_CYCLE_1) | instskip(SKIP_3) | instid1(VALU_DEP_2)
	s_cmp_eq_u64 s[64:65], 0
	s_waitcnt vmcnt(0)
	v_fmac_f32_e32 v66, v68, v70
	v_fmac_f32_e32 v67, v69, v70
	v_fma_f32 v66, -v69, v71, v66
	s_delay_alu instid0(VALU_DEP_2)
	v_fmac_f32_e32 v67, v68, v71
	s_cbranch_scc0 .LBB144_71
; %bb.72:                               ;   in Loop: Header=BB144_36 Depth=3
	s_branch .LBB144_76
.LBB144_73:                             ;   in Loop: Header=BB144_36 Depth=3
                                        ; implicit-def: $vgpr66
                                        ; implicit-def: $vgpr67
	s_cbranch_execz .LBB144_76
; %bb.74:                               ;   in Loop: Header=BB144_36 Depth=3
	v_mov_b32_e32 v42, v22
	v_dual_mov_b32 v44, v40 :: v_dual_mov_b32 v67, 0
	v_dual_mov_b32 v66, 0 :: v_dual_mov_b32 v41, v21
	v_mov_b32_e32 v43, v39
	s_mov_b64 s[64:65], s[30:31]
	.p2align	6
.LBB144_75:                             ;   Parent Loop BB144_21 Depth=1
                                        ;     Parent Loop BB144_31 Depth=2
                                        ;       Parent Loop BB144_36 Depth=3
                                        ; =>      This Inner Loop Header: Depth=4
	global_load_b64 v[68:69], v[41:42], off offset:-4
	global_load_b64 v[70:71], v[43:44], off offset:-4
	v_add_co_u32 v43, vcc_lo, v43, s52
	v_add_co_ci_u32_e32 v44, vcc_lo, s53, v44, vcc_lo
	v_add_co_u32 v41, vcc_lo, v41, 8
	s_add_u32 s64, s64, -1
	v_add_co_ci_u32_e32 v42, vcc_lo, 0, v42, vcc_lo
	s_addc_u32 s65, s65, -1
	s_delay_alu instid0(SALU_CYCLE_1) | instskip(SKIP_3) | instid1(VALU_DEP_2)
	s_cmp_eq_u64 s[64:65], 0
	s_waitcnt vmcnt(0)
	v_fmac_f32_e32 v66, v68, v70
	v_fmac_f32_e32 v67, v69, v70
	v_fma_f32 v66, -v69, v71, v66
	s_delay_alu instid0(VALU_DEP_2)
	v_fmac_f32_e32 v67, v68, v71
	s_cbranch_scc0 .LBB144_75
.LBB144_76:                             ;   in Loop: Header=BB144_36 Depth=3
	v_add_lshl_u32 v4, v4, v1, 3
	ds_load_b64 v[41:42], v4 offset:192
	s_waitcnt lgkmcnt(0)
	v_fma_f32 v41, s33, v66, v41
	v_fmac_f32_e32 v42, s35, v66
	s_delay_alu instid0(VALU_DEP_2) | instskip(NEXT) | instid1(VALU_DEP_2)
	v_fma_f32 v41, -s35, v67, v41
	v_fmac_f32_e32 v42, s33, v67
	ds_store_b64 v4, v[41:42] offset:192
.LBB144_77:                             ;   in Loop: Header=BB144_36 Depth=3
	s_or_b32 exec_lo, exec_lo, s68
	s_mov_b32 s86, -1
	s_mov_b64 s[64:65], s[58:59]
	s_mov_b64 s[68:69], s[62:63]
	s_waitcnt lgkmcnt(0)
	s_waitcnt_vscnt null, 0x0
	s_barrier
	buffer_gl0_inv
.LBB144_78:                             ;   in Loop: Header=BB144_36 Depth=3
	v_add_co_u32 v25, vcc_lo, v25, s50
	v_add_co_ci_u32_e32 v26, vcc_lo, s51, v26, vcc_lo
	v_add_co_u32 v29, vcc_lo, v29, s50
	v_add_co_ci_u32_e32 v30, vcc_lo, s51, v30, vcc_lo
	;; [unrolled: 2-line block ×5, first 2 shown]
	s_add_u32 s66, s66, 1
	v_add_co_u32 v37, vcc_lo, v37, s50
	s_addc_u32 s67, s67, 0
	v_add_co_ci_u32_e32 v38, vcc_lo, s51, v38, vcc_lo
	v_cmp_lt_i64_e64 s58, s[66:67], s[60:61]
	v_add_co_u32 v33, vcc_lo, v33, s50
	v_add_co_ci_u32_e32 v34, vcc_lo, s51, v34, vcc_lo
	v_add_co_u32 v39, vcc_lo, v39, s50
	v_add_co_ci_u32_e32 v40, vcc_lo, s51, v40, vcc_lo
	s_and_b32 s58, s86, s58
	s_delay_alu instid0(SALU_CYCLE_1)
	s_and_b32 vcc_lo, exec_lo, s58
	s_cbranch_vccz .LBB144_81
; %bb.79:                               ;   in Loop: Header=BB144_36 Depth=3
	s_mov_b64 s[58:59], s[64:65]
	s_mov_b64 s[62:63], s[68:69]
	s_branch .LBB144_36
.LBB144_80:                             ;   in Loop: Header=BB144_31 Depth=2
	s_mov_b64 s[64:65], s[58:59]
	s_mov_b64 s[68:69], s[62:63]
.LBB144_81:                             ;   in Loop: Header=BB144_31 Depth=2
	s_add_u32 s26, s6, s26
	s_addc_u32 s27, s7, s27
	s_add_u32 s24, s24, 1
	s_addc_u32 s25, s25, 0
	v_add_co_u32 v23, vcc_lo, v23, s50
	v_cmp_lt_i64_e64 s58, s[24:25], s[46:47]
	v_add_co_ci_u32_e32 v24, vcc_lo, s51, v24, vcc_lo
	v_add_co_u32 v21, vcc_lo, v21, s50
	v_dual_mov_b32 v25, s68 :: v_dual_mov_b32 v26, s69
	v_add_co_ci_u32_e32 v22, vcc_lo, s51, v22, vcc_lo
	s_and_b32 vcc_lo, exec_lo, s58
	global_store_b64 v3, v[25:26], s[26:27]
	s_cbranch_vccz .LBB144_84
; %bb.82:                               ;   in Loop: Header=BB144_31 Depth=2
	s_mov_b64 s[58:59], s[64:65]
	s_branch .LBB144_31
.LBB144_83:                             ;   in Loop: Header=BB144_31 Depth=2
                                        ; implicit-def: $sgpr62_sgpr63
	s_branch .LBB144_33
.LBB144_84:                             ;   in Loop: Header=BB144_21 Depth=1
	s_and_not1_b32 vcc_lo, exec_lo, s34
	s_cbranch_vccnz .LBB144_100
; %bb.85:                               ;   in Loop: Header=BB144_21 Depth=1
	s_load_b128 s[24:27], s[48:49], 0x0
	s_waitcnt lgkmcnt(0)
	v_cmp_ge_i64_e64 s17, s[24:25], s[26:27]
	s_delay_alu instid0(VALU_DEP_1)
	s_and_b32 vcc_lo, exec_lo, s17
	s_cbranch_vccnz .LBB144_100
; %bb.86:                               ;   in Loop: Header=BB144_21 Depth=1
	s_sub_u32 s26, s26, s16
	s_subb_u32 s27, s27, 0
	s_sub_u32 s17, s24, s16
	s_subb_u32 s60, s25, 0
	s_lshl_b64 s[58:59], s[24:25], 3
	s_mul_i32 s60, s52, s60
	s_mul_hi_u32 s61, s52, s17
	s_add_u32 s58, s83, s58
	s_addc_u32 s59, s84, s59
	s_add_i32 s60, s61, s60
	s_mul_i32 s61, s53, s17
	s_mul_i32 s17, s52, s17
	s_add_i32 s60, s60, s61
	v_add_co_u32 v4, s61, v13, s17
	s_delay_alu instid0(VALU_DEP_1) | instskip(SKIP_1) | instid1(VALU_DEP_2)
	v_add_co_ci_u32_e64 v21, null, 0, s60, s61
	s_add_u32 s24, s11, s24
	v_mul_lo_u32 v32, s31, v4
	s_addc_u32 s25, s85, s25
	s_delay_alu instid0(VALU_DEP_2) | instskip(SKIP_2) | instid1(VALU_DEP_1)
	v_mul_lo_u32 v31, s30, v21
	v_mad_u64_u32 v[21:22], null, s30, v4, v[17:18]
	v_add_co_u32 v4, s61, v17, s17
	v_add_co_ci_u32_e64 v23, null, 0, s60, s61
	v_add_co_u32 v27, s61, v56, s17
	s_delay_alu instid0(VALU_DEP_1)
	v_add_co_ci_u32_e64 v25, null, 0, s60, s61
	v_add_co_u32 v29, s61, v57, s17
	v_add_co_u32 v36, s17, v62, s17
	v_mul_lo_u32 v33, s30, v23
	v_mul_lo_u32 v34, s31, v4
	v_mad_u64_u32 v[23:24], null, s30, v4, v[13:14]
	v_mul_lo_u32 v4, s30, v25
	v_mul_lo_u32 v35, s31, v27
	v_mad_u64_u32 v[25:26], null, s30, v27, v[13:14]
	v_add_co_ci_u32_e64 v27, null, 0, s60, s61
	v_add_co_ci_u32_e64 v30, null, 0, s60, s17
	v_mul_lo_u32 v38, s31, v29
	s_delay_alu instid0(VALU_DEP_3) | instskip(SKIP_1) | instid1(VALU_DEP_4)
	v_mul_lo_u32 v37, s30, v27
	v_mad_u64_u32 v[27:28], null, s30, v29, v[13:14]
	v_mul_lo_u32 v39, s30, v30
	v_mul_lo_u32 v40, s31, v36
	v_mad_u64_u32 v[29:30], null, s30, v36, v[13:14]
	v_add3_u32 v22, v32, v22, v31
	v_add3_u32 v24, v34, v24, v33
	;; [unrolled: 1-line block ×4, first 2 shown]
	s_mov_b64 s[60:61], s[14:15]
	v_add3_u32 v30, v40, v30, v39
	s_branch .LBB144_89
.LBB144_87:                             ;   in Loop: Header=BB144_89 Depth=2
	s_or_b32 exec_lo, exec_lo, s17
	s_mov_b32 s17, -1
	s_mov_b64 s[62:63], s[64:65]
	s_waitcnt lgkmcnt(0)
	s_waitcnt_vscnt null, 0x0
	s_barrier
	buffer_gl0_inv
.LBB144_88:                             ;   in Loop: Header=BB144_89 Depth=2
	v_cmp_lt_i64_e64 s64, s[24:25], s[26:27]
	s_delay_alu instid0(VALU_DEP_1)
	s_and_b32 s17, s17, s64
	s_add_u32 s58, s58, 8
	s_addc_u32 s59, s59, 0
	s_add_u32 s60, s60, s50
	s_addc_u32 s61, s61, s51
	;; [unrolled: 2-line block ×3, first 2 shown]
	s_mov_b64 s[64:65], s[62:63]
	s_and_b32 vcc_lo, exec_lo, s17
	s_cbranch_vccz .LBB144_100
.LBB144_89:                             ;   Parent Loop BB144_21 Depth=1
                                        ; =>  This Inner Loop Header: Depth=2
	s_load_b64 s[62:63], s[58:59], 0x0
	s_mov_b32 s68, -1
	s_waitcnt lgkmcnt(0)
	s_sub_u32 s66, s62, s16
	s_subb_u32 s67, s63, 0
	s_delay_alu instid0(SALU_CYCLE_1) | instskip(SKIP_1) | instid1(VALU_DEP_1)
	v_cmp_ge_i64_e64 s62, s[66:67], s[22:23]
	v_cmp_lt_i64_e64 s17, s[66:67], s[40:41]
	s_and_b32 s62, s62, s17
	s_delay_alu instid0(SALU_CYCLE_1)
	s_and_not1_b32 vcc_lo, exec_lo, s62
                                        ; implicit-def: $sgpr62_sgpr63
	s_cbranch_vccz .LBB144_91
; %bb.90:                               ;   in Loop: Header=BB144_89 Depth=2
	v_cmp_lt_i64_e64 s62, s[66:67], s[64:65]
	s_mov_b32 s68, 0
	s_delay_alu instid0(VALU_DEP_1)
	s_and_b32 s62, s62, exec_lo
	s_cselect_b32 s62, s66, s64
	s_cselect_b32 s63, s67, s65
	s_and_b32 s67, s17, exec_lo
	s_cselect_b32 s63, s65, s63
	s_cselect_b32 s62, s64, s62
.LBB144_91:                             ;   in Loop: Header=BB144_89 Depth=2
	s_and_not1_b32 vcc_lo, exec_lo, s68
	s_cbranch_vccnz .LBB144_88
; %bb.92:                               ;   in Loop: Header=BB144_89 Depth=2
	s_sub_i32 s17, s66, s22
	s_delay_alu instid0(SALU_CYCLE_1)
	v_mov_b32_e32 v31, s17
	v_lshl_add_u32 v4, s17, 10, v45
	ds_store_b8 v31, v65 offset:16384
	s_and_saveexec_b32 s17, s75
	s_cbranch_execnz .LBB144_96
; %bb.93:                               ;   in Loop: Header=BB144_89 Depth=2
	s_or_b32 exec_lo, exec_lo, s17
	v_add_lshl_u32 v4, v4, v1, 3
	s_and_saveexec_b32 s17, s76
	s_cbranch_execnz .LBB144_97
.LBB144_94:                             ;   in Loop: Header=BB144_89 Depth=2
	s_or_b32 exec_lo, exec_lo, s17
	s_and_saveexec_b32 s17, s77
	s_cbranch_execnz .LBB144_98
.LBB144_95:                             ;   in Loop: Header=BB144_89 Depth=2
	s_or_b32 exec_lo, exec_lo, s17
	s_and_saveexec_b32 s17, s78
	s_cbranch_execz .LBB144_87
	s_branch .LBB144_99
.LBB144_96:                             ;   in Loop: Header=BB144_89 Depth=2
	v_cndmask_b32_e64 v31, v23, v21, s1
	v_cndmask_b32_e64 v32, v24, v22, s1
	v_or_b32_e32 v33, v4, v1
	s_delay_alu instid0(VALU_DEP_3) | instskip(NEXT) | instid1(VALU_DEP_3)
	v_add_co_u32 v31, vcc_lo, s60, v31
	v_add_co_ci_u32_e32 v32, vcc_lo, s61, v32, vcc_lo
	global_load_b64 v[31:32], v[31:32], off
	v_lshlrev_b32_e32 v35, 3, v33
	ds_load_b64 v[33:34], v35
	s_waitcnt vmcnt(0) lgkmcnt(0)
	v_fmac_f32_e32 v34, s73, v31
	v_fma_f32 v33, s72, v31, v33
	s_delay_alu instid0(VALU_DEP_2) | instskip(NEXT) | instid1(VALU_DEP_2)
	v_fmac_f32_e32 v34, s72, v32
	v_fma_f32 v33, -s73, v32, v33
	ds_store_b64 v35, v[33:34]
	s_or_b32 exec_lo, exec_lo, s17
	v_add_lshl_u32 v4, v4, v1, 3
	s_and_saveexec_b32 s17, s76
	s_cbranch_execz .LBB144_94
.LBB144_97:                             ;   in Loop: Header=BB144_89 Depth=2
	v_add_co_u32 v31, vcc_lo, s60, v21
	v_add_co_ci_u32_e32 v32, vcc_lo, s61, v22, vcc_lo
	s_delay_alu instid0(VALU_DEP_2) | instskip(NEXT) | instid1(VALU_DEP_2)
	v_add_co_u32 v31, vcc_lo, v31, 64
	v_add_co_ci_u32_e32 v32, vcc_lo, 0, v32, vcc_lo
	v_add_co_u32 v33, vcc_lo, s60, v25
	v_add_co_ci_u32_e32 v34, vcc_lo, s61, v26, vcc_lo
	s_delay_alu instid0(VALU_DEP_2) | instskip(NEXT) | instid1(VALU_DEP_2)
	v_cndmask_b32_e64 v31, v33, v31, s1
	v_cndmask_b32_e64 v32, v34, v32, s1
	ds_load_b64 v[33:34], v4 offset:64
	global_load_b64 v[31:32], v[31:32], off
	s_waitcnt vmcnt(0) lgkmcnt(0)
	v_fma_f32 v33, s72, v31, v33
	v_fmac_f32_e32 v34, s73, v31
	s_delay_alu instid0(VALU_DEP_2) | instskip(NEXT) | instid1(VALU_DEP_2)
	v_fma_f32 v33, -s73, v32, v33
	v_fmac_f32_e32 v34, s72, v32
	ds_store_b64 v4, v[33:34] offset:64
	s_or_b32 exec_lo, exec_lo, s17
	s_and_saveexec_b32 s17, s77
	s_cbranch_execz .LBB144_95
.LBB144_98:                             ;   in Loop: Header=BB144_89 Depth=2
	v_add_co_u32 v31, vcc_lo, s60, v21
	v_add_co_ci_u32_e32 v32, vcc_lo, s61, v22, vcc_lo
	s_delay_alu instid0(VALU_DEP_2) | instskip(NEXT) | instid1(VALU_DEP_2)
	v_add_co_u32 v31, vcc_lo, 0x80, v31
	v_add_co_ci_u32_e32 v32, vcc_lo, 0, v32, vcc_lo
	v_add_co_u32 v33, vcc_lo, s60, v27
	v_add_co_ci_u32_e32 v34, vcc_lo, s61, v28, vcc_lo
	s_delay_alu instid0(VALU_DEP_2) | instskip(NEXT) | instid1(VALU_DEP_2)
	v_cndmask_b32_e64 v31, v33, v31, s1
	v_cndmask_b32_e64 v32, v34, v32, s1
	ds_load_b64 v[33:34], v4 offset:128
	global_load_b64 v[31:32], v[31:32], off
	s_waitcnt vmcnt(0) lgkmcnt(0)
	v_fma_f32 v33, s72, v31, v33
	v_fmac_f32_e32 v34, s73, v31
	s_delay_alu instid0(VALU_DEP_2) | instskip(NEXT) | instid1(VALU_DEP_2)
	v_fma_f32 v33, -s73, v32, v33
	v_fmac_f32_e32 v34, s72, v32
	ds_store_b64 v4, v[33:34] offset:128
	s_or_b32 exec_lo, exec_lo, s17
	s_and_saveexec_b32 s17, s78
	s_cbranch_execz .LBB144_87
.LBB144_99:                             ;   in Loop: Header=BB144_89 Depth=2
	v_add_co_u32 v31, vcc_lo, s60, v21
	v_add_co_ci_u32_e32 v32, vcc_lo, s61, v22, vcc_lo
	s_delay_alu instid0(VALU_DEP_2) | instskip(NEXT) | instid1(VALU_DEP_2)
	v_add_co_u32 v31, vcc_lo, 0xc0, v31
	v_add_co_ci_u32_e32 v32, vcc_lo, 0, v32, vcc_lo
	v_add_co_u32 v33, vcc_lo, s60, v29
	v_add_co_ci_u32_e32 v34, vcc_lo, s61, v30, vcc_lo
	s_delay_alu instid0(VALU_DEP_2) | instskip(NEXT) | instid1(VALU_DEP_2)
	v_cndmask_b32_e64 v31, v33, v31, s1
	v_cndmask_b32_e64 v32, v34, v32, s1
	ds_load_b64 v[33:34], v4 offset:192
	global_load_b64 v[31:32], v[31:32], off
	s_waitcnt vmcnt(0) lgkmcnt(0)
	v_fma_f32 v33, s72, v31, v33
	v_fmac_f32_e32 v34, s73, v31
	s_delay_alu instid0(VALU_DEP_2) | instskip(NEXT) | instid1(VALU_DEP_2)
	v_fma_f32 v33, -s73, v32, v33
	v_fmac_f32_e32 v34, s72, v32
	ds_store_b64 v4, v[33:34] offset:192
	s_branch .LBB144_87
.LBB144_100:                            ;   in Loop: Header=BB144_21 Depth=1
	s_waitcnt_vscnt null, 0x0
	s_barrier
	buffer_gl0_inv
	ds_load_u8 v4, v3 offset:16384
	s_add_u32 s22, s22, s10
	s_addc_u32 s23, s23, 0
	s_mov_b32 s17, 0
	s_waitcnt lgkmcnt(0)
	v_cmp_eq_u32_e32 vcc_lo, 0, v4
	s_cbranch_vccnz .LBB144_107
; %bb.101:                              ;   in Loop: Header=BB144_21 Depth=1
	s_lshl_b64 s[24:25], s[56:57], 3
	s_mul_i32 s17, s56, s37
	s_mul_hi_u32 s26, s56, s36
	s_add_u32 s24, s18, s24
	s_addc_u32 s25, s19, s25
	s_add_i32 s17, s26, s17
	s_mul_i32 s26, s57, s36
	v_dual_mov_b32 v25, s23 :: v_dual_mov_b32 v24, s22
	s_add_i32 s27, s17, s26
	s_mul_i32 s26, s56, s36
	s_delay_alu instid0(SALU_CYCLE_1)
	s_lshl_b64 s[26:27], s[26:27], 3
	global_store_b64 v3, v[24:25], s[24:25]
	v_add_co_u32 v4, vcc_lo, v46, s26
	v_add_co_ci_u32_e32 v21, vcc_lo, s27, v47, vcc_lo
	v_add_co_u32 v22, vcc_lo, v2, s26
	v_add_co_ci_u32_e32 v23, vcc_lo, s27, v48, vcc_lo
	s_and_saveexec_b32 s17, s75
	s_cbranch_execnz .LBB144_114
; %bb.102:                              ;   in Loop: Header=BB144_21 Depth=1
	s_or_b32 exec_lo, exec_lo, s17
	s_and_saveexec_b32 s17, s76
	s_cbranch_execnz .LBB144_115
.LBB144_103:                            ;   in Loop: Header=BB144_21 Depth=1
	s_or_b32 exec_lo, exec_lo, s17
	s_and_saveexec_b32 s17, s77
	s_cbranch_execnz .LBB144_116
.LBB144_104:                            ;   in Loop: Header=BB144_21 Depth=1
	s_or_b32 exec_lo, exec_lo, s17
	s_and_saveexec_b32 s17, s78
	s_cbranch_execz .LBB144_106
.LBB144_105:                            ;   in Loop: Header=BB144_21 Depth=1
	v_lshlrev_b32_e32 v28, 3, v1
	v_lshlrev_b64 v[24:25], 3, v[11:12]
	ds_load_b64 v[26:27], v49 offset:192
	v_add_co_u32 v22, vcc_lo, v22, v28
	v_add_co_ci_u32_e32 v23, vcc_lo, 0, v23, vcc_lo
	v_add_co_u32 v4, vcc_lo, v4, v24
	v_add_co_ci_u32_e32 v21, vcc_lo, v21, v25, vcc_lo
	s_delay_alu instid0(VALU_DEP_4) | instskip(NEXT) | instid1(VALU_DEP_4)
	v_add_co_u32 v24, vcc_lo, 0xc0, v22
	v_add_co_ci_u32_e32 v22, vcc_lo, 0, v23, vcc_lo
	s_delay_alu instid0(VALU_DEP_1) | instskip(NEXT) | instid1(VALU_DEP_3)
	v_cndmask_b32_e64 v22, v21, v22, s1
	v_cndmask_b32_e64 v21, v4, v24, s1
	s_waitcnt lgkmcnt(0)
	global_store_b64 v[21:22], v[26:27], off
.LBB144_106:                            ;   in Loop: Header=BB144_21 Depth=1
	s_or_b32 exec_lo, exec_lo, s17
	s_mov_b32 s17, 1
.LBB144_107:                            ;   in Loop: Header=BB144_21 Depth=1
	ds_load_u8 v4, v3 offset:16385
	s_mov_b32 s26, -1
                                        ; implicit-def: $sgpr24_sgpr25
	s_waitcnt lgkmcnt(0)
	v_and_b32_e32 v4, 1, v4
	s_delay_alu instid0(VALU_DEP_1)
	v_cmp_eq_u32_e32 vcc_lo, 1, v4
	s_cbranch_vccnz .LBB144_109
; %bb.108:                              ;   in Loop: Header=BB144_21 Depth=1
	s_add_u32 s24, s17, s56
	s_mov_b32 s26, 0
	s_addc_u32 s25, 0, s57
.LBB144_109:                            ;   in Loop: Header=BB144_21 Depth=1
	s_and_not1_b32 vcc_lo, exec_lo, s26
	s_cbranch_vccnz .LBB144_20
; %bb.110:                              ;   in Loop: Header=BB144_21 Depth=1
	s_add_i32 s17, s17, 1
	v_lshlrev_b32_e32 v24, 3, v1
	s_add_u32 s24, s56, s17
	s_addc_u32 s25, s57, 0
	s_add_u32 s17, s24, -1
	s_addc_u32 s40, s25, -1
	s_add_u32 s22, s22, 1
	s_addc_u32 s23, s23, 0
	s_lshl_b64 s[26:27], s[24:25], 3
	s_mul_i32 s41, s17, s37
	s_mul_hi_u32 s56, s17, s36
	s_add_u32 s26, s81, s26
	s_addc_u32 s27, s82, s27
	s_add_i32 s41, s56, s41
	s_mul_i32 s40, s40, s36
	v_dual_mov_b32 v26, s23 :: v_dual_mov_b32 v25, s22
	s_add_i32 s41, s41, s40
	s_mul_i32 s40, s17, s36
	s_delay_alu instid0(SALU_CYCLE_1)
	s_lshl_b64 s[22:23], s[40:41], 3
	global_store_b64 v3, v[25:26], s[26:27]
	v_add_co_u32 v4, vcc_lo, v46, s22
	v_add_co_ci_u32_e32 v21, vcc_lo, s23, v47, vcc_lo
	v_add_co_u32 v22, vcc_lo, v2, s22
	v_add_co_ci_u32_e32 v23, vcc_lo, s23, v48, vcc_lo
	s_and_saveexec_b32 s17, s75
	s_cbranch_execnz .LBB144_117
; %bb.111:                              ;   in Loop: Header=BB144_21 Depth=1
	s_or_b32 exec_lo, exec_lo, s17
	s_and_saveexec_b32 s17, s76
	s_cbranch_execnz .LBB144_118
.LBB144_112:                            ;   in Loop: Header=BB144_21 Depth=1
	s_or_b32 exec_lo, exec_lo, s17
	s_and_saveexec_b32 s17, s77
	s_cbranch_execnz .LBB144_119
.LBB144_113:                            ;   in Loop: Header=BB144_21 Depth=1
	s_or_b32 exec_lo, exec_lo, s17
	s_and_saveexec_b32 s17, s78
	s_cbranch_execz .LBB144_19
	s_branch .LBB144_120
.LBB144_114:                            ;   in Loop: Header=BB144_21 Depth=1
	v_lshlrev_b32_e32 v28, 3, v1
	ds_load_b64 v[24:25], v49
	v_lshlrev_b64 v[26:27], 3, v[5:6]
	v_add_co_u32 v28, vcc_lo, v22, v28
	v_add_co_ci_u32_e32 v29, vcc_lo, 0, v23, vcc_lo
	s_delay_alu instid0(VALU_DEP_3) | instskip(NEXT) | instid1(VALU_DEP_4)
	v_add_co_u32 v26, vcc_lo, v4, v26
	v_add_co_ci_u32_e32 v27, vcc_lo, v21, v27, vcc_lo
	s_delay_alu instid0(VALU_DEP_2) | instskip(NEXT) | instid1(VALU_DEP_2)
	v_cndmask_b32_e64 v26, v26, v28, s1
	v_cndmask_b32_e64 v27, v27, v29, s1
	s_waitcnt lgkmcnt(0)
	global_store_b64 v[26:27], v[24:25], off
	s_or_b32 exec_lo, exec_lo, s17
	s_and_saveexec_b32 s17, s76
	s_cbranch_execz .LBB144_103
.LBB144_115:                            ;   in Loop: Header=BB144_21 Depth=1
	v_lshlrev_b32_e32 v28, 3, v1
	v_lshlrev_b64 v[24:25], 3, v[7:8]
	ds_load_b64 v[26:27], v49 offset:64
	v_add_co_u32 v28, vcc_lo, v22, v28
	v_add_co_ci_u32_e32 v29, vcc_lo, 0, v23, vcc_lo
	v_add_co_u32 v24, vcc_lo, v4, v24
	v_add_co_ci_u32_e32 v25, vcc_lo, v21, v25, vcc_lo
	s_delay_alu instid0(VALU_DEP_4) | instskip(NEXT) | instid1(VALU_DEP_4)
	v_add_co_u32 v28, vcc_lo, v28, 64
	v_add_co_ci_u32_e32 v29, vcc_lo, 0, v29, vcc_lo
	s_delay_alu instid0(VALU_DEP_2) | instskip(NEXT) | instid1(VALU_DEP_2)
	v_cndmask_b32_e64 v24, v24, v28, s1
	v_cndmask_b32_e64 v25, v25, v29, s1
	s_waitcnt lgkmcnt(0)
	global_store_b64 v[24:25], v[26:27], off
	s_or_b32 exec_lo, exec_lo, s17
	s_and_saveexec_b32 s17, s77
	s_cbranch_execz .LBB144_104
.LBB144_116:                            ;   in Loop: Header=BB144_21 Depth=1
	v_lshlrev_b32_e32 v28, 3, v1
	v_lshlrev_b64 v[24:25], 3, v[9:10]
	ds_load_b64 v[26:27], v49 offset:128
	v_add_co_u32 v28, vcc_lo, v22, v28
	v_add_co_ci_u32_e32 v29, vcc_lo, 0, v23, vcc_lo
	v_add_co_u32 v24, vcc_lo, v4, v24
	v_add_co_ci_u32_e32 v25, vcc_lo, v21, v25, vcc_lo
	s_delay_alu instid0(VALU_DEP_4) | instskip(NEXT) | instid1(VALU_DEP_4)
	v_add_co_u32 v28, vcc_lo, 0x80, v28
	v_add_co_ci_u32_e32 v29, vcc_lo, 0, v29, vcc_lo
	s_delay_alu instid0(VALU_DEP_2) | instskip(NEXT) | instid1(VALU_DEP_2)
	v_cndmask_b32_e64 v24, v24, v28, s1
	v_cndmask_b32_e64 v25, v25, v29, s1
	s_waitcnt lgkmcnt(0)
	global_store_b64 v[24:25], v[26:27], off
	s_or_b32 exec_lo, exec_lo, s17
	s_and_saveexec_b32 s17, s78
	s_cbranch_execnz .LBB144_105
	s_branch .LBB144_106
.LBB144_117:                            ;   in Loop: Header=BB144_21 Depth=1
	ds_load_b64 v[25:26], v49 offset:8192
	v_lshlrev_b64 v[27:28], 3, v[5:6]
	v_add_co_u32 v29, vcc_lo, v22, v24
	v_add_co_ci_u32_e32 v30, vcc_lo, 0, v23, vcc_lo
	s_delay_alu instid0(VALU_DEP_3) | instskip(NEXT) | instid1(VALU_DEP_4)
	v_add_co_u32 v27, vcc_lo, v4, v27
	v_add_co_ci_u32_e32 v28, vcc_lo, v21, v28, vcc_lo
	s_delay_alu instid0(VALU_DEP_2) | instskip(NEXT) | instid1(VALU_DEP_2)
	v_cndmask_b32_e64 v27, v27, v29, s1
	v_cndmask_b32_e64 v28, v28, v30, s1
	s_waitcnt lgkmcnt(0)
	global_store_b64 v[27:28], v[25:26], off
	s_or_b32 exec_lo, exec_lo, s17
	s_and_saveexec_b32 s17, s76
	s_cbranch_execz .LBB144_112
.LBB144_118:                            ;   in Loop: Header=BB144_21 Depth=1
	v_add_co_u32 v29, vcc_lo, v22, v24
	ds_load_b64 v[25:26], v50 offset:8192
	v_add_co_ci_u32_e32 v30, vcc_lo, 0, v23, vcc_lo
	v_lshlrev_b64 v[27:28], 3, v[7:8]
	v_add_co_u32 v29, vcc_lo, v29, 64
	s_delay_alu instid0(VALU_DEP_3) | instskip(NEXT) | instid1(VALU_DEP_3)
	v_add_co_ci_u32_e32 v30, vcc_lo, 0, v30, vcc_lo
	v_add_co_u32 v27, vcc_lo, v4, v27
	s_delay_alu instid0(VALU_DEP_4) | instskip(NEXT) | instid1(VALU_DEP_2)
	v_add_co_ci_u32_e32 v28, vcc_lo, v21, v28, vcc_lo
	v_cndmask_b32_e64 v27, v27, v29, s1
	s_delay_alu instid0(VALU_DEP_2)
	v_cndmask_b32_e64 v28, v28, v30, s1
	s_waitcnt lgkmcnt(0)
	global_store_b64 v[27:28], v[25:26], off
	s_or_b32 exec_lo, exec_lo, s17
	s_and_saveexec_b32 s17, s77
	s_cbranch_execz .LBB144_113
.LBB144_119:                            ;   in Loop: Header=BB144_21 Depth=1
	v_add_co_u32 v29, vcc_lo, v22, v24
	ds_load_b64 v[25:26], v51 offset:8192
	v_add_co_ci_u32_e32 v30, vcc_lo, 0, v23, vcc_lo
	v_lshlrev_b64 v[27:28], 3, v[9:10]
	v_add_co_u32 v29, vcc_lo, 0x80, v29
	s_delay_alu instid0(VALU_DEP_3) | instskip(NEXT) | instid1(VALU_DEP_3)
	v_add_co_ci_u32_e32 v30, vcc_lo, 0, v30, vcc_lo
	v_add_co_u32 v27, vcc_lo, v4, v27
	s_delay_alu instid0(VALU_DEP_4) | instskip(NEXT) | instid1(VALU_DEP_2)
	v_add_co_ci_u32_e32 v28, vcc_lo, v21, v28, vcc_lo
	v_cndmask_b32_e64 v27, v27, v29, s1
	s_delay_alu instid0(VALU_DEP_2)
	v_cndmask_b32_e64 v28, v28, v30, s1
	s_waitcnt lgkmcnt(0)
	global_store_b64 v[27:28], v[25:26], off
	s_or_b32 exec_lo, exec_lo, s17
	s_and_saveexec_b32 s17, s78
	s_cbranch_execz .LBB144_19
.LBB144_120:                            ;   in Loop: Header=BB144_21 Depth=1
	v_add_co_u32 v26, vcc_lo, v22, v24
	v_add_co_ci_u32_e32 v27, vcc_lo, 0, v23, vcc_lo
	ds_load_b64 v[22:23], v52 offset:8192
	v_lshlrev_b64 v[24:25], 3, v[11:12]
	v_add_co_u32 v26, vcc_lo, 0xc0, v26
	v_add_co_ci_u32_e32 v27, vcc_lo, 0, v27, vcc_lo
	s_delay_alu instid0(VALU_DEP_3) | instskip(NEXT) | instid1(VALU_DEP_4)
	v_add_co_u32 v4, vcc_lo, v4, v24
	v_add_co_ci_u32_e32 v21, vcc_lo, v21, v25, vcc_lo
	s_delay_alu instid0(VALU_DEP_2) | instskip(NEXT) | instid1(VALU_DEP_2)
	v_cndmask_b32_e64 v24, v4, v26, s1
	v_cndmask_b32_e64 v25, v21, v27, s1
	s_waitcnt lgkmcnt(0)
	global_store_b64 v[24:25], v[22:23], off
	s_branch .LBB144_19
.LBB144_121:
	s_endpgm
	.section	.rodata,"a",@progbits
	.p2align	6, 0x0
	.amdhsa_kernel _ZN9rocsparseL31bsrgemm_block_per_row_multipassILj256ELj2ELj32Ell21rocsparse_complex_numIfEEEv20rocsparse_direction_T3_S4_PKS4_S6_NS_24const_host_device_scalarIT4_EEPKT2_S6_PKS8_SC_S6_SE_S9_SC_S6_SE_SC_PS4_PS8_PSA_21rocsparse_index_base_SI_SI_SI_bbb
		.amdhsa_group_segment_fixed_size 16388
		.amdhsa_private_segment_fixed_size 0
		.amdhsa_kernarg_size 180
		.amdhsa_user_sgpr_count 15
		.amdhsa_user_sgpr_dispatch_ptr 0
		.amdhsa_user_sgpr_queue_ptr 0
		.amdhsa_user_sgpr_kernarg_segment_ptr 1
		.amdhsa_user_sgpr_dispatch_id 0
		.amdhsa_user_sgpr_private_segment_size 0
		.amdhsa_wavefront_size32 1
		.amdhsa_uses_dynamic_stack 0
		.amdhsa_enable_private_segment 0
		.amdhsa_system_sgpr_workgroup_id_x 1
		.amdhsa_system_sgpr_workgroup_id_y 0
		.amdhsa_system_sgpr_workgroup_id_z 0
		.amdhsa_system_sgpr_workgroup_info 0
		.amdhsa_system_vgpr_workitem_id 0
		.amdhsa_next_free_vgpr 72
		.amdhsa_next_free_sgpr 89
		.amdhsa_reserve_vcc 1
		.amdhsa_float_round_mode_32 0
		.amdhsa_float_round_mode_16_64 0
		.amdhsa_float_denorm_mode_32 3
		.amdhsa_float_denorm_mode_16_64 3
		.amdhsa_dx10_clamp 1
		.amdhsa_ieee_mode 1
		.amdhsa_fp16_overflow 0
		.amdhsa_workgroup_processor_mode 1
		.amdhsa_memory_ordered 1
		.amdhsa_forward_progress 0
		.amdhsa_shared_vgpr_count 0
		.amdhsa_exception_fp_ieee_invalid_op 0
		.amdhsa_exception_fp_denorm_src 0
		.amdhsa_exception_fp_ieee_div_zero 0
		.amdhsa_exception_fp_ieee_overflow 0
		.amdhsa_exception_fp_ieee_underflow 0
		.amdhsa_exception_fp_ieee_inexact 0
		.amdhsa_exception_int_div_zero 0
	.end_amdhsa_kernel
	.section	.text._ZN9rocsparseL31bsrgemm_block_per_row_multipassILj256ELj2ELj32Ell21rocsparse_complex_numIfEEEv20rocsparse_direction_T3_S4_PKS4_S6_NS_24const_host_device_scalarIT4_EEPKT2_S6_PKS8_SC_S6_SE_S9_SC_S6_SE_SC_PS4_PS8_PSA_21rocsparse_index_base_SI_SI_SI_bbb,"axG",@progbits,_ZN9rocsparseL31bsrgemm_block_per_row_multipassILj256ELj2ELj32Ell21rocsparse_complex_numIfEEEv20rocsparse_direction_T3_S4_PKS4_S6_NS_24const_host_device_scalarIT4_EEPKT2_S6_PKS8_SC_S6_SE_S9_SC_S6_SE_SC_PS4_PS8_PSA_21rocsparse_index_base_SI_SI_SI_bbb,comdat
.Lfunc_end144:
	.size	_ZN9rocsparseL31bsrgemm_block_per_row_multipassILj256ELj2ELj32Ell21rocsparse_complex_numIfEEEv20rocsparse_direction_T3_S4_PKS4_S6_NS_24const_host_device_scalarIT4_EEPKT2_S6_PKS8_SC_S6_SE_S9_SC_S6_SE_SC_PS4_PS8_PSA_21rocsparse_index_base_SI_SI_SI_bbb, .Lfunc_end144-_ZN9rocsparseL31bsrgemm_block_per_row_multipassILj256ELj2ELj32Ell21rocsparse_complex_numIfEEEv20rocsparse_direction_T3_S4_PKS4_S6_NS_24const_host_device_scalarIT4_EEPKT2_S6_PKS8_SC_S6_SE_S9_SC_S6_SE_SC_PS4_PS8_PSA_21rocsparse_index_base_SI_SI_SI_bbb
                                        ; -- End function
	.section	.AMDGPU.csdata,"",@progbits
; Kernel info:
; codeLenInByte = 6180
; NumSgprs: 91
; NumVgprs: 72
; ScratchSize: 0
; MemoryBound: 1
; FloatMode: 240
; IeeeMode: 1
; LDSByteSize: 16388 bytes/workgroup (compile time only)
; SGPRBlocks: 11
; VGPRBlocks: 8
; NumSGPRsForWavesPerEU: 91
; NumVGPRsForWavesPerEU: 72
; Occupancy: 14
; WaveLimiterHint : 1
; COMPUTE_PGM_RSRC2:SCRATCH_EN: 0
; COMPUTE_PGM_RSRC2:USER_SGPR: 15
; COMPUTE_PGM_RSRC2:TRAP_HANDLER: 0
; COMPUTE_PGM_RSRC2:TGID_X_EN: 1
; COMPUTE_PGM_RSRC2:TGID_Y_EN: 0
; COMPUTE_PGM_RSRC2:TGID_Z_EN: 0
; COMPUTE_PGM_RSRC2:TIDIG_COMP_CNT: 0
	.section	.text._ZN9rocsparseL26bsrgemm_group_reduce_part2ILj256ELj8ELj2E21rocsparse_complex_numIdEllEEvT4_PKT3_PS3_Pi,"axG",@progbits,_ZN9rocsparseL26bsrgemm_group_reduce_part2ILj256ELj8ELj2E21rocsparse_complex_numIdEllEEvT4_PKT3_PS3_Pi,comdat
	.globl	_ZN9rocsparseL26bsrgemm_group_reduce_part2ILj256ELj8ELj2E21rocsparse_complex_numIdEllEEvT4_PKT3_PS3_Pi ; -- Begin function _ZN9rocsparseL26bsrgemm_group_reduce_part2ILj256ELj8ELj2E21rocsparse_complex_numIdEllEEvT4_PKT3_PS3_Pi
	.p2align	8
	.type	_ZN9rocsparseL26bsrgemm_group_reduce_part2ILj256ELj8ELj2E21rocsparse_complex_numIdEllEEvT4_PKT3_PS3_Pi,@function
_ZN9rocsparseL26bsrgemm_group_reduce_part2ILj256ELj8ELj2E21rocsparse_complex_numIdEllEEvT4_PKT3_PS3_Pi: ; @_ZN9rocsparseL26bsrgemm_group_reduce_part2ILj256ELj8ELj2E21rocsparse_complex_numIdEllEEvT4_PKT3_PS3_Pi
; %bb.0:
	s_clause 0x1
	s_load_b64 s[8:9], s[0:1], 0x0
	s_load_b64 s[2:3], s[0:1], 0x10
	s_mov_b32 s5, 0
	v_lshl_or_b32 v1, s15, 8, v0
	s_mov_b32 s4, s5
	s_mov_b32 s6, s5
	;; [unrolled: 1-line block ×3, first 2 shown]
	v_dual_mov_b32 v3, s4 :: v_dual_mov_b32 v4, s5
	v_dual_mov_b32 v2, 0 :: v_dual_lshlrev_b32 v11, 6, v0
	v_dual_mov_b32 v5, s6 :: v_dual_mov_b32 v6, s7
	s_mov_b32 s12, exec_lo
	ds_store_b128 v11, v[3:6]
	ds_store_b128 v11, v[3:6] offset:16
	ds_store_b128 v11, v[3:6] offset:32
	;; [unrolled: 1-line block ×3, first 2 shown]
	s_waitcnt lgkmcnt(0)
	buffer_gl0_inv
	v_cmpx_gt_i64_e64 s[8:9], v[1:2]
	s_cbranch_execz .LBB145_27
; %bb.1:
	s_clause 0x2
	s_load_b32 s4, s[0:1], 0x20
	s_load_b64 s[6:7], s[0:1], 0x18
	s_load_b64 s[0:1], s[0:1], 0x8
	v_lshlrev_b64 v[3:4], 2, v[1:2]
	v_lshlrev_b64 v[5:6], 3, v[1:2]
	v_dual_mov_b32 v12, 7 :: v_dual_mov_b32 v13, 5
	v_dual_mov_b32 v14, 4 :: v_dual_mov_b32 v15, 3
	;; [unrolled: 1-line block ×4, first 2 shown]
	s_waitcnt lgkmcnt(0)
	s_lshl_b32 s4, s4, 8
	v_add_co_u32 v3, vcc_lo, s6, v3
	v_add_co_ci_u32_e32 v4, vcc_lo, s7, v4, vcc_lo
	v_add_co_u32 v5, vcc_lo, s0, v5
	v_add_co_ci_u32_e32 v6, vcc_lo, s1, v6, vcc_lo
	s_lshl_b64 s[6:7], s[4:5], 2
	s_lshl_b64 s[10:11], s[4:5], 3
	s_branch .LBB145_3
.LBB145_2:                              ;   in Loop: Header=BB145_3 Depth=1
	s_or_b32 exec_lo, exec_lo, s0
	v_add_co_u32 v7, vcc_lo, v7, s4
	v_add_co_ci_u32_e32 v8, vcc_lo, 0, v8, vcc_lo
	v_add_co_u32 v3, vcc_lo, v3, s6
	v_add_co_ci_u32_e32 v4, vcc_lo, s7, v4, vcc_lo
	s_delay_alu instid0(VALU_DEP_3) | instskip(SKIP_1) | instid1(VALU_DEP_1)
	v_cmp_le_i64_e32 vcc_lo, s[8:9], v[7:8]
	v_add_co_u32 v5, s0, v5, s10
	v_add_co_ci_u32_e64 v6, s0, s11, v6, s0
	s_or_b32 s5, vcc_lo, s5
	s_delay_alu instid0(SALU_CYCLE_1)
	s_and_not1_b32 exec_lo, exec_lo, s5
	s_cbranch_execz .LBB145_27
.LBB145_3:                              ; =>This Inner Loop Header: Depth=1
	global_load_b128 v[18:21], v[5:6], off
	s_mov_b32 s0, exec_lo
	s_waitcnt vmcnt(0)
	v_sub_co_u32 v9, vcc_lo, v20, v18
	v_sub_co_ci_u32_e32 v10, vcc_lo, v21, v19, vcc_lo
	s_delay_alu instid0(VALU_DEP_1)
	v_cmpx_lt_i64_e32 8, v[9:10]
	s_xor_b32 s0, exec_lo, s0
	s_cbranch_execz .LBB145_25
; %bb.4:                                ;   in Loop: Header=BB145_3 Depth=1
	s_mov_b32 s1, exec_lo
	v_cmpx_lt_u64_e32 16, v[9:10]
	s_xor_b32 s1, exec_lo, s1
	s_cbranch_execz .LBB145_22
; %bb.5:                                ;   in Loop: Header=BB145_3 Depth=1
	s_mov_b32 s13, exec_lo
	v_cmpx_lt_u64_e32 32, v[9:10]
	;; [unrolled: 5-line block ×5, first 2 shown]
	s_xor_b32 s17, exec_lo, s17
	s_cbranch_execz .LBB145_10
; %bb.9:                                ;   in Loop: Header=BB145_3 Depth=1
	ds_load_b64 v[9:10], v11 offset:56
	global_store_b32 v[3:4], v12, off
	s_waitcnt lgkmcnt(0)
	v_add_co_u32 v9, vcc_lo, v9, 1
	v_add_co_ci_u32_e32 v10, vcc_lo, 0, v10, vcc_lo
	ds_store_b64 v11, v[9:10] offset:56
.LBB145_10:                             ;   in Loop: Header=BB145_3 Depth=1
	s_and_not1_saveexec_b32 s17, s17
	s_cbranch_execz .LBB145_12
; %bb.11:                               ;   in Loop: Header=BB145_3 Depth=1
	ds_load_b64 v[9:10], v11 offset:40
	global_store_b32 v[3:4], v13, off
	s_waitcnt lgkmcnt(0)
	v_add_co_u32 v9, vcc_lo, v9, 1
	v_add_co_ci_u32_e32 v10, vcc_lo, 0, v10, vcc_lo
	ds_store_b64 v11, v[9:10] offset:40
.LBB145_12:                             ;   in Loop: Header=BB145_3 Depth=1
	s_or_b32 exec_lo, exec_lo, s17
.LBB145_13:                             ;   in Loop: Header=BB145_3 Depth=1
	s_and_not1_saveexec_b32 s16, s16
	s_cbranch_execz .LBB145_15
; %bb.14:                               ;   in Loop: Header=BB145_3 Depth=1
	ds_load_b64 v[9:10], v11 offset:32
	global_store_b32 v[3:4], v14, off
	s_waitcnt lgkmcnt(0)
	v_add_co_u32 v9, vcc_lo, v9, 1
	v_add_co_ci_u32_e32 v10, vcc_lo, 0, v10, vcc_lo
	ds_store_b64 v11, v[9:10] offset:32
.LBB145_15:                             ;   in Loop: Header=BB145_3 Depth=1
	s_or_b32 exec_lo, exec_lo, s16
.LBB145_16:                             ;   in Loop: Header=BB145_3 Depth=1
	s_and_not1_saveexec_b32 s14, s14
	s_cbranch_execz .LBB145_18
; %bb.17:                               ;   in Loop: Header=BB145_3 Depth=1
	ds_load_b64 v[9:10], v11 offset:24
	global_store_b32 v[3:4], v15, off
	s_waitcnt lgkmcnt(0)
	v_add_co_u32 v9, vcc_lo, v9, 1
	v_add_co_ci_u32_e32 v10, vcc_lo, 0, v10, vcc_lo
	ds_store_b64 v11, v[9:10] offset:24
.LBB145_18:                             ;   in Loop: Header=BB145_3 Depth=1
	s_or_b32 exec_lo, exec_lo, s14
.LBB145_19:                             ;   in Loop: Header=BB145_3 Depth=1
	s_and_not1_saveexec_b32 s13, s13
	s_cbranch_execz .LBB145_21
; %bb.20:                               ;   in Loop: Header=BB145_3 Depth=1
	ds_load_b64 v[9:10], v11 offset:16
	global_store_b32 v[3:4], v16, off
	s_waitcnt lgkmcnt(0)
	v_add_co_u32 v9, vcc_lo, v9, 1
	v_add_co_ci_u32_e32 v10, vcc_lo, 0, v10, vcc_lo
	ds_store_b64 v11, v[9:10] offset:16
.LBB145_21:                             ;   in Loop: Header=BB145_3 Depth=1
	s_or_b32 exec_lo, exec_lo, s13
.LBB145_22:                             ;   in Loop: Header=BB145_3 Depth=1
	s_and_not1_saveexec_b32 s1, s1
	s_cbranch_execz .LBB145_24
; %bb.23:                               ;   in Loop: Header=BB145_3 Depth=1
	ds_load_b64 v[9:10], v11 offset:8
	global_store_b32 v[3:4], v17, off
	s_waitcnt lgkmcnt(0)
	v_add_co_u32 v9, vcc_lo, v9, 1
	v_add_co_ci_u32_e32 v10, vcc_lo, 0, v10, vcc_lo
	ds_store_b64 v11, v[9:10] offset:8
.LBB145_24:                             ;   in Loop: Header=BB145_3 Depth=1
	s_or_b32 exec_lo, exec_lo, s1
.LBB145_25:                             ;   in Loop: Header=BB145_3 Depth=1
	s_and_not1_saveexec_b32 s0, s0
	s_cbranch_execz .LBB145_2
; %bb.26:                               ;   in Loop: Header=BB145_3 Depth=1
	ds_load_b64 v[9:10], v11
	global_store_b32 v[3:4], v2, off
	s_waitcnt lgkmcnt(0)
	v_add_co_u32 v9, vcc_lo, v9, 1
	v_add_co_ci_u32_e32 v10, vcc_lo, 0, v10, vcc_lo
	ds_store_b64 v11, v[9:10]
	s_branch .LBB145_2
.LBB145_27:
	s_or_b32 exec_lo, exec_lo, s12
	s_delay_alu instid0(SALU_CYCLE_1)
	s_mov_b32 s0, exec_lo
	s_waitcnt lgkmcnt(0)
	s_waitcnt_vscnt null, 0x0
	s_barrier
	buffer_gl0_inv
	s_barrier
	buffer_gl0_inv
	;; [unrolled: 2-line block ×3, first 2 shown]
	v_cmpx_gt_u32_e32 0x80, v0
	s_cbranch_execz .LBB145_29
; %bb.28:
	ds_load_b128 v[1:4], v11 offset:8192
	ds_load_b128 v[5:8], v11
	ds_load_b128 v[12:15], v11 offset:16
	ds_load_b128 v[16:19], v11 offset:8208
	ds_load_b128 v[20:23], v11 offset:8224
	ds_load_b128 v[24:27], v11 offset:32
	ds_load_b128 v[28:31], v11 offset:48
	ds_load_b128 v[32:35], v11 offset:8240
	s_waitcnt lgkmcnt(6)
	v_add_co_u32 v1, vcc_lo, v5, v1
	v_add_co_ci_u32_e32 v2, vcc_lo, v6, v2, vcc_lo
	v_add_co_u32 v3, vcc_lo, v7, v3
	v_add_co_ci_u32_e32 v4, vcc_lo, v8, v4, vcc_lo
	s_waitcnt lgkmcnt(4)
	v_add_co_u32 v5, vcc_lo, v12, v16
	v_add_co_ci_u32_e32 v6, vcc_lo, v13, v17, vcc_lo
	v_add_co_u32 v7, vcc_lo, v14, v18
	v_add_co_ci_u32_e32 v8, vcc_lo, v15, v19, vcc_lo
	s_waitcnt lgkmcnt(2)
	v_add_co_u32 v12, vcc_lo, v24, v20
	v_add_co_ci_u32_e32 v13, vcc_lo, v25, v21, vcc_lo
	v_add_co_u32 v14, vcc_lo, v26, v22
	v_add_co_ci_u32_e32 v15, vcc_lo, v27, v23, vcc_lo
	s_waitcnt lgkmcnt(0)
	v_add_co_u32 v16, vcc_lo, v28, v32
	v_add_co_ci_u32_e32 v17, vcc_lo, v29, v33, vcc_lo
	v_add_co_u32 v18, vcc_lo, v30, v34
	v_add_co_ci_u32_e32 v19, vcc_lo, v31, v35, vcc_lo
	ds_store_b128 v11, v[1:4]
	ds_store_b128 v11, v[5:8] offset:16
	ds_store_b128 v11, v[12:15] offset:32
	ds_store_b128 v11, v[16:19] offset:48
.LBB145_29:
	s_or_b32 exec_lo, exec_lo, s0
	s_delay_alu instid0(SALU_CYCLE_1)
	s_mov_b32 s0, exec_lo
	s_waitcnt lgkmcnt(0)
	s_barrier
	buffer_gl0_inv
	v_cmpx_gt_u32_e32 64, v0
	s_cbranch_execz .LBB145_31
; %bb.30:
	ds_load_b128 v[1:4], v11 offset:4096
	ds_load_b128 v[5:8], v11
	ds_load_b128 v[12:15], v11 offset:16
	ds_load_b128 v[16:19], v11 offset:4112
	ds_load_b128 v[20:23], v11 offset:4128
	ds_load_b128 v[24:27], v11 offset:32
	ds_load_b128 v[28:31], v11 offset:48
	ds_load_b128 v[32:35], v11 offset:4144
	s_waitcnt lgkmcnt(6)
	v_add_co_u32 v1, vcc_lo, v5, v1
	v_add_co_ci_u32_e32 v2, vcc_lo, v6, v2, vcc_lo
	v_add_co_u32 v3, vcc_lo, v7, v3
	v_add_co_ci_u32_e32 v4, vcc_lo, v8, v4, vcc_lo
	s_waitcnt lgkmcnt(4)
	v_add_co_u32 v5, vcc_lo, v12, v16
	v_add_co_ci_u32_e32 v6, vcc_lo, v13, v17, vcc_lo
	v_add_co_u32 v7, vcc_lo, v14, v18
	v_add_co_ci_u32_e32 v8, vcc_lo, v15, v19, vcc_lo
	s_waitcnt lgkmcnt(2)
	v_add_co_u32 v12, vcc_lo, v24, v20
	v_add_co_ci_u32_e32 v13, vcc_lo, v25, v21, vcc_lo
	v_add_co_u32 v14, vcc_lo, v26, v22
	v_add_co_ci_u32_e32 v15, vcc_lo, v27, v23, vcc_lo
	s_waitcnt lgkmcnt(0)
	v_add_co_u32 v16, vcc_lo, v28, v32
	v_add_co_ci_u32_e32 v17, vcc_lo, v29, v33, vcc_lo
	v_add_co_u32 v18, vcc_lo, v30, v34
	v_add_co_ci_u32_e32 v19, vcc_lo, v31, v35, vcc_lo
	ds_store_b128 v11, v[1:4]
	ds_store_b128 v11, v[5:8] offset:16
	ds_store_b128 v11, v[12:15] offset:32
	ds_store_b128 v11, v[16:19] offset:48
.LBB145_31:
	s_or_b32 exec_lo, exec_lo, s0
	s_delay_alu instid0(SALU_CYCLE_1)
	s_mov_b32 s0, exec_lo
	s_waitcnt lgkmcnt(0)
	s_barrier
	buffer_gl0_inv
	;; [unrolled: 42-line block ×3, first 2 shown]
	v_cmpx_gt_u32_e32 16, v0
	s_cbranch_execz .LBB145_35
; %bb.34:
	ds_load_b128 v[1:4], v11 offset:1024
	ds_load_b128 v[5:8], v11
	ds_load_b128 v[12:15], v11 offset:16
	ds_load_b128 v[16:19], v11 offset:1040
	;; [unrolled: 1-line block ×6, first 2 shown]
	s_waitcnt lgkmcnt(6)
	v_add_co_u32 v1, vcc_lo, v5, v1
	v_add_co_ci_u32_e32 v2, vcc_lo, v6, v2, vcc_lo
	v_add_co_u32 v3, vcc_lo, v7, v3
	v_add_co_ci_u32_e32 v4, vcc_lo, v8, v4, vcc_lo
	s_waitcnt lgkmcnt(4)
	v_add_co_u32 v5, vcc_lo, v12, v16
	v_add_co_ci_u32_e32 v6, vcc_lo, v13, v17, vcc_lo
	v_add_co_u32 v7, vcc_lo, v14, v18
	v_add_co_ci_u32_e32 v8, vcc_lo, v15, v19, vcc_lo
	;; [unrolled: 5-line block ×4, first 2 shown]
	ds_store_b128 v11, v[1:4]
	ds_store_b128 v11, v[5:8] offset:16
	ds_store_b128 v11, v[12:15] offset:32
	;; [unrolled: 1-line block ×3, first 2 shown]
.LBB145_35:
	s_or_b32 exec_lo, exec_lo, s0
	v_cmp_gt_u32_e32 vcc_lo, 8, v0
	s_waitcnt lgkmcnt(0)
	s_barrier
	buffer_gl0_inv
	s_and_saveexec_b32 s1, vcc_lo
	s_cbranch_execz .LBB145_37
; %bb.36:
	ds_load_b128 v[1:4], v11 offset:512
	ds_load_b128 v[5:8], v11
	ds_load_b128 v[12:15], v11 offset:16
	ds_load_b128 v[16:19], v11 offset:528
	;; [unrolled: 1-line block ×6, first 2 shown]
	s_waitcnt lgkmcnt(6)
	v_add_co_u32 v1, s0, v5, v1
	s_delay_alu instid0(VALU_DEP_1) | instskip(SKIP_1) | instid1(VALU_DEP_1)
	v_add_co_ci_u32_e64 v2, s0, v6, v2, s0
	v_add_co_u32 v3, s0, v7, v3
	v_add_co_ci_u32_e64 v4, s0, v8, v4, s0
	s_waitcnt lgkmcnt(4)
	v_add_co_u32 v5, s0, v12, v16
	s_delay_alu instid0(VALU_DEP_1) | instskip(SKIP_1) | instid1(VALU_DEP_1)
	v_add_co_ci_u32_e64 v6, s0, v13, v17, s0
	v_add_co_u32 v7, s0, v14, v18
	v_add_co_ci_u32_e64 v8, s0, v15, v19, s0
	;; [unrolled: 6-line block ×4, first 2 shown]
	ds_store_b128 v11, v[1:4]
	ds_store_b128 v11, v[5:8] offset:16
	ds_store_b128 v11, v[12:15] offset:32
	;; [unrolled: 1-line block ×3, first 2 shown]
.LBB145_37:
	s_or_b32 exec_lo, exec_lo, s1
	s_delay_alu instid0(SALU_CYCLE_1)
	s_mov_b32 s1, exec_lo
	s_waitcnt lgkmcnt(0)
	s_barrier
	buffer_gl0_inv
	v_cmpx_gt_u32_e32 4, v0
	s_cbranch_execz .LBB145_39
; %bb.38:
	ds_load_b128 v[1:4], v11 offset:256
	ds_load_b128 v[5:8], v11
	ds_load_b128 v[12:15], v11 offset:16
	ds_load_b128 v[16:19], v11 offset:272
	;; [unrolled: 1-line block ×6, first 2 shown]
	s_waitcnt lgkmcnt(6)
	v_add_co_u32 v1, s0, v5, v1
	s_delay_alu instid0(VALU_DEP_1) | instskip(SKIP_1) | instid1(VALU_DEP_1)
	v_add_co_ci_u32_e64 v2, s0, v6, v2, s0
	v_add_co_u32 v3, s0, v7, v3
	v_add_co_ci_u32_e64 v4, s0, v8, v4, s0
	s_waitcnt lgkmcnt(4)
	v_add_co_u32 v5, s0, v12, v16
	s_delay_alu instid0(VALU_DEP_1) | instskip(SKIP_1) | instid1(VALU_DEP_1)
	v_add_co_ci_u32_e64 v6, s0, v13, v17, s0
	v_add_co_u32 v7, s0, v14, v18
	v_add_co_ci_u32_e64 v8, s0, v15, v19, s0
	;; [unrolled: 6-line block ×4, first 2 shown]
	ds_store_b128 v11, v[1:4]
	ds_store_b128 v11, v[5:8] offset:16
	ds_store_b128 v11, v[12:15] offset:32
	;; [unrolled: 1-line block ×3, first 2 shown]
.LBB145_39:
	s_or_b32 exec_lo, exec_lo, s1
	s_delay_alu instid0(SALU_CYCLE_1)
	s_mov_b32 s1, exec_lo
	s_waitcnt lgkmcnt(0)
	s_barrier
	buffer_gl0_inv
	v_cmpx_gt_u32_e32 2, v0
	s_cbranch_execz .LBB145_41
; %bb.40:
	ds_load_b128 v[1:4], v11 offset:128
	ds_load_b128 v[5:8], v11
	ds_load_b128 v[12:15], v11 offset:16
	ds_load_b128 v[16:19], v11 offset:144
	;; [unrolled: 1-line block ×6, first 2 shown]
	s_waitcnt lgkmcnt(6)
	v_add_co_u32 v1, s0, v5, v1
	s_delay_alu instid0(VALU_DEP_1) | instskip(SKIP_1) | instid1(VALU_DEP_1)
	v_add_co_ci_u32_e64 v2, s0, v6, v2, s0
	v_add_co_u32 v3, s0, v7, v3
	v_add_co_ci_u32_e64 v4, s0, v8, v4, s0
	s_waitcnt lgkmcnt(4)
	v_add_co_u32 v5, s0, v12, v16
	s_delay_alu instid0(VALU_DEP_1) | instskip(SKIP_1) | instid1(VALU_DEP_1)
	v_add_co_ci_u32_e64 v6, s0, v13, v17, s0
	v_add_co_u32 v7, s0, v14, v18
	v_add_co_ci_u32_e64 v8, s0, v15, v19, s0
	;; [unrolled: 6-line block ×4, first 2 shown]
	ds_store_b128 v11, v[1:4]
	ds_store_b128 v11, v[5:8] offset:16
	ds_store_b128 v11, v[12:15] offset:32
	;; [unrolled: 1-line block ×3, first 2 shown]
.LBB145_41:
	s_or_b32 exec_lo, exec_lo, s1
	s_delay_alu instid0(SALU_CYCLE_1)
	s_mov_b32 s1, exec_lo
	s_waitcnt lgkmcnt(0)
	s_barrier
	buffer_gl0_inv
	v_cmpx_eq_u32_e32 0, v0
	s_cbranch_execz .LBB145_43
; %bb.42:
	v_mov_b32_e32 v33, 0
	ds_load_b128 v[1:4], v33 offset:64
	ds_load_b128 v[5:8], v33
	ds_load_b128 v[9:12], v33 offset:16
	ds_load_b128 v[13:16], v33 offset:80
	;; [unrolled: 1-line block ×6, first 2 shown]
	s_waitcnt lgkmcnt(6)
	v_add_co_u32 v1, s0, v5, v1
	s_delay_alu instid0(VALU_DEP_1) | instskip(SKIP_1) | instid1(VALU_DEP_1)
	v_add_co_ci_u32_e64 v2, s0, v6, v2, s0
	v_add_co_u32 v3, s0, v7, v3
	v_add_co_ci_u32_e64 v4, s0, v8, v4, s0
	s_waitcnt lgkmcnt(4)
	v_add_co_u32 v5, s0, v9, v13
	s_delay_alu instid0(VALU_DEP_1) | instskip(SKIP_1) | instid1(VALU_DEP_1)
	v_add_co_ci_u32_e64 v6, s0, v10, v14, s0
	v_add_co_u32 v7, s0, v11, v15
	v_add_co_ci_u32_e64 v8, s0, v12, v16, s0
	;; [unrolled: 6-line block ×4, first 2 shown]
	ds_store_b128 v33, v[1:4]
	ds_store_b128 v33, v[5:8] offset:16
	ds_store_b128 v33, v[9:12] offset:32
	;; [unrolled: 1-line block ×3, first 2 shown]
.LBB145_43:
	s_or_b32 exec_lo, exec_lo, s1
	s_waitcnt lgkmcnt(0)
	s_barrier
	buffer_gl0_inv
	s_and_saveexec_b32 s0, vcc_lo
	s_cbranch_execz .LBB145_45
; %bb.44:
	v_dual_mov_b32 v4, 0 :: v_dual_lshlrev_b32 v1, 3, v0
	v_lshl_or_b32 v3, s15, 3, v0
	ds_load_b64 v[1:2], v1
	v_lshlrev_b64 v[3:4], 3, v[3:4]
	s_delay_alu instid0(VALU_DEP_1) | instskip(NEXT) | instid1(VALU_DEP_2)
	v_add_co_u32 v3, vcc_lo, s2, v3
	v_add_co_ci_u32_e32 v4, vcc_lo, s3, v4, vcc_lo
	s_waitcnt lgkmcnt(0)
	global_store_b64 v[3:4], v[1:2], off
.LBB145_45:
	s_nop 0
	s_sendmsg sendmsg(MSG_DEALLOC_VGPRS)
	s_endpgm
	.section	.rodata,"a",@progbits
	.p2align	6, 0x0
	.amdhsa_kernel _ZN9rocsparseL26bsrgemm_group_reduce_part2ILj256ELj8ELj2E21rocsparse_complex_numIdEllEEvT4_PKT3_PS3_Pi
		.amdhsa_group_segment_fixed_size 16384
		.amdhsa_private_segment_fixed_size 0
		.amdhsa_kernarg_size 288
		.amdhsa_user_sgpr_count 15
		.amdhsa_user_sgpr_dispatch_ptr 0
		.amdhsa_user_sgpr_queue_ptr 0
		.amdhsa_user_sgpr_kernarg_segment_ptr 1
		.amdhsa_user_sgpr_dispatch_id 0
		.amdhsa_user_sgpr_private_segment_size 0
		.amdhsa_wavefront_size32 1
		.amdhsa_uses_dynamic_stack 0
		.amdhsa_enable_private_segment 0
		.amdhsa_system_sgpr_workgroup_id_x 1
		.amdhsa_system_sgpr_workgroup_id_y 0
		.amdhsa_system_sgpr_workgroup_id_z 0
		.amdhsa_system_sgpr_workgroup_info 0
		.amdhsa_system_vgpr_workitem_id 0
		.amdhsa_next_free_vgpr 36
		.amdhsa_next_free_sgpr 18
		.amdhsa_reserve_vcc 1
		.amdhsa_float_round_mode_32 0
		.amdhsa_float_round_mode_16_64 0
		.amdhsa_float_denorm_mode_32 3
		.amdhsa_float_denorm_mode_16_64 3
		.amdhsa_dx10_clamp 1
		.amdhsa_ieee_mode 1
		.amdhsa_fp16_overflow 0
		.amdhsa_workgroup_processor_mode 1
		.amdhsa_memory_ordered 1
		.amdhsa_forward_progress 0
		.amdhsa_shared_vgpr_count 0
		.amdhsa_exception_fp_ieee_invalid_op 0
		.amdhsa_exception_fp_denorm_src 0
		.amdhsa_exception_fp_ieee_div_zero 0
		.amdhsa_exception_fp_ieee_overflow 0
		.amdhsa_exception_fp_ieee_underflow 0
		.amdhsa_exception_fp_ieee_inexact 0
		.amdhsa_exception_int_div_zero 0
	.end_amdhsa_kernel
	.section	.text._ZN9rocsparseL26bsrgemm_group_reduce_part2ILj256ELj8ELj2E21rocsparse_complex_numIdEllEEvT4_PKT3_PS3_Pi,"axG",@progbits,_ZN9rocsparseL26bsrgemm_group_reduce_part2ILj256ELj8ELj2E21rocsparse_complex_numIdEllEEvT4_PKT3_PS3_Pi,comdat
.Lfunc_end145:
	.size	_ZN9rocsparseL26bsrgemm_group_reduce_part2ILj256ELj8ELj2E21rocsparse_complex_numIdEllEEvT4_PKT3_PS3_Pi, .Lfunc_end145-_ZN9rocsparseL26bsrgemm_group_reduce_part2ILj256ELj8ELj2E21rocsparse_complex_numIdEllEEvT4_PKT3_PS3_Pi
                                        ; -- End function
	.section	.AMDGPU.csdata,"",@progbits
; Kernel info:
; codeLenInByte = 3076
; NumSgprs: 20
; NumVgprs: 36
; ScratchSize: 0
; MemoryBound: 0
; FloatMode: 240
; IeeeMode: 1
; LDSByteSize: 16384 bytes/workgroup (compile time only)
; SGPRBlocks: 2
; VGPRBlocks: 4
; NumSGPRsForWavesPerEU: 20
; NumVGPRsForWavesPerEU: 36
; Occupancy: 16
; WaveLimiterHint : 0
; COMPUTE_PGM_RSRC2:SCRATCH_EN: 0
; COMPUTE_PGM_RSRC2:USER_SGPR: 15
; COMPUTE_PGM_RSRC2:TRAP_HANDLER: 0
; COMPUTE_PGM_RSRC2:TGID_X_EN: 1
; COMPUTE_PGM_RSRC2:TGID_Y_EN: 0
; COMPUTE_PGM_RSRC2:TGID_Z_EN: 0
; COMPUTE_PGM_RSRC2:TIDIG_COMP_CNT: 0
	.section	.text._ZN9rocsparseL26bsrgemm_group_reduce_part2ILj256ELj8ELj8E21rocsparse_complex_numIdEllEEvT4_PKT3_PS3_Pi,"axG",@progbits,_ZN9rocsparseL26bsrgemm_group_reduce_part2ILj256ELj8ELj8E21rocsparse_complex_numIdEllEEvT4_PKT3_PS3_Pi,comdat
	.globl	_ZN9rocsparseL26bsrgemm_group_reduce_part2ILj256ELj8ELj8E21rocsparse_complex_numIdEllEEvT4_PKT3_PS3_Pi ; -- Begin function _ZN9rocsparseL26bsrgemm_group_reduce_part2ILj256ELj8ELj8E21rocsparse_complex_numIdEllEEvT4_PKT3_PS3_Pi
	.p2align	8
	.type	_ZN9rocsparseL26bsrgemm_group_reduce_part2ILj256ELj8ELj8E21rocsparse_complex_numIdEllEEvT4_PKT3_PS3_Pi,@function
_ZN9rocsparseL26bsrgemm_group_reduce_part2ILj256ELj8ELj8E21rocsparse_complex_numIdEllEEvT4_PKT3_PS3_Pi: ; @_ZN9rocsparseL26bsrgemm_group_reduce_part2ILj256ELj8ELj8E21rocsparse_complex_numIdEllEEvT4_PKT3_PS3_Pi
; %bb.0:
	s_clause 0x1
	s_load_b64 s[8:9], s[0:1], 0x0
	s_load_b64 s[2:3], s[0:1], 0x10
	s_mov_b32 s5, 0
	v_lshl_or_b32 v1, s15, 8, v0
	s_mov_b32 s4, s5
	s_mov_b32 s6, s5
	;; [unrolled: 1-line block ×3, first 2 shown]
	v_dual_mov_b32 v3, s4 :: v_dual_mov_b32 v4, s5
	v_dual_mov_b32 v2, 0 :: v_dual_lshlrev_b32 v11, 6, v0
	v_dual_mov_b32 v5, s6 :: v_dual_mov_b32 v6, s7
	s_mov_b32 s12, exec_lo
	ds_store_b128 v11, v[3:6]
	ds_store_b128 v11, v[3:6] offset:16
	ds_store_b128 v11, v[3:6] offset:32
	;; [unrolled: 1-line block ×3, first 2 shown]
	s_waitcnt lgkmcnt(0)
	buffer_gl0_inv
	v_cmpx_gt_i64_e64 s[8:9], v[1:2]
	s_cbranch_execz .LBB146_31
; %bb.1:
	s_clause 0x2
	s_load_b32 s4, s[0:1], 0x20
	s_load_b64 s[6:7], s[0:1], 0x18
	s_load_b64 s[0:1], s[0:1], 0x8
	v_lshlrev_b64 v[3:4], 2, v[1:2]
	v_lshlrev_b64 v[5:6], 3, v[1:2]
	v_mov_b32_e32 v8, v2
	v_dual_mov_b32 v12, 7 :: v_dual_mov_b32 v13, 6
	v_dual_mov_b32 v14, 5 :: v_dual_mov_b32 v15, 4
	;; [unrolled: 1-line block ×4, first 2 shown]
	s_waitcnt lgkmcnt(0)
	s_lshl_b32 s4, s4, 8
	v_add_co_u32 v3, vcc_lo, s6, v3
	v_add_co_ci_u32_e32 v4, vcc_lo, s7, v4, vcc_lo
	v_add_co_u32 v5, vcc_lo, s0, v5
	v_add_co_ci_u32_e32 v6, vcc_lo, s1, v6, vcc_lo
	s_lshl_b64 s[6:7], s[4:5], 2
	s_lshl_b64 s[10:11], s[4:5], 3
	s_branch .LBB146_3
.LBB146_2:                              ;   in Loop: Header=BB146_3 Depth=1
	s_or_b32 exec_lo, exec_lo, s0
	v_add_co_u32 v7, vcc_lo, v7, s4
	v_add_co_ci_u32_e32 v8, vcc_lo, 0, v8, vcc_lo
	v_add_co_u32 v3, vcc_lo, v3, s6
	v_add_co_ci_u32_e32 v4, vcc_lo, s7, v4, vcc_lo
	s_delay_alu instid0(VALU_DEP_3) | instskip(SKIP_1) | instid1(VALU_DEP_1)
	v_cmp_le_i64_e32 vcc_lo, s[8:9], v[7:8]
	v_add_co_u32 v5, s0, v5, s10
	v_add_co_ci_u32_e64 v6, s0, s11, v6, s0
	s_or_b32 s5, vcc_lo, s5
	s_delay_alu instid0(SALU_CYCLE_1)
	s_and_not1_b32 exec_lo, exec_lo, s5
	s_cbranch_execz .LBB146_31
.LBB146_3:                              ; =>This Inner Loop Header: Depth=1
	global_load_b128 v[19:22], v[5:6], off
	s_mov_b32 s0, exec_lo
	s_waitcnt vmcnt(0)
	v_sub_co_u32 v9, vcc_lo, v21, v19
	v_sub_co_ci_u32_e32 v10, vcc_lo, v22, v20, vcc_lo
	s_delay_alu instid0(VALU_DEP_1)
	v_cmpx_lt_i64_e32 8, v[9:10]
	s_xor_b32 s0, exec_lo, s0
	s_cbranch_execz .LBB146_29
; %bb.4:                                ;   in Loop: Header=BB146_3 Depth=1
	s_mov_b32 s1, exec_lo
	v_cmpx_lt_u64_e32 16, v[9:10]
	s_xor_b32 s1, exec_lo, s1
	s_cbranch_execz .LBB146_26
; %bb.5:                                ;   in Loop: Header=BB146_3 Depth=1
	s_mov_b32 s13, exec_lo
	v_cmpx_lt_u64_e32 32, v[9:10]
	;; [unrolled: 5-line block ×6, first 2 shown]
	s_xor_b32 s18, exec_lo, s18
	s_cbranch_execz .LBB146_11
; %bb.10:                               ;   in Loop: Header=BB146_3 Depth=1
	ds_load_b64 v[9:10], v11 offset:56
	global_store_b32 v[3:4], v12, off
	s_waitcnt lgkmcnt(0)
	v_add_co_u32 v9, vcc_lo, v9, 1
	v_add_co_ci_u32_e32 v10, vcc_lo, 0, v10, vcc_lo
	ds_store_b64 v11, v[9:10] offset:56
.LBB146_11:                             ;   in Loop: Header=BB146_3 Depth=1
	s_and_not1_saveexec_b32 s18, s18
	s_cbranch_execz .LBB146_13
; %bb.12:                               ;   in Loop: Header=BB146_3 Depth=1
	ds_load_b64 v[9:10], v11 offset:48
	global_store_b32 v[3:4], v13, off
	s_waitcnt lgkmcnt(0)
	v_add_co_u32 v9, vcc_lo, v9, 1
	v_add_co_ci_u32_e32 v10, vcc_lo, 0, v10, vcc_lo
	ds_store_b64 v11, v[9:10] offset:48
.LBB146_13:                             ;   in Loop: Header=BB146_3 Depth=1
	s_or_b32 exec_lo, exec_lo, s18
.LBB146_14:                             ;   in Loop: Header=BB146_3 Depth=1
	s_and_not1_saveexec_b32 s17, s17
	s_cbranch_execz .LBB146_16
; %bb.15:                               ;   in Loop: Header=BB146_3 Depth=1
	ds_load_b64 v[9:10], v11 offset:40
	global_store_b32 v[3:4], v14, off
	s_waitcnt lgkmcnt(0)
	v_add_co_u32 v9, vcc_lo, v9, 1
	v_add_co_ci_u32_e32 v10, vcc_lo, 0, v10, vcc_lo
	ds_store_b64 v11, v[9:10] offset:40
.LBB146_16:                             ;   in Loop: Header=BB146_3 Depth=1
	s_or_b32 exec_lo, exec_lo, s17
.LBB146_17:                             ;   in Loop: Header=BB146_3 Depth=1
	s_and_not1_saveexec_b32 s16, s16
	s_cbranch_execz .LBB146_19
; %bb.18:                               ;   in Loop: Header=BB146_3 Depth=1
	ds_load_b64 v[9:10], v11 offset:32
	global_store_b32 v[3:4], v15, off
	s_waitcnt lgkmcnt(0)
	v_add_co_u32 v9, vcc_lo, v9, 1
	v_add_co_ci_u32_e32 v10, vcc_lo, 0, v10, vcc_lo
	ds_store_b64 v11, v[9:10] offset:32
.LBB146_19:                             ;   in Loop: Header=BB146_3 Depth=1
	s_or_b32 exec_lo, exec_lo, s16
.LBB146_20:                             ;   in Loop: Header=BB146_3 Depth=1
	s_and_not1_saveexec_b32 s14, s14
	s_cbranch_execz .LBB146_22
; %bb.21:                               ;   in Loop: Header=BB146_3 Depth=1
	ds_load_b64 v[9:10], v11 offset:24
	global_store_b32 v[3:4], v16, off
	s_waitcnt lgkmcnt(0)
	v_add_co_u32 v9, vcc_lo, v9, 1
	v_add_co_ci_u32_e32 v10, vcc_lo, 0, v10, vcc_lo
	ds_store_b64 v11, v[9:10] offset:24
.LBB146_22:                             ;   in Loop: Header=BB146_3 Depth=1
	s_or_b32 exec_lo, exec_lo, s14
.LBB146_23:                             ;   in Loop: Header=BB146_3 Depth=1
	s_and_not1_saveexec_b32 s13, s13
	s_cbranch_execz .LBB146_25
; %bb.24:                               ;   in Loop: Header=BB146_3 Depth=1
	ds_load_b64 v[9:10], v11 offset:16
	global_store_b32 v[3:4], v17, off
	s_waitcnt lgkmcnt(0)
	v_add_co_u32 v9, vcc_lo, v9, 1
	v_add_co_ci_u32_e32 v10, vcc_lo, 0, v10, vcc_lo
	ds_store_b64 v11, v[9:10] offset:16
.LBB146_25:                             ;   in Loop: Header=BB146_3 Depth=1
	s_or_b32 exec_lo, exec_lo, s13
.LBB146_26:                             ;   in Loop: Header=BB146_3 Depth=1
	s_and_not1_saveexec_b32 s1, s1
	s_cbranch_execz .LBB146_28
; %bb.27:                               ;   in Loop: Header=BB146_3 Depth=1
	ds_load_b64 v[9:10], v11 offset:8
	global_store_b32 v[3:4], v18, off
	s_waitcnt lgkmcnt(0)
	v_add_co_u32 v9, vcc_lo, v9, 1
	v_add_co_ci_u32_e32 v10, vcc_lo, 0, v10, vcc_lo
	ds_store_b64 v11, v[9:10] offset:8
.LBB146_28:                             ;   in Loop: Header=BB146_3 Depth=1
	s_or_b32 exec_lo, exec_lo, s1
.LBB146_29:                             ;   in Loop: Header=BB146_3 Depth=1
	s_and_not1_saveexec_b32 s0, s0
	s_cbranch_execz .LBB146_2
; %bb.30:                               ;   in Loop: Header=BB146_3 Depth=1
	ds_load_b64 v[9:10], v11
	global_store_b32 v[3:4], v2, off
	s_waitcnt lgkmcnt(0)
	v_add_co_u32 v9, vcc_lo, v9, 1
	v_add_co_ci_u32_e32 v10, vcc_lo, 0, v10, vcc_lo
	ds_store_b64 v11, v[9:10]
	s_branch .LBB146_2
.LBB146_31:
	s_or_b32 exec_lo, exec_lo, s12
	s_delay_alu instid0(SALU_CYCLE_1)
	s_mov_b32 s0, exec_lo
	s_waitcnt lgkmcnt(0)
	s_waitcnt_vscnt null, 0x0
	s_barrier
	buffer_gl0_inv
	s_barrier
	buffer_gl0_inv
	;; [unrolled: 2-line block ×3, first 2 shown]
	v_cmpx_gt_u32_e32 0x80, v0
	s_cbranch_execz .LBB146_33
; %bb.32:
	ds_load_b128 v[1:4], v11 offset:8192
	ds_load_b128 v[5:8], v11
	ds_load_b128 v[12:15], v11 offset:16
	ds_load_b128 v[16:19], v11 offset:8208
	ds_load_b128 v[20:23], v11 offset:8224
	ds_load_b128 v[24:27], v11 offset:32
	ds_load_b128 v[28:31], v11 offset:48
	ds_load_b128 v[32:35], v11 offset:8240
	s_waitcnt lgkmcnt(6)
	v_add_co_u32 v1, vcc_lo, v5, v1
	v_add_co_ci_u32_e32 v2, vcc_lo, v6, v2, vcc_lo
	v_add_co_u32 v3, vcc_lo, v7, v3
	v_add_co_ci_u32_e32 v4, vcc_lo, v8, v4, vcc_lo
	s_waitcnt lgkmcnt(4)
	v_add_co_u32 v5, vcc_lo, v12, v16
	v_add_co_ci_u32_e32 v6, vcc_lo, v13, v17, vcc_lo
	v_add_co_u32 v7, vcc_lo, v14, v18
	v_add_co_ci_u32_e32 v8, vcc_lo, v15, v19, vcc_lo
	s_waitcnt lgkmcnt(2)
	v_add_co_u32 v12, vcc_lo, v24, v20
	v_add_co_ci_u32_e32 v13, vcc_lo, v25, v21, vcc_lo
	v_add_co_u32 v14, vcc_lo, v26, v22
	v_add_co_ci_u32_e32 v15, vcc_lo, v27, v23, vcc_lo
	s_waitcnt lgkmcnt(0)
	v_add_co_u32 v16, vcc_lo, v28, v32
	v_add_co_ci_u32_e32 v17, vcc_lo, v29, v33, vcc_lo
	v_add_co_u32 v18, vcc_lo, v30, v34
	v_add_co_ci_u32_e32 v19, vcc_lo, v31, v35, vcc_lo
	ds_store_b128 v11, v[1:4]
	ds_store_b128 v11, v[5:8] offset:16
	ds_store_b128 v11, v[12:15] offset:32
	ds_store_b128 v11, v[16:19] offset:48
.LBB146_33:
	s_or_b32 exec_lo, exec_lo, s0
	s_delay_alu instid0(SALU_CYCLE_1)
	s_mov_b32 s0, exec_lo
	s_waitcnt lgkmcnt(0)
	s_barrier
	buffer_gl0_inv
	v_cmpx_gt_u32_e32 64, v0
	s_cbranch_execz .LBB146_35
; %bb.34:
	ds_load_b128 v[1:4], v11 offset:4096
	ds_load_b128 v[5:8], v11
	ds_load_b128 v[12:15], v11 offset:16
	ds_load_b128 v[16:19], v11 offset:4112
	ds_load_b128 v[20:23], v11 offset:4128
	ds_load_b128 v[24:27], v11 offset:32
	ds_load_b128 v[28:31], v11 offset:48
	ds_load_b128 v[32:35], v11 offset:4144
	s_waitcnt lgkmcnt(6)
	v_add_co_u32 v1, vcc_lo, v5, v1
	v_add_co_ci_u32_e32 v2, vcc_lo, v6, v2, vcc_lo
	v_add_co_u32 v3, vcc_lo, v7, v3
	v_add_co_ci_u32_e32 v4, vcc_lo, v8, v4, vcc_lo
	s_waitcnt lgkmcnt(4)
	v_add_co_u32 v5, vcc_lo, v12, v16
	v_add_co_ci_u32_e32 v6, vcc_lo, v13, v17, vcc_lo
	v_add_co_u32 v7, vcc_lo, v14, v18
	v_add_co_ci_u32_e32 v8, vcc_lo, v15, v19, vcc_lo
	s_waitcnt lgkmcnt(2)
	v_add_co_u32 v12, vcc_lo, v24, v20
	v_add_co_ci_u32_e32 v13, vcc_lo, v25, v21, vcc_lo
	v_add_co_u32 v14, vcc_lo, v26, v22
	v_add_co_ci_u32_e32 v15, vcc_lo, v27, v23, vcc_lo
	s_waitcnt lgkmcnt(0)
	v_add_co_u32 v16, vcc_lo, v28, v32
	v_add_co_ci_u32_e32 v17, vcc_lo, v29, v33, vcc_lo
	v_add_co_u32 v18, vcc_lo, v30, v34
	v_add_co_ci_u32_e32 v19, vcc_lo, v31, v35, vcc_lo
	ds_store_b128 v11, v[1:4]
	ds_store_b128 v11, v[5:8] offset:16
	ds_store_b128 v11, v[12:15] offset:32
	ds_store_b128 v11, v[16:19] offset:48
.LBB146_35:
	s_or_b32 exec_lo, exec_lo, s0
	s_delay_alu instid0(SALU_CYCLE_1)
	s_mov_b32 s0, exec_lo
	s_waitcnt lgkmcnt(0)
	s_barrier
	buffer_gl0_inv
	;; [unrolled: 42-line block ×3, first 2 shown]
	v_cmpx_gt_u32_e32 16, v0
	s_cbranch_execz .LBB146_39
; %bb.38:
	ds_load_b128 v[1:4], v11 offset:1024
	ds_load_b128 v[5:8], v11
	ds_load_b128 v[12:15], v11 offset:16
	ds_load_b128 v[16:19], v11 offset:1040
	;; [unrolled: 1-line block ×6, first 2 shown]
	s_waitcnt lgkmcnt(6)
	v_add_co_u32 v1, vcc_lo, v5, v1
	v_add_co_ci_u32_e32 v2, vcc_lo, v6, v2, vcc_lo
	v_add_co_u32 v3, vcc_lo, v7, v3
	v_add_co_ci_u32_e32 v4, vcc_lo, v8, v4, vcc_lo
	s_waitcnt lgkmcnt(4)
	v_add_co_u32 v5, vcc_lo, v12, v16
	v_add_co_ci_u32_e32 v6, vcc_lo, v13, v17, vcc_lo
	v_add_co_u32 v7, vcc_lo, v14, v18
	v_add_co_ci_u32_e32 v8, vcc_lo, v15, v19, vcc_lo
	;; [unrolled: 5-line block ×4, first 2 shown]
	ds_store_b128 v11, v[1:4]
	ds_store_b128 v11, v[5:8] offset:16
	ds_store_b128 v11, v[12:15] offset:32
	;; [unrolled: 1-line block ×3, first 2 shown]
.LBB146_39:
	s_or_b32 exec_lo, exec_lo, s0
	v_cmp_gt_u32_e32 vcc_lo, 8, v0
	s_waitcnt lgkmcnt(0)
	s_barrier
	buffer_gl0_inv
	s_and_saveexec_b32 s1, vcc_lo
	s_cbranch_execz .LBB146_41
; %bb.40:
	ds_load_b128 v[1:4], v11 offset:512
	ds_load_b128 v[5:8], v11
	ds_load_b128 v[12:15], v11 offset:16
	ds_load_b128 v[16:19], v11 offset:528
	;; [unrolled: 1-line block ×6, first 2 shown]
	s_waitcnt lgkmcnt(6)
	v_add_co_u32 v1, s0, v5, v1
	s_delay_alu instid0(VALU_DEP_1) | instskip(SKIP_1) | instid1(VALU_DEP_1)
	v_add_co_ci_u32_e64 v2, s0, v6, v2, s0
	v_add_co_u32 v3, s0, v7, v3
	v_add_co_ci_u32_e64 v4, s0, v8, v4, s0
	s_waitcnt lgkmcnt(4)
	v_add_co_u32 v5, s0, v12, v16
	s_delay_alu instid0(VALU_DEP_1) | instskip(SKIP_1) | instid1(VALU_DEP_1)
	v_add_co_ci_u32_e64 v6, s0, v13, v17, s0
	v_add_co_u32 v7, s0, v14, v18
	v_add_co_ci_u32_e64 v8, s0, v15, v19, s0
	;; [unrolled: 6-line block ×4, first 2 shown]
	ds_store_b128 v11, v[1:4]
	ds_store_b128 v11, v[5:8] offset:16
	ds_store_b128 v11, v[12:15] offset:32
	;; [unrolled: 1-line block ×3, first 2 shown]
.LBB146_41:
	s_or_b32 exec_lo, exec_lo, s1
	s_delay_alu instid0(SALU_CYCLE_1)
	s_mov_b32 s1, exec_lo
	s_waitcnt lgkmcnt(0)
	s_barrier
	buffer_gl0_inv
	v_cmpx_gt_u32_e32 4, v0
	s_cbranch_execz .LBB146_43
; %bb.42:
	ds_load_b128 v[1:4], v11 offset:256
	ds_load_b128 v[5:8], v11
	ds_load_b128 v[12:15], v11 offset:16
	ds_load_b128 v[16:19], v11 offset:272
	;; [unrolled: 1-line block ×6, first 2 shown]
	s_waitcnt lgkmcnt(6)
	v_add_co_u32 v1, s0, v5, v1
	s_delay_alu instid0(VALU_DEP_1) | instskip(SKIP_1) | instid1(VALU_DEP_1)
	v_add_co_ci_u32_e64 v2, s0, v6, v2, s0
	v_add_co_u32 v3, s0, v7, v3
	v_add_co_ci_u32_e64 v4, s0, v8, v4, s0
	s_waitcnt lgkmcnt(4)
	v_add_co_u32 v5, s0, v12, v16
	s_delay_alu instid0(VALU_DEP_1) | instskip(SKIP_1) | instid1(VALU_DEP_1)
	v_add_co_ci_u32_e64 v6, s0, v13, v17, s0
	v_add_co_u32 v7, s0, v14, v18
	v_add_co_ci_u32_e64 v8, s0, v15, v19, s0
	;; [unrolled: 6-line block ×4, first 2 shown]
	ds_store_b128 v11, v[1:4]
	ds_store_b128 v11, v[5:8] offset:16
	ds_store_b128 v11, v[12:15] offset:32
	;; [unrolled: 1-line block ×3, first 2 shown]
.LBB146_43:
	s_or_b32 exec_lo, exec_lo, s1
	s_delay_alu instid0(SALU_CYCLE_1)
	s_mov_b32 s1, exec_lo
	s_waitcnt lgkmcnt(0)
	s_barrier
	buffer_gl0_inv
	v_cmpx_gt_u32_e32 2, v0
	s_cbranch_execz .LBB146_45
; %bb.44:
	ds_load_b128 v[1:4], v11 offset:128
	ds_load_b128 v[5:8], v11
	ds_load_b128 v[12:15], v11 offset:16
	ds_load_b128 v[16:19], v11 offset:144
	;; [unrolled: 1-line block ×6, first 2 shown]
	s_waitcnt lgkmcnt(6)
	v_add_co_u32 v1, s0, v5, v1
	s_delay_alu instid0(VALU_DEP_1) | instskip(SKIP_1) | instid1(VALU_DEP_1)
	v_add_co_ci_u32_e64 v2, s0, v6, v2, s0
	v_add_co_u32 v3, s0, v7, v3
	v_add_co_ci_u32_e64 v4, s0, v8, v4, s0
	s_waitcnt lgkmcnt(4)
	v_add_co_u32 v5, s0, v12, v16
	s_delay_alu instid0(VALU_DEP_1) | instskip(SKIP_1) | instid1(VALU_DEP_1)
	v_add_co_ci_u32_e64 v6, s0, v13, v17, s0
	v_add_co_u32 v7, s0, v14, v18
	v_add_co_ci_u32_e64 v8, s0, v15, v19, s0
	s_waitcnt lgkmcnt(2)
	v_add_co_u32 v12, s0, v24, v20
	s_delay_alu instid0(VALU_DEP_1) | instskip(SKIP_1) | instid1(VALU_DEP_1)
	v_add_co_ci_u32_e64 v13, s0, v25, v21, s0
	v_add_co_u32 v14, s0, v26, v22
	v_add_co_ci_u32_e64 v15, s0, v27, v23, s0
	s_waitcnt lgkmcnt(0)
	v_add_co_u32 v16, s0, v28, v32
	s_delay_alu instid0(VALU_DEP_1) | instskip(SKIP_1) | instid1(VALU_DEP_1)
	v_add_co_ci_u32_e64 v17, s0, v29, v33, s0
	v_add_co_u32 v18, s0, v30, v34
	v_add_co_ci_u32_e64 v19, s0, v31, v35, s0
	ds_store_b128 v11, v[1:4]
	ds_store_b128 v11, v[5:8] offset:16
	ds_store_b128 v11, v[12:15] offset:32
	;; [unrolled: 1-line block ×3, first 2 shown]
.LBB146_45:
	s_or_b32 exec_lo, exec_lo, s1
	s_delay_alu instid0(SALU_CYCLE_1)
	s_mov_b32 s1, exec_lo
	s_waitcnt lgkmcnt(0)
	s_barrier
	buffer_gl0_inv
	v_cmpx_eq_u32_e32 0, v0
	s_cbranch_execz .LBB146_47
; %bb.46:
	v_mov_b32_e32 v33, 0
	ds_load_b128 v[1:4], v33 offset:64
	ds_load_b128 v[5:8], v33
	ds_load_b128 v[9:12], v33 offset:16
	ds_load_b128 v[13:16], v33 offset:80
	;; [unrolled: 1-line block ×6, first 2 shown]
	s_waitcnt lgkmcnt(6)
	v_add_co_u32 v1, s0, v5, v1
	s_delay_alu instid0(VALU_DEP_1) | instskip(SKIP_1) | instid1(VALU_DEP_1)
	v_add_co_ci_u32_e64 v2, s0, v6, v2, s0
	v_add_co_u32 v3, s0, v7, v3
	v_add_co_ci_u32_e64 v4, s0, v8, v4, s0
	s_waitcnt lgkmcnt(4)
	v_add_co_u32 v5, s0, v9, v13
	s_delay_alu instid0(VALU_DEP_1) | instskip(SKIP_1) | instid1(VALU_DEP_1)
	v_add_co_ci_u32_e64 v6, s0, v10, v14, s0
	v_add_co_u32 v7, s0, v11, v15
	v_add_co_ci_u32_e64 v8, s0, v12, v16, s0
	;; [unrolled: 6-line block ×4, first 2 shown]
	ds_store_b128 v33, v[1:4]
	ds_store_b128 v33, v[5:8] offset:16
	ds_store_b128 v33, v[9:12] offset:32
	;; [unrolled: 1-line block ×3, first 2 shown]
.LBB146_47:
	s_or_b32 exec_lo, exec_lo, s1
	s_waitcnt lgkmcnt(0)
	s_barrier
	buffer_gl0_inv
	s_and_saveexec_b32 s0, vcc_lo
	s_cbranch_execz .LBB146_49
; %bb.48:
	v_dual_mov_b32 v4, 0 :: v_dual_lshlrev_b32 v1, 3, v0
	v_lshl_or_b32 v3, s15, 3, v0
	ds_load_b64 v[1:2], v1
	v_lshlrev_b64 v[3:4], 3, v[3:4]
	s_delay_alu instid0(VALU_DEP_1) | instskip(NEXT) | instid1(VALU_DEP_2)
	v_add_co_u32 v3, vcc_lo, s2, v3
	v_add_co_ci_u32_e32 v4, vcc_lo, s3, v4, vcc_lo
	s_waitcnt lgkmcnt(0)
	global_store_b64 v[3:4], v[1:2], off
.LBB146_49:
	s_nop 0
	s_sendmsg sendmsg(MSG_DEALLOC_VGPRS)
	s_endpgm
	.section	.rodata,"a",@progbits
	.p2align	6, 0x0
	.amdhsa_kernel _ZN9rocsparseL26bsrgemm_group_reduce_part2ILj256ELj8ELj8E21rocsparse_complex_numIdEllEEvT4_PKT3_PS3_Pi
		.amdhsa_group_segment_fixed_size 16384
		.amdhsa_private_segment_fixed_size 0
		.amdhsa_kernarg_size 288
		.amdhsa_user_sgpr_count 15
		.amdhsa_user_sgpr_dispatch_ptr 0
		.amdhsa_user_sgpr_queue_ptr 0
		.amdhsa_user_sgpr_kernarg_segment_ptr 1
		.amdhsa_user_sgpr_dispatch_id 0
		.amdhsa_user_sgpr_private_segment_size 0
		.amdhsa_wavefront_size32 1
		.amdhsa_uses_dynamic_stack 0
		.amdhsa_enable_private_segment 0
		.amdhsa_system_sgpr_workgroup_id_x 1
		.amdhsa_system_sgpr_workgroup_id_y 0
		.amdhsa_system_sgpr_workgroup_id_z 0
		.amdhsa_system_sgpr_workgroup_info 0
		.amdhsa_system_vgpr_workitem_id 0
		.amdhsa_next_free_vgpr 36
		.amdhsa_next_free_sgpr 19
		.amdhsa_reserve_vcc 1
		.amdhsa_float_round_mode_32 0
		.amdhsa_float_round_mode_16_64 0
		.amdhsa_float_denorm_mode_32 3
		.amdhsa_float_denorm_mode_16_64 3
		.amdhsa_dx10_clamp 1
		.amdhsa_ieee_mode 1
		.amdhsa_fp16_overflow 0
		.amdhsa_workgroup_processor_mode 1
		.amdhsa_memory_ordered 1
		.amdhsa_forward_progress 0
		.amdhsa_shared_vgpr_count 0
		.amdhsa_exception_fp_ieee_invalid_op 0
		.amdhsa_exception_fp_denorm_src 0
		.amdhsa_exception_fp_ieee_div_zero 0
		.amdhsa_exception_fp_ieee_overflow 0
		.amdhsa_exception_fp_ieee_underflow 0
		.amdhsa_exception_fp_ieee_inexact 0
		.amdhsa_exception_int_div_zero 0
	.end_amdhsa_kernel
	.section	.text._ZN9rocsparseL26bsrgemm_group_reduce_part2ILj256ELj8ELj8E21rocsparse_complex_numIdEllEEvT4_PKT3_PS3_Pi,"axG",@progbits,_ZN9rocsparseL26bsrgemm_group_reduce_part2ILj256ELj8ELj8E21rocsparse_complex_numIdEllEEvT4_PKT3_PS3_Pi,comdat
.Lfunc_end146:
	.size	_ZN9rocsparseL26bsrgemm_group_reduce_part2ILj256ELj8ELj8E21rocsparse_complex_numIdEllEEvT4_PKT3_PS3_Pi, .Lfunc_end146-_ZN9rocsparseL26bsrgemm_group_reduce_part2ILj256ELj8ELj8E21rocsparse_complex_numIdEllEEvT4_PKT3_PS3_Pi
                                        ; -- End function
	.section	.AMDGPU.csdata,"",@progbits
; Kernel info:
; codeLenInByte = 3152
; NumSgprs: 21
; NumVgprs: 36
; ScratchSize: 0
; MemoryBound: 0
; FloatMode: 240
; IeeeMode: 1
; LDSByteSize: 16384 bytes/workgroup (compile time only)
; SGPRBlocks: 2
; VGPRBlocks: 4
; NumSGPRsForWavesPerEU: 21
; NumVGPRsForWavesPerEU: 36
; Occupancy: 16
; WaveLimiterHint : 0
; COMPUTE_PGM_RSRC2:SCRATCH_EN: 0
; COMPUTE_PGM_RSRC2:USER_SGPR: 15
; COMPUTE_PGM_RSRC2:TRAP_HANDLER: 0
; COMPUTE_PGM_RSRC2:TGID_X_EN: 1
; COMPUTE_PGM_RSRC2:TGID_Y_EN: 0
; COMPUTE_PGM_RSRC2:TGID_Z_EN: 0
; COMPUTE_PGM_RSRC2:TIDIG_COMP_CNT: 0
	.section	.text._ZN9rocsparseL27bsrgemm_fill_wf_per_row_2x2ILj256ELj16ELj8ELj137Ell21rocsparse_complex_numIdEEEv20rocsparse_direction_T4_S4_PKS4_S6_NS_24const_host_device_scalarIT5_EEPKT3_S6_PKS8_SC_S6_SE_S9_SC_S6_SE_SC_PS4_PS8_21rocsparse_index_base_SH_SH_SH_bbb,"axG",@progbits,_ZN9rocsparseL27bsrgemm_fill_wf_per_row_2x2ILj256ELj16ELj8ELj137Ell21rocsparse_complex_numIdEEEv20rocsparse_direction_T4_S4_PKS4_S6_NS_24const_host_device_scalarIT5_EEPKT3_S6_PKS8_SC_S6_SE_S9_SC_S6_SE_SC_PS4_PS8_21rocsparse_index_base_SH_SH_SH_bbb,comdat
	.globl	_ZN9rocsparseL27bsrgemm_fill_wf_per_row_2x2ILj256ELj16ELj8ELj137Ell21rocsparse_complex_numIdEEEv20rocsparse_direction_T4_S4_PKS4_S6_NS_24const_host_device_scalarIT5_EEPKT3_S6_PKS8_SC_S6_SE_S9_SC_S6_SE_SC_PS4_PS8_21rocsparse_index_base_SH_SH_SH_bbb ; -- Begin function _ZN9rocsparseL27bsrgemm_fill_wf_per_row_2x2ILj256ELj16ELj8ELj137Ell21rocsparse_complex_numIdEEEv20rocsparse_direction_T4_S4_PKS4_S6_NS_24const_host_device_scalarIT5_EEPKT3_S6_PKS8_SC_S6_SE_S9_SC_S6_SE_SC_PS4_PS8_21rocsparse_index_base_SH_SH_SH_bbb
	.p2align	8
	.type	_ZN9rocsparseL27bsrgemm_fill_wf_per_row_2x2ILj256ELj16ELj8ELj137Ell21rocsparse_complex_numIdEEEv20rocsparse_direction_T4_S4_PKS4_S6_NS_24const_host_device_scalarIT5_EEPKT3_S6_PKS8_SC_S6_SE_S9_SC_S6_SE_SC_PS4_PS8_21rocsparse_index_base_SH_SH_SH_bbb,@function
_ZN9rocsparseL27bsrgemm_fill_wf_per_row_2x2ILj256ELj16ELj8ELj137Ell21rocsparse_complex_numIdEEEv20rocsparse_direction_T4_S4_PKS4_S6_NS_24const_host_device_scalarIT5_EEPKT3_S6_PKS8_SC_S6_SE_S9_SC_S6_SE_SC_PS4_PS8_21rocsparse_index_base_SH_SH_SH_bbb: ; @_ZN9rocsparseL27bsrgemm_fill_wf_per_row_2x2ILj256ELj16ELj8ELj137Ell21rocsparse_complex_numIdEEEv20rocsparse_direction_T4_S4_PKS4_S6_NS_24const_host_device_scalarIT5_EEPKT3_S6_PKS8_SC_S6_SE_S9_SC_S6_SE_SC_PS4_PS8_21rocsparse_index_base_SH_SH_SH_bbb
; %bb.0:
	s_load_b32 s14, s[2:3], 0xb8
	s_load_b64 s[16:17], s[0:1], 0x4
	s_clause 0x1
	s_load_b128 s[8:11], s[2:3], 0x28
	s_load_b128 s[4:7], s[2:3], 0x68
	v_dual_mov_b32 v16, 0 :: v_dual_and_b32 v1, 0x3ff, v0
	v_bfe_u32 v3, v0, 10, 10
	v_mov_b32_e32 v17, 0
	v_bfe_u32 v0, v0, 20, 10
	s_waitcnt lgkmcnt(0)
	s_bitcmp1_b32 s14, 0
	s_cselect_b32 s13, -1, 0
	s_bitcmp1_b32 s14, 16
	v_mov_b32_e32 v4, s4
	s_cselect_b32 s0, -1, 0
	s_lshr_b32 s1, s16, 16
	s_delay_alu instid0(SALU_CYCLE_1) | instskip(NEXT) | instid1(SALU_CYCLE_1)
	s_mul_i32 s1, s1, s17
	v_mul_lo_u32 v2, s1, v1
	s_xor_b32 s1, s0, -1
	s_bitcmp0_b32 s14, 0
	v_cndmask_b32_e64 v6, 0, 1, s1
	s_delay_alu instid0(VALU_DEP_2)
	v_mad_u32_u24 v7, v3, s17, v2
	v_dual_mov_b32 v2, s8 :: v_dual_mov_b32 v3, s9
	v_mov_b32_e32 v23, v17
	v_dual_mov_b32 v25, v17 :: v_dual_mov_b32 v24, v16
	v_dual_mov_b32 v5, s5 :: v_dual_mov_b32 v22, v16
	v_cmp_ne_u32_e32 vcc_lo, 1, v6
	v_add_lshl_u32 v0, v7, v0, 3
	ds_store_2addr_stride64_b64 v0, v[4:5], v[2:3] offset0:18 offset1:22
	s_cbranch_scc1 .LBB147_3
; %bb.1:
	s_mov_b64 s[16:17], src_shared_base
	s_and_b32 s12, s0, exec_lo
	s_cselect_b32 s12, s17, s9
	s_delay_alu instid0(SALU_CYCLE_1) | instskip(SKIP_2) | instid1(VALU_DEP_2)
	v_dual_mov_b32 v3, s12 :: v_dual_add_nc_u32 v2, 0x2c00, v0
	v_dual_mov_b32 v25, s11 :: v_dual_mov_b32 v24, s10
	s_and_b32 vcc_lo, exec_lo, vcc_lo
	v_cndmask_b32_e64 v2, s8, v2, s0
	flat_load_b64 v[22:23], v[2:3]
	s_cbranch_vccnz .LBB147_3
; %bb.2:
	v_dual_mov_b32 v2, s8 :: v_dual_mov_b32 v3, s9
	flat_load_b64 v[24:25], v[2:3] offset:8
.LBB147_3:
	s_load_b128 s[36:39], s[2:3], 0xa8
	s_bitcmp1_b32 s14, 8
	v_dual_mov_b32 v19, v17 :: v_dual_mov_b32 v18, v16
	s_cselect_b32 s12, -1, 0
	s_bfe_u32 s8, s14, 0x10008
	s_delay_alu instid0(SALU_CYCLE_1)
	s_cmp_eq_u32 s8, 0
	s_cbranch_scc1 .LBB147_6
; %bb.4:
	s_mov_b64 s[8:9], src_shared_base
	s_and_b32 s8, s0, exec_lo
	s_cselect_b32 s8, s9, s5
	s_delay_alu instid0(SALU_CYCLE_1) | instskip(SKIP_2) | instid1(VALU_DEP_2)
	v_dual_mov_b32 v3, s8 :: v_dual_add_nc_u32 v0, 0x2400, v0
	v_dual_mov_b32 v17, s7 :: v_dual_mov_b32 v16, s6
	s_and_not1_b32 vcc_lo, exec_lo, s1
	v_cndmask_b32_e64 v2, s4, v0, s0
	flat_load_b64 v[18:19], v[2:3]
	s_cbranch_vccnz .LBB147_6
; %bb.5:
	v_dual_mov_b32 v2, s4 :: v_dual_mov_b32 v3, s5
	flat_load_b64 v[16:17], v[2:3] offset:8
.LBB147_6:
	s_clause 0x4
	s_load_b128 s[40:43], s[2:3], 0x98
	s_load_b256 s[4:11], s[2:3], 0x78
	s_load_b128 s[44:47], s[2:3], 0x58
	s_load_b256 s[16:23], s[2:3], 0x8
	s_load_b256 s[24:31], s[2:3], 0x38
	v_lshrrev_b32_e32 v4, 4, v1
	v_and_b32_e32 v60, 15, v1
	s_delay_alu instid0(VALU_DEP_2) | instskip(NEXT) | instid1(VALU_DEP_2)
	v_lshl_or_b32 v61, v4, 6, 0x2000
	v_cmp_gt_u32_e64 s0, 8, v60
	s_delay_alu instid0(VALU_DEP_1)
	s_and_saveexec_b32 s1, s0
	s_cbranch_execz .LBB147_8
; %bb.7:
	s_delay_alu instid0(VALU_DEP_2)
	v_lshl_add_u32 v2, v60, 3, v61
	s_waitcnt lgkmcnt(0)
	v_dual_mov_b32 v0, s18 :: v_dual_mov_b32 v1, s19
	ds_store_b64 v2, v[0:1]
.LBB147_8:
	s_or_b32 exec_lo, exec_lo, s1
	v_dual_mov_b32 v0, 0 :: v_dual_lshlrev_b32 v1, 4, v60
	v_or_b32_e32 v5, -16, v60
	s_mov_b32 s1, 0
	s_delay_alu instid0(VALU_DEP_2) | instskip(NEXT) | instid1(VALU_DEP_3)
	v_lshl_or_b32 v6, v4, 9, v1
	v_mov_b32_e32 v1, v0
	v_mov_b32_e32 v2, v0
	v_mov_b32_e32 v3, v0
.LBB147_9:                              ; =>This Inner Loop Header: Depth=1
	v_add_co_u32 v5, s14, v5, 16
	s_delay_alu instid0(VALU_DEP_1) | instskip(SKIP_3) | instid1(SALU_CYCLE_1)
	s_xor_b32 s14, s14, -1
	ds_store_b128 v6, v[0:3]
	v_add_nc_u32_e32 v6, 0x100, v6
	s_and_b32 s14, exec_lo, s14
	s_or_b32 s1, s14, s1
	s_delay_alu instid0(SALU_CYCLE_1)
	s_and_not1_b32 exec_lo, exec_lo, s1
	s_cbranch_execnz .LBB147_9
; %bb.10:
	s_or_b32 exec_lo, exec_lo, s1
	v_lshl_or_b32 v20, s15, 4, v4
	v_mov_b32_e32 v21, 0
	s_waitcnt vmcnt(0) lgkmcnt(0)
	s_barrier
	buffer_gl0_inv
	s_mov_b32 s1, exec_lo
	v_cmpx_gt_i64_e64 s[16:17], v[20:21]
	s_cbranch_execz .LBB147_16
; %bb.11:
	s_cmp_eq_u64 s[22:23], 0
	s_cbranch_scc1 .LBB147_13
; %bb.12:
	s_load_b64 s[14:15], s[20:21], 0x0
	v_lshlrev_b64 v[0:1], 3, v[20:21]
	s_waitcnt lgkmcnt(0)
	s_lshl_b64 s[14:15], s[14:15], 3
	s_delay_alu instid0(SALU_CYCLE_1) | instskip(SKIP_1) | instid1(VALU_DEP_1)
	s_add_u32 s1, s22, s14
	s_addc_u32 s14, s23, s15
	v_add_co_u32 v0, vcc_lo, s1, v0
	v_add_co_ci_u32_e32 v1, vcc_lo, s14, v1, vcc_lo
	global_load_b64 v[20:21], v[0:1], off
.LBB147_13:
	s_load_b32 s1, s[2:3], 0x0
	v_lshlrev_b32_e32 v62, 9, v4
	s_and_not1_b32 vcc_lo, exec_lo, s13
	s_cbranch_vccz .LBB147_17
; %bb.14:
	s_and_not1_b32 vcc_lo, exec_lo, s12
	s_waitcnt vmcnt(0) lgkmcnt(0)
	buffer_gl0_inv
	s_cbranch_vccz .LBB147_104
.LBB147_15:
	buffer_gl0_inv
	s_and_b32 exec_lo, exec_lo, s0
	s_cbranch_execnz .LBB147_188
.LBB147_16:
	s_endpgm
.LBB147_17:
	s_waitcnt vmcnt(0)
	v_lshlrev_b64 v[0:1], 3, v[20:21]
	v_sub_co_u32 v4, s2, v60, s36
	s_delay_alu instid0(VALU_DEP_1) | instskip(SKIP_1) | instid1(VALU_DEP_3)
	v_sub_co_ci_u32_e64 v5, null, 0, 0, s2
	s_mov_b32 s3, 0
	v_add_co_u32 v0, vcc_lo, s24, v0
	s_delay_alu instid0(VALU_DEP_4)
	v_add_co_ci_u32_e32 v1, vcc_lo, s25, v1, vcc_lo
	s_mov_b32 s2, exec_lo
	global_load_b128 v[0:3], v[0:1], off
	s_waitcnt vmcnt(0)
	v_sub_co_u32 v26, vcc_lo, v2, s36
	v_subrev_co_ci_u32_e32 v27, vcc_lo, 0, v3, vcc_lo
	v_add_co_u32 v28, vcc_lo, v0, v4
	v_add_co_ci_u32_e32 v29, vcc_lo, v1, v5, vcc_lo
	s_delay_alu instid0(VALU_DEP_1)
	v_cmpx_lt_i64_e64 v[28:29], v[26:27]
	s_cbranch_execz .LBB147_103
; %bb.18:
	s_waitcnt lgkmcnt(0)
	s_cmp_eq_u32 s1, 0
	s_mov_b32 s13, s37
	s_cselect_b32 s14, 1, 2
	s_cselect_b32 s15, 2, 1
	s_branch .LBB147_20
.LBB147_19:                             ;   in Loop: Header=BB147_20 Depth=1
	s_or_b32 exec_lo, exec_lo, s16
	v_add_co_u32 v28, vcc_lo, v28, 16
	v_add_co_ci_u32_e32 v29, vcc_lo, 0, v29, vcc_lo
	s_delay_alu instid0(VALU_DEP_1) | instskip(SKIP_1) | instid1(SALU_CYCLE_1)
	v_cmp_ge_i64_e32 vcc_lo, v[28:29], v[26:27]
	s_or_b32 s3, vcc_lo, s3
	s_and_not1_b32 exec_lo, exec_lo, s3
	s_cbranch_execz .LBB147_103
.LBB147_20:                             ; =>This Loop Header: Depth=1
                                        ;     Child Loop BB147_23 Depth 2
                                        ;       Child Loop BB147_25 Depth 3
                                        ;         Child Loop BB147_31 Depth 4
                                        ;         Child Loop BB147_33 Depth 4
                                        ;         Child Loop BB147_39 Depth 4
                                        ;         Child Loop BB147_41 Depth 4
                                        ;       Child Loop BB147_45 Depth 3
                                        ;         Child Loop BB147_51 Depth 4
                                        ;         Child Loop BB147_53 Depth 4
                                        ;         Child Loop BB147_59 Depth 4
                                        ;         Child Loop BB147_61 Depth 4
	;; [unrolled: 5-line block ×4, first 2 shown]
	v_lshlrev_b64 v[0:1], 3, v[28:29]
	s_mov_b32 s16, exec_lo
	s_delay_alu instid0(VALU_DEP_1) | instskip(NEXT) | instid1(VALU_DEP_2)
	v_add_co_u32 v0, vcc_lo, s26, v0
	v_add_co_ci_u32_e32 v1, vcc_lo, s27, v1, vcc_lo
	global_load_b64 v[0:1], v[0:1], off
	s_waitcnt vmcnt(0)
	v_sub_co_u32 v0, vcc_lo, v0, s36
	v_subrev_co_ci_u32_e32 v1, vcc_lo, 0, v1, vcc_lo
	s_delay_alu instid0(VALU_DEP_1) | instskip(NEXT) | instid1(VALU_DEP_1)
	v_lshlrev_b64 v[0:1], 3, v[0:1]
	v_add_co_u32 v0, vcc_lo, s30, v0
	s_delay_alu instid0(VALU_DEP_2)
	v_add_co_ci_u32_e32 v1, vcc_lo, s31, v1, vcc_lo
	global_load_b128 v[0:3], v[0:1], off
	s_waitcnt vmcnt(0)
	v_cmpx_lt_i64_e64 v[0:1], v[2:3]
	s_cbranch_execz .LBB147_19
; %bb.21:                               ;   in Loop: Header=BB147_20 Depth=1
	v_lshlrev_b64 v[4:5], 2, v[28:29]
	v_lshlrev_b64 v[6:7], 6, v[28:29]
	s_mov_b32 s17, 0
	s_delay_alu instid0(VALU_DEP_2) | instskip(NEXT) | instid1(VALU_DEP_3)
	v_or_b32_e32 v9, 0, v5
	v_or_b32_e32 v8, s14, v4
	;; [unrolled: 1-line block ×4, first 2 shown]
	v_add_co_u32 v10, vcc_lo, s28, v6
	s_delay_alu instid0(VALU_DEP_4) | instskip(SKIP_1) | instid1(VALU_DEP_4)
	v_lshlrev_b64 v[8:9], 4, v[8:9]
	v_add_co_ci_u32_e32 v11, vcc_lo, s29, v7, vcc_lo
	v_lshlrev_b64 v[12:13], 4, v[12:13]
	global_load_b128 v[4:7], v[10:11], off
	v_add_co_u32 v14, vcc_lo, s28, v8
	v_add_co_ci_u32_e32 v15, vcc_lo, s29, v9, vcc_lo
	v_add_co_u32 v30, vcc_lo, s28, v12
	v_add_co_ci_u32_e32 v31, vcc_lo, s29, v13, vcc_lo
	s_clause 0x2
	global_load_b128 v[8:11], v[10:11], off offset:48
	global_load_b128 v[12:15], v[14:15], off
	global_load_b128 v[44:47], v[30:31], off
	s_waitcnt vmcnt(3)
	v_mul_f64 v[30:31], v[6:7], -v[24:25]
	v_mul_f64 v[6:7], v[22:23], v[6:7]
	s_waitcnt vmcnt(2)
	v_mul_f64 v[34:35], v[10:11], -v[24:25]
	v_mul_f64 v[10:11], v[22:23], v[10:11]
	;; [unrolled: 3-line block ×4, first 2 shown]
	v_fma_f64 v[30:31], v[22:23], v[4:5], v[30:31]
	v_fma_f64 v[32:33], v[24:25], v[4:5], v[6:7]
	;; [unrolled: 1-line block ×8, first 2 shown]
	v_sub_co_u32 v46, vcc_lo, v2, s13
	v_subrev_co_ci_u32_e32 v47, vcc_lo, 0, v3, vcc_lo
	v_sub_co_u32 v48, vcc_lo, v0, s13
	v_subrev_co_ci_u32_e32 v49, vcc_lo, 0, v1, vcc_lo
	s_branch .LBB147_23
.LBB147_22:                             ;   in Loop: Header=BB147_23 Depth=2
	s_or_b32 exec_lo, exec_lo, s20
	v_add_co_u32 v48, vcc_lo, v48, 1
	v_add_co_ci_u32_e32 v49, vcc_lo, 0, v49, vcc_lo
	s_delay_alu instid0(VALU_DEP_1) | instskip(SKIP_1) | instid1(SALU_CYCLE_1)
	v_cmp_ge_i64_e32 vcc_lo, v[48:49], v[46:47]
	s_or_b32 s17, vcc_lo, s17
	s_and_not1_b32 exec_lo, exec_lo, s17
	s_cbranch_execz .LBB147_19
.LBB147_23:                             ;   Parent Loop BB147_20 Depth=1
                                        ; =>  This Loop Header: Depth=2
                                        ;       Child Loop BB147_25 Depth 3
                                        ;         Child Loop BB147_31 Depth 4
                                        ;         Child Loop BB147_33 Depth 4
                                        ;         Child Loop BB147_39 Depth 4
                                        ;         Child Loop BB147_41 Depth 4
                                        ;       Child Loop BB147_45 Depth 3
                                        ;         Child Loop BB147_51 Depth 4
                                        ;         Child Loop BB147_53 Depth 4
                                        ;         Child Loop BB147_59 Depth 4
                                        ;         Child Loop BB147_61 Depth 4
	;; [unrolled: 5-line block ×4, first 2 shown]
	s_delay_alu instid0(VALU_DEP_1) | instskip(SKIP_1) | instid1(VALU_DEP_1)
	v_lshlrev_b64 v[0:1], 2, v[48:49]
	s_mov_b32 s20, 0
	v_or_b32_e32 v3, 0, v1
	s_delay_alu instid0(VALU_DEP_2) | instskip(SKIP_2) | instid1(VALU_DEP_3)
	v_or_b32_e32 v2, s15, v0
	v_or_b32_e32 v1, 0, v1
	;; [unrolled: 1-line block ×3, first 2 shown]
	v_lshlrev_b64 v[2:3], 4, v[2:3]
	s_delay_alu instid0(VALU_DEP_2) | instskip(NEXT) | instid1(VALU_DEP_2)
	v_lshlrev_b64 v[0:1], 4, v[0:1]
	v_add_co_u32 v2, vcc_lo, s46, v2
	s_delay_alu instid0(VALU_DEP_3) | instskip(SKIP_2) | instid1(VALU_DEP_1)
	v_add_co_ci_u32_e32 v3, vcc_lo, s47, v3, vcc_lo
	global_load_b128 v[12:15], v[2:3], off
	v_lshlrev_b64 v[2:3], 6, v[48:49]
	v_add_co_u32 v4, vcc_lo, s46, v2
	s_delay_alu instid0(VALU_DEP_2)
	v_add_co_ci_u32_e32 v5, vcc_lo, s47, v3, vcc_lo
	v_lshlrev_b64 v[2:3], 3, v[48:49]
	global_load_b128 v[8:11], v[4:5], off
	v_add_co_u32 v2, vcc_lo, s44, v2
	v_add_co_ci_u32_e32 v3, vcc_lo, s45, v3, vcc_lo
	v_add_co_u32 v0, vcc_lo, s46, v0
	v_add_co_ci_u32_e32 v1, vcc_lo, s47, v1, vcc_lo
	global_load_b64 v[50:51], v[2:3], off
	s_clause 0x1
	global_load_b128 v[0:3], v[0:1], off
	global_load_b128 v[4:7], v[4:5], off offset:48
	s_waitcnt vmcnt(4)
	v_mul_f64 v[52:53], v[14:15], -v[40:41]
	v_mul_f64 v[54:55], v[38:39], v[14:15]
	s_waitcnt vmcnt(2)
	v_sub_co_u32 v50, vcc_lo, v50, s13
	v_subrev_co_ci_u32_e32 v51, vcc_lo, 0, v51, vcc_lo
	s_delay_alu instid0(VALU_DEP_4) | instskip(NEXT) | instid1(VALU_DEP_4)
	v_fma_f64 v[52:53], v[38:39], v[12:13], v[52:53]
	v_fma_f64 v[54:55], v[40:41], v[12:13], v[54:55]
	s_delay_alu instid0(VALU_DEP_2) | instskip(NEXT) | instid1(VALU_DEP_2)
	v_fma_f64 v[52:53], v[30:31], v[8:9], v[52:53]
	v_fma_f64 v[55:56], v[32:33], v[8:9], v[54:55]
	s_delay_alu instid0(VALU_DEP_2) | instskip(NEXT) | instid1(VALU_DEP_2)
	v_fma_f64 v[53:54], -v[32:33], v[10:11], v[52:53]
	v_fma_f64 v[55:56], v[30:31], v[10:11], v[55:56]
	v_and_b32_e32 v52, 7, v50
	s_delay_alu instid0(VALU_DEP_1)
	v_dual_mov_b32 v58, v53 :: v_dual_mov_b32 v57, v52
	s_branch .LBB147_25
.LBB147_24:                             ;   in Loop: Header=BB147_25 Depth=3
	s_or_b32 exec_lo, exec_lo, s21
	s_xor_b32 s21, s22, -1
	s_delay_alu instid0(SALU_CYCLE_1) | instskip(NEXT) | instid1(SALU_CYCLE_1)
	s_and_b32 s21, exec_lo, s21
	s_or_b32 s20, s21, s20
	s_delay_alu instid0(SALU_CYCLE_1)
	s_and_not1_b32 exec_lo, exec_lo, s20
	s_cbranch_execz .LBB147_43
.LBB147_25:                             ;   Parent Loop BB147_20 Depth=1
                                        ;     Parent Loop BB147_23 Depth=2
                                        ; =>    This Loop Header: Depth=3
                                        ;         Child Loop BB147_31 Depth 4
                                        ;         Child Loop BB147_33 Depth 4
	;; [unrolled: 1-line block ×4, first 2 shown]
	s_delay_alu instid0(VALU_DEP_1)
	v_lshl_add_u32 v63, v57, 3, v61
	s_mov_b32 s21, exec_lo
                                        ; implicit-def: $sgpr22
	ds_load_b64 v[58:59], v63
	s_waitcnt lgkmcnt(0)
	v_cmpx_ne_u64_e64 v[58:59], v[50:51]
	s_xor_b32 s21, exec_lo, s21
	s_cbranch_execz .LBB147_37
; %bb.26:                               ;   in Loop: Header=BB147_25 Depth=3
	s_mov_b32 s23, exec_lo
                                        ; implicit-def: $sgpr22
	v_cmpx_ne_u64_e64 s[18:19], v[58:59]
	s_xor_b32 s23, exec_lo, s23
; %bb.27:                               ;   in Loop: Header=BB147_25 Depth=3
	v_add_nc_u32_e32 v57, 1, v57
	s_mov_b32 s22, -1
                                        ; implicit-def: $vgpr63
	s_delay_alu instid0(VALU_DEP_1)
	v_and_b32_e32 v57, 7, v57
; %bb.28:                               ;   in Loop: Header=BB147_25 Depth=3
	s_and_not1_saveexec_b32 s23, s23
	s_cbranch_execz .LBB147_36
; %bb.29:                               ;   in Loop: Header=BB147_25 Depth=3
	v_dual_mov_b32 v59, s19 :: v_dual_mov_b32 v58, s18
	s_mov_b32 s25, -1
	s_mov_b32 s24, exec_lo
	ds_cmpstore_rtn_b64 v[58:59], v63, v[50:51], v[58:59]
	s_waitcnt lgkmcnt(0)
	v_cmpx_eq_u64_e64 s[18:19], v[58:59]
	s_cbranch_execz .LBB147_35
; %bb.30:                               ;   in Loop: Header=BB147_25 Depth=3
	v_lshlrev_b32_e32 v58, 6, v57
	s_mov_b32 s25, 0
	s_delay_alu instid0(VALU_DEP_1)
	v_add_nc_u32_e32 v63, v62, v58
	ds_load_b64 v[58:59], v63
.LBB147_31:                             ;   Parent Loop BB147_20 Depth=1
                                        ;     Parent Loop BB147_23 Depth=2
                                        ;       Parent Loop BB147_25 Depth=3
                                        ; =>      This Inner Loop Header: Depth=4
	s_waitcnt lgkmcnt(0)
	v_add_f64 v[64:65], v[58:59], v[53:54]
	ds_cmpstore_rtn_b64 v[64:65], v63, v[64:65], v[58:59]
	s_waitcnt lgkmcnt(0)
	v_cmp_eq_u64_e32 vcc_lo, v[64:65], v[58:59]
	v_dual_mov_b32 v58, v64 :: v_dual_mov_b32 v59, v65
	s_or_b32 s25, vcc_lo, s25
	s_delay_alu instid0(SALU_CYCLE_1)
	s_and_not1_b32 exec_lo, exec_lo, s25
	s_cbranch_execnz .LBB147_31
; %bb.32:                               ;   in Loop: Header=BB147_25 Depth=3
	s_or_b32 exec_lo, exec_lo, s25
	ds_load_b64 v[58:59], v63 offset:8
	s_mov_b32 s25, 0
.LBB147_33:                             ;   Parent Loop BB147_20 Depth=1
                                        ;     Parent Loop BB147_23 Depth=2
                                        ;       Parent Loop BB147_25 Depth=3
                                        ; =>      This Inner Loop Header: Depth=4
	s_waitcnt lgkmcnt(0)
	v_add_f64 v[64:65], v[58:59], v[55:56]
	ds_cmpstore_rtn_b64 v[64:65], v63, v[64:65], v[58:59] offset:8
	s_waitcnt lgkmcnt(0)
	v_cmp_eq_u64_e32 vcc_lo, v[64:65], v[58:59]
	v_dual_mov_b32 v58, v64 :: v_dual_mov_b32 v59, v65
	s_or_b32 s25, vcc_lo, s25
	s_delay_alu instid0(SALU_CYCLE_1)
	s_and_not1_b32 exec_lo, exec_lo, s25
	s_cbranch_execnz .LBB147_33
; %bb.34:                               ;   in Loop: Header=BB147_25 Depth=3
	s_or_b32 exec_lo, exec_lo, s25
	s_delay_alu instid0(SALU_CYCLE_1)
	s_xor_b32 s25, exec_lo, -1
.LBB147_35:                             ;   in Loop: Header=BB147_25 Depth=3
	s_or_b32 exec_lo, exec_lo, s24
	s_delay_alu instid0(SALU_CYCLE_1) | instskip(SKIP_1) | instid1(SALU_CYCLE_1)
	s_and_not1_b32 s22, s22, exec_lo
	s_and_b32 s24, s25, exec_lo
	s_or_b32 s22, s22, s24
.LBB147_36:                             ;   in Loop: Header=BB147_25 Depth=3
	s_or_b32 exec_lo, exec_lo, s23
	s_delay_alu instid0(SALU_CYCLE_1)
	s_and_b32 s22, s22, exec_lo
.LBB147_37:                             ;   in Loop: Header=BB147_25 Depth=3
	s_and_not1_saveexec_b32 s21, s21
	s_cbranch_execz .LBB147_24
; %bb.38:                               ;   in Loop: Header=BB147_25 Depth=3
	v_lshlrev_b32_e32 v58, 6, v57
	s_mov_b32 s23, 0
	s_delay_alu instid0(VALU_DEP_1)
	v_add_nc_u32_e32 v63, v62, v58
	ds_load_b64 v[58:59], v63
.LBB147_39:                             ;   Parent Loop BB147_20 Depth=1
                                        ;     Parent Loop BB147_23 Depth=2
                                        ;       Parent Loop BB147_25 Depth=3
                                        ; =>      This Inner Loop Header: Depth=4
	s_waitcnt lgkmcnt(0)
	v_add_f64 v[64:65], v[58:59], v[53:54]
	ds_cmpstore_rtn_b64 v[64:65], v63, v[64:65], v[58:59]
	s_waitcnt lgkmcnt(0)
	v_cmp_eq_u64_e32 vcc_lo, v[64:65], v[58:59]
	v_dual_mov_b32 v58, v64 :: v_dual_mov_b32 v59, v65
	s_or_b32 s23, vcc_lo, s23
	s_delay_alu instid0(SALU_CYCLE_1)
	s_and_not1_b32 exec_lo, exec_lo, s23
	s_cbranch_execnz .LBB147_39
; %bb.40:                               ;   in Loop: Header=BB147_25 Depth=3
	s_or_b32 exec_lo, exec_lo, s23
	ds_load_b64 v[58:59], v63 offset:8
	s_mov_b32 s23, 0
.LBB147_41:                             ;   Parent Loop BB147_20 Depth=1
                                        ;     Parent Loop BB147_23 Depth=2
                                        ;       Parent Loop BB147_25 Depth=3
                                        ; =>      This Inner Loop Header: Depth=4
	s_waitcnt lgkmcnt(0)
	v_add_f64 v[64:65], v[58:59], v[55:56]
	ds_cmpstore_rtn_b64 v[64:65], v63, v[64:65], v[58:59] offset:8
	s_waitcnt lgkmcnt(0)
	v_cmp_eq_u64_e32 vcc_lo, v[64:65], v[58:59]
	v_dual_mov_b32 v58, v64 :: v_dual_mov_b32 v59, v65
	s_or_b32 s23, vcc_lo, s23
	s_delay_alu instid0(SALU_CYCLE_1)
	s_and_not1_b32 exec_lo, exec_lo, s23
	s_cbranch_execnz .LBB147_41
; %bb.42:                               ;   in Loop: Header=BB147_25 Depth=3
	s_or_b32 exec_lo, exec_lo, s23
	s_delay_alu instid0(SALU_CYCLE_1)
	s_and_not1_b32 s22, s22, exec_lo
	s_branch .LBB147_24
.LBB147_43:                             ;   in Loop: Header=BB147_23 Depth=2
	s_or_b32 exec_lo, exec_lo, s20
	s_waitcnt vmcnt(0)
	v_mul_f64 v[53:54], v[6:7], -v[40:41]
	v_mul_f64 v[55:56], v[38:39], v[6:7]
	s_mov_b32 s20, 0
	s_delay_alu instid0(VALU_DEP_2) | instskip(NEXT) | instid1(VALU_DEP_2)
	v_fma_f64 v[53:54], v[38:39], v[4:5], v[53:54]
	v_fma_f64 v[55:56], v[40:41], v[4:5], v[55:56]
	s_delay_alu instid0(VALU_DEP_2) | instskip(NEXT) | instid1(VALU_DEP_2)
	v_fma_f64 v[53:54], v[30:31], v[0:1], v[53:54]
	v_fma_f64 v[55:56], v[32:33], v[0:1], v[55:56]
	s_delay_alu instid0(VALU_DEP_2) | instskip(NEXT) | instid1(VALU_DEP_2)
	v_fma_f64 v[53:54], -v[32:33], v[2:3], v[53:54]
	v_fma_f64 v[55:56], v[30:31], v[2:3], v[55:56]
	s_delay_alu instid0(VALU_DEP_2)
	v_dual_mov_b32 v58, v53 :: v_dual_mov_b32 v57, v52
	s_branch .LBB147_45
.LBB147_44:                             ;   in Loop: Header=BB147_45 Depth=3
	s_or_b32 exec_lo, exec_lo, s21
	s_xor_b32 s21, s22, -1
	s_delay_alu instid0(SALU_CYCLE_1) | instskip(NEXT) | instid1(SALU_CYCLE_1)
	s_and_b32 s21, exec_lo, s21
	s_or_b32 s20, s21, s20
	s_delay_alu instid0(SALU_CYCLE_1)
	s_and_not1_b32 exec_lo, exec_lo, s20
	s_cbranch_execz .LBB147_63
.LBB147_45:                             ;   Parent Loop BB147_20 Depth=1
                                        ;     Parent Loop BB147_23 Depth=2
                                        ; =>    This Loop Header: Depth=3
                                        ;         Child Loop BB147_51 Depth 4
                                        ;         Child Loop BB147_53 Depth 4
	;; [unrolled: 1-line block ×4, first 2 shown]
	s_delay_alu instid0(VALU_DEP_1)
	v_lshl_add_u32 v63, v57, 3, v61
	s_mov_b32 s21, exec_lo
                                        ; implicit-def: $sgpr22
	ds_load_b64 v[58:59], v63
	s_waitcnt lgkmcnt(0)
	v_cmpx_ne_u64_e64 v[58:59], v[50:51]
	s_xor_b32 s21, exec_lo, s21
	s_cbranch_execz .LBB147_57
; %bb.46:                               ;   in Loop: Header=BB147_45 Depth=3
	s_mov_b32 s23, exec_lo
                                        ; implicit-def: $sgpr22
	v_cmpx_ne_u64_e64 s[18:19], v[58:59]
	s_xor_b32 s23, exec_lo, s23
; %bb.47:                               ;   in Loop: Header=BB147_45 Depth=3
	v_add_nc_u32_e32 v57, 1, v57
	s_mov_b32 s22, -1
                                        ; implicit-def: $vgpr63
	s_delay_alu instid0(VALU_DEP_1)
	v_and_b32_e32 v57, 7, v57
; %bb.48:                               ;   in Loop: Header=BB147_45 Depth=3
	s_and_not1_saveexec_b32 s23, s23
	s_cbranch_execz .LBB147_56
; %bb.49:                               ;   in Loop: Header=BB147_45 Depth=3
	v_dual_mov_b32 v59, s19 :: v_dual_mov_b32 v58, s18
	s_mov_b32 s25, -1
	s_mov_b32 s24, exec_lo
	ds_cmpstore_rtn_b64 v[58:59], v63, v[50:51], v[58:59]
	s_waitcnt lgkmcnt(0)
	v_cmpx_eq_u64_e64 s[18:19], v[58:59]
	s_cbranch_execz .LBB147_55
; %bb.50:                               ;   in Loop: Header=BB147_45 Depth=3
	v_lshlrev_b32_e32 v58, 6, v57
	s_mov_b32 s25, 0
	s_delay_alu instid0(VALU_DEP_1)
	v_add_nc_u32_e32 v63, v62, v58
	ds_load_b64 v[58:59], v63 offset:16
.LBB147_51:                             ;   Parent Loop BB147_20 Depth=1
                                        ;     Parent Loop BB147_23 Depth=2
                                        ;       Parent Loop BB147_45 Depth=3
                                        ; =>      This Inner Loop Header: Depth=4
	s_waitcnt lgkmcnt(0)
	v_add_f64 v[64:65], v[58:59], v[53:54]
	ds_cmpstore_rtn_b64 v[64:65], v63, v[64:65], v[58:59] offset:16
	s_waitcnt lgkmcnt(0)
	v_cmp_eq_u64_e32 vcc_lo, v[64:65], v[58:59]
	v_dual_mov_b32 v58, v64 :: v_dual_mov_b32 v59, v65
	s_or_b32 s25, vcc_lo, s25
	s_delay_alu instid0(SALU_CYCLE_1)
	s_and_not1_b32 exec_lo, exec_lo, s25
	s_cbranch_execnz .LBB147_51
; %bb.52:                               ;   in Loop: Header=BB147_45 Depth=3
	s_or_b32 exec_lo, exec_lo, s25
	ds_load_b64 v[58:59], v63 offset:24
	s_mov_b32 s25, 0
.LBB147_53:                             ;   Parent Loop BB147_20 Depth=1
                                        ;     Parent Loop BB147_23 Depth=2
                                        ;       Parent Loop BB147_45 Depth=3
                                        ; =>      This Inner Loop Header: Depth=4
	s_waitcnt lgkmcnt(0)
	v_add_f64 v[64:65], v[58:59], v[55:56]
	ds_cmpstore_rtn_b64 v[64:65], v63, v[64:65], v[58:59] offset:24
	s_waitcnt lgkmcnt(0)
	v_cmp_eq_u64_e32 vcc_lo, v[64:65], v[58:59]
	v_dual_mov_b32 v58, v64 :: v_dual_mov_b32 v59, v65
	s_or_b32 s25, vcc_lo, s25
	s_delay_alu instid0(SALU_CYCLE_1)
	s_and_not1_b32 exec_lo, exec_lo, s25
	s_cbranch_execnz .LBB147_53
; %bb.54:                               ;   in Loop: Header=BB147_45 Depth=3
	s_or_b32 exec_lo, exec_lo, s25
	s_delay_alu instid0(SALU_CYCLE_1)
	s_xor_b32 s25, exec_lo, -1
.LBB147_55:                             ;   in Loop: Header=BB147_45 Depth=3
	s_or_b32 exec_lo, exec_lo, s24
	s_delay_alu instid0(SALU_CYCLE_1) | instskip(SKIP_1) | instid1(SALU_CYCLE_1)
	s_and_not1_b32 s22, s22, exec_lo
	s_and_b32 s24, s25, exec_lo
	s_or_b32 s22, s22, s24
.LBB147_56:                             ;   in Loop: Header=BB147_45 Depth=3
	s_or_b32 exec_lo, exec_lo, s23
	s_delay_alu instid0(SALU_CYCLE_1)
	s_and_b32 s22, s22, exec_lo
.LBB147_57:                             ;   in Loop: Header=BB147_45 Depth=3
	s_and_not1_saveexec_b32 s21, s21
	s_cbranch_execz .LBB147_44
; %bb.58:                               ;   in Loop: Header=BB147_45 Depth=3
	v_lshlrev_b32_e32 v58, 6, v57
	s_mov_b32 s23, 0
	s_delay_alu instid0(VALU_DEP_1)
	v_add_nc_u32_e32 v63, v62, v58
	ds_load_b64 v[58:59], v63 offset:16
.LBB147_59:                             ;   Parent Loop BB147_20 Depth=1
                                        ;     Parent Loop BB147_23 Depth=2
                                        ;       Parent Loop BB147_45 Depth=3
                                        ; =>      This Inner Loop Header: Depth=4
	s_waitcnt lgkmcnt(0)
	v_add_f64 v[64:65], v[58:59], v[53:54]
	ds_cmpstore_rtn_b64 v[64:65], v63, v[64:65], v[58:59] offset:16
	s_waitcnt lgkmcnt(0)
	v_cmp_eq_u64_e32 vcc_lo, v[64:65], v[58:59]
	v_dual_mov_b32 v58, v64 :: v_dual_mov_b32 v59, v65
	s_or_b32 s23, vcc_lo, s23
	s_delay_alu instid0(SALU_CYCLE_1)
	s_and_not1_b32 exec_lo, exec_lo, s23
	s_cbranch_execnz .LBB147_59
; %bb.60:                               ;   in Loop: Header=BB147_45 Depth=3
	s_or_b32 exec_lo, exec_lo, s23
	ds_load_b64 v[58:59], v63 offset:24
	s_mov_b32 s23, 0
.LBB147_61:                             ;   Parent Loop BB147_20 Depth=1
                                        ;     Parent Loop BB147_23 Depth=2
                                        ;       Parent Loop BB147_45 Depth=3
                                        ; =>      This Inner Loop Header: Depth=4
	s_waitcnt lgkmcnt(0)
	v_add_f64 v[64:65], v[58:59], v[55:56]
	ds_cmpstore_rtn_b64 v[64:65], v63, v[64:65], v[58:59] offset:24
	s_waitcnt lgkmcnt(0)
	v_cmp_eq_u64_e32 vcc_lo, v[64:65], v[58:59]
	v_dual_mov_b32 v58, v64 :: v_dual_mov_b32 v59, v65
	s_or_b32 s23, vcc_lo, s23
	s_delay_alu instid0(SALU_CYCLE_1)
	s_and_not1_b32 exec_lo, exec_lo, s23
	s_cbranch_execnz .LBB147_61
; %bb.62:                               ;   in Loop: Header=BB147_45 Depth=3
	s_or_b32 exec_lo, exec_lo, s23
	s_delay_alu instid0(SALU_CYCLE_1)
	s_and_not1_b32 s22, s22, exec_lo
	s_branch .LBB147_44
.LBB147_63:                             ;   in Loop: Header=BB147_23 Depth=2
	s_or_b32 exec_lo, exec_lo, s20
	v_mul_f64 v[53:54], v[14:15], -v[36:37]
	v_mul_f64 v[14:15], v[34:35], v[14:15]
	s_mov_b32 s20, 0
	s_delay_alu instid0(VALU_DEP_2) | instskip(NEXT) | instid1(VALU_DEP_2)
	v_fma_f64 v[53:54], v[34:35], v[12:13], v[53:54]
	v_fma_f64 v[12:13], v[36:37], v[12:13], v[14:15]
	s_delay_alu instid0(VALU_DEP_2) | instskip(NEXT) | instid1(VALU_DEP_2)
	v_fma_f64 v[14:15], v[42:43], v[8:9], v[53:54]
	v_fma_f64 v[12:13], v[44:45], v[8:9], v[12:13]
	s_delay_alu instid0(VALU_DEP_2) | instskip(NEXT) | instid1(VALU_DEP_2)
	v_fma_f64 v[8:9], -v[44:45], v[10:11], v[14:15]
	v_fma_f64 v[10:11], v[42:43], v[10:11], v[12:13]
	v_dual_mov_b32 v12, v52 :: v_dual_mov_b32 v13, v53
	s_branch .LBB147_65
.LBB147_64:                             ;   in Loop: Header=BB147_65 Depth=3
	s_or_b32 exec_lo, exec_lo, s21
	s_xor_b32 s21, s22, -1
	s_delay_alu instid0(SALU_CYCLE_1) | instskip(NEXT) | instid1(SALU_CYCLE_1)
	s_and_b32 s21, exec_lo, s21
	s_or_b32 s20, s21, s20
	s_delay_alu instid0(SALU_CYCLE_1)
	s_and_not1_b32 exec_lo, exec_lo, s20
	s_cbranch_execz .LBB147_83
.LBB147_65:                             ;   Parent Loop BB147_20 Depth=1
                                        ;     Parent Loop BB147_23 Depth=2
                                        ; =>    This Loop Header: Depth=3
                                        ;         Child Loop BB147_71 Depth 4
                                        ;         Child Loop BB147_73 Depth 4
	;; [unrolled: 1-line block ×4, first 2 shown]
	s_delay_alu instid0(VALU_DEP_1)
	v_lshl_add_u32 v15, v12, 3, v61
	s_mov_b32 s21, exec_lo
                                        ; implicit-def: $sgpr22
	ds_load_b64 v[13:14], v15
	s_waitcnt lgkmcnt(0)
	v_cmpx_ne_u64_e64 v[13:14], v[50:51]
	s_xor_b32 s21, exec_lo, s21
	s_cbranch_execz .LBB147_77
; %bb.66:                               ;   in Loop: Header=BB147_65 Depth=3
	s_mov_b32 s23, exec_lo
                                        ; implicit-def: $sgpr22
	v_cmpx_ne_u64_e64 s[18:19], v[13:14]
	s_xor_b32 s23, exec_lo, s23
; %bb.67:                               ;   in Loop: Header=BB147_65 Depth=3
	v_add_nc_u32_e32 v12, 1, v12
	s_mov_b32 s22, -1
                                        ; implicit-def: $vgpr15
	s_delay_alu instid0(VALU_DEP_1)
	v_and_b32_e32 v12, 7, v12
; %bb.68:                               ;   in Loop: Header=BB147_65 Depth=3
	s_and_not1_saveexec_b32 s23, s23
	s_cbranch_execz .LBB147_76
; %bb.69:                               ;   in Loop: Header=BB147_65 Depth=3
	v_dual_mov_b32 v13, s18 :: v_dual_mov_b32 v14, s19
	s_mov_b32 s25, -1
	s_mov_b32 s24, exec_lo
	ds_cmpstore_rtn_b64 v[13:14], v15, v[50:51], v[13:14]
	s_waitcnt lgkmcnt(0)
	v_cmpx_eq_u64_e64 s[18:19], v[13:14]
	s_cbranch_execz .LBB147_75
; %bb.70:                               ;   in Loop: Header=BB147_65 Depth=3
	v_lshlrev_b32_e32 v13, 6, v12
	s_mov_b32 s25, 0
	s_delay_alu instid0(VALU_DEP_1)
	v_add_nc_u32_e32 v15, v62, v13
	ds_load_b64 v[13:14], v15 offset:32
.LBB147_71:                             ;   Parent Loop BB147_20 Depth=1
                                        ;     Parent Loop BB147_23 Depth=2
                                        ;       Parent Loop BB147_65 Depth=3
                                        ; =>      This Inner Loop Header: Depth=4
	s_waitcnt lgkmcnt(0)
	v_add_f64 v[53:54], v[13:14], v[8:9]
	ds_cmpstore_rtn_b64 v[53:54], v15, v[53:54], v[13:14] offset:32
	s_waitcnt lgkmcnt(0)
	v_cmp_eq_u64_e32 vcc_lo, v[53:54], v[13:14]
	v_dual_mov_b32 v13, v53 :: v_dual_mov_b32 v14, v54
	s_or_b32 s25, vcc_lo, s25
	s_delay_alu instid0(SALU_CYCLE_1)
	s_and_not1_b32 exec_lo, exec_lo, s25
	s_cbranch_execnz .LBB147_71
; %bb.72:                               ;   in Loop: Header=BB147_65 Depth=3
	s_or_b32 exec_lo, exec_lo, s25
	ds_load_b64 v[13:14], v15 offset:40
	s_mov_b32 s25, 0
.LBB147_73:                             ;   Parent Loop BB147_20 Depth=1
                                        ;     Parent Loop BB147_23 Depth=2
                                        ;       Parent Loop BB147_65 Depth=3
                                        ; =>      This Inner Loop Header: Depth=4
	s_waitcnt lgkmcnt(0)
	v_add_f64 v[53:54], v[13:14], v[10:11]
	ds_cmpstore_rtn_b64 v[53:54], v15, v[53:54], v[13:14] offset:40
	s_waitcnt lgkmcnt(0)
	v_cmp_eq_u64_e32 vcc_lo, v[53:54], v[13:14]
	v_dual_mov_b32 v13, v53 :: v_dual_mov_b32 v14, v54
	s_or_b32 s25, vcc_lo, s25
	s_delay_alu instid0(SALU_CYCLE_1)
	s_and_not1_b32 exec_lo, exec_lo, s25
	s_cbranch_execnz .LBB147_73
; %bb.74:                               ;   in Loop: Header=BB147_65 Depth=3
	s_or_b32 exec_lo, exec_lo, s25
	s_delay_alu instid0(SALU_CYCLE_1)
	s_xor_b32 s25, exec_lo, -1
.LBB147_75:                             ;   in Loop: Header=BB147_65 Depth=3
	s_or_b32 exec_lo, exec_lo, s24
	s_delay_alu instid0(SALU_CYCLE_1) | instskip(SKIP_1) | instid1(SALU_CYCLE_1)
	s_and_not1_b32 s22, s22, exec_lo
	s_and_b32 s24, s25, exec_lo
	s_or_b32 s22, s22, s24
.LBB147_76:                             ;   in Loop: Header=BB147_65 Depth=3
	s_or_b32 exec_lo, exec_lo, s23
	s_delay_alu instid0(SALU_CYCLE_1)
	s_and_b32 s22, s22, exec_lo
.LBB147_77:                             ;   in Loop: Header=BB147_65 Depth=3
	s_and_not1_saveexec_b32 s21, s21
	s_cbranch_execz .LBB147_64
; %bb.78:                               ;   in Loop: Header=BB147_65 Depth=3
	v_lshlrev_b32_e32 v13, 6, v12
	s_mov_b32 s23, 0
	s_delay_alu instid0(VALU_DEP_1)
	v_add_nc_u32_e32 v15, v62, v13
	ds_load_b64 v[13:14], v15 offset:32
.LBB147_79:                             ;   Parent Loop BB147_20 Depth=1
                                        ;     Parent Loop BB147_23 Depth=2
                                        ;       Parent Loop BB147_65 Depth=3
                                        ; =>      This Inner Loop Header: Depth=4
	s_waitcnt lgkmcnt(0)
	v_add_f64 v[53:54], v[13:14], v[8:9]
	ds_cmpstore_rtn_b64 v[53:54], v15, v[53:54], v[13:14] offset:32
	s_waitcnt lgkmcnt(0)
	v_cmp_eq_u64_e32 vcc_lo, v[53:54], v[13:14]
	v_dual_mov_b32 v13, v53 :: v_dual_mov_b32 v14, v54
	s_or_b32 s23, vcc_lo, s23
	s_delay_alu instid0(SALU_CYCLE_1)
	s_and_not1_b32 exec_lo, exec_lo, s23
	s_cbranch_execnz .LBB147_79
; %bb.80:                               ;   in Loop: Header=BB147_65 Depth=3
	s_or_b32 exec_lo, exec_lo, s23
	ds_load_b64 v[13:14], v15 offset:40
	s_mov_b32 s23, 0
.LBB147_81:                             ;   Parent Loop BB147_20 Depth=1
                                        ;     Parent Loop BB147_23 Depth=2
                                        ;       Parent Loop BB147_65 Depth=3
                                        ; =>      This Inner Loop Header: Depth=4
	s_waitcnt lgkmcnt(0)
	v_add_f64 v[53:54], v[13:14], v[10:11]
	ds_cmpstore_rtn_b64 v[53:54], v15, v[53:54], v[13:14] offset:40
	s_waitcnt lgkmcnt(0)
	v_cmp_eq_u64_e32 vcc_lo, v[53:54], v[13:14]
	v_dual_mov_b32 v13, v53 :: v_dual_mov_b32 v14, v54
	s_or_b32 s23, vcc_lo, s23
	s_delay_alu instid0(SALU_CYCLE_1)
	s_and_not1_b32 exec_lo, exec_lo, s23
	s_cbranch_execnz .LBB147_81
; %bb.82:                               ;   in Loop: Header=BB147_65 Depth=3
	s_or_b32 exec_lo, exec_lo, s23
	s_delay_alu instid0(SALU_CYCLE_1)
	s_and_not1_b32 s22, s22, exec_lo
	s_branch .LBB147_64
.LBB147_83:                             ;   in Loop: Header=BB147_23 Depth=2
	s_or_b32 exec_lo, exec_lo, s20
	v_mul_f64 v[8:9], v[6:7], -v[36:37]
	v_mul_f64 v[6:7], v[34:35], v[6:7]
	s_mov_b32 s20, 0
	s_delay_alu instid0(VALU_DEP_2) | instskip(NEXT) | instid1(VALU_DEP_2)
	v_fma_f64 v[8:9], v[34:35], v[4:5], v[8:9]
	v_fma_f64 v[4:5], v[36:37], v[4:5], v[6:7]
	s_delay_alu instid0(VALU_DEP_2) | instskip(NEXT) | instid1(VALU_DEP_2)
	v_fma_f64 v[6:7], v[42:43], v[0:1], v[8:9]
	v_fma_f64 v[4:5], v[44:45], v[0:1], v[4:5]
	s_delay_alu instid0(VALU_DEP_2) | instskip(NEXT) | instid1(VALU_DEP_2)
	v_fma_f64 v[0:1], -v[44:45], v[2:3], v[6:7]
	v_fma_f64 v[2:3], v[42:43], v[2:3], v[4:5]
	s_branch .LBB147_85
.LBB147_84:                             ;   in Loop: Header=BB147_85 Depth=3
	s_or_b32 exec_lo, exec_lo, s21
	s_xor_b32 s21, s22, -1
	s_delay_alu instid0(SALU_CYCLE_1) | instskip(NEXT) | instid1(SALU_CYCLE_1)
	s_and_b32 s21, exec_lo, s21
	s_or_b32 s20, s21, s20
	s_delay_alu instid0(SALU_CYCLE_1)
	s_and_not1_b32 exec_lo, exec_lo, s20
	s_cbranch_execz .LBB147_22
.LBB147_85:                             ;   Parent Loop BB147_20 Depth=1
                                        ;     Parent Loop BB147_23 Depth=2
                                        ; =>    This Loop Header: Depth=3
                                        ;         Child Loop BB147_91 Depth 4
                                        ;         Child Loop BB147_93 Depth 4
	;; [unrolled: 1-line block ×4, first 2 shown]
	v_lshl_add_u32 v6, v52, 3, v61
	s_mov_b32 s21, exec_lo
                                        ; implicit-def: $sgpr22
	ds_load_b64 v[4:5], v6
	s_waitcnt lgkmcnt(0)
	v_cmpx_ne_u64_e64 v[4:5], v[50:51]
	s_xor_b32 s21, exec_lo, s21
	s_cbranch_execz .LBB147_97
; %bb.86:                               ;   in Loop: Header=BB147_85 Depth=3
	s_mov_b32 s23, exec_lo
                                        ; implicit-def: $sgpr22
	v_cmpx_ne_u64_e64 s[18:19], v[4:5]
	s_xor_b32 s23, exec_lo, s23
; %bb.87:                               ;   in Loop: Header=BB147_85 Depth=3
	v_add_nc_u32_e32 v4, 1, v52
	s_mov_b32 s22, -1
                                        ; implicit-def: $vgpr6
	s_delay_alu instid0(VALU_DEP_1)
	v_and_b32_e32 v52, 7, v4
; %bb.88:                               ;   in Loop: Header=BB147_85 Depth=3
	s_and_not1_saveexec_b32 s23, s23
	s_cbranch_execz .LBB147_96
; %bb.89:                               ;   in Loop: Header=BB147_85 Depth=3
	v_dual_mov_b32 v4, s18 :: v_dual_mov_b32 v5, s19
	s_mov_b32 s25, -1
	s_mov_b32 s24, exec_lo
	ds_cmpstore_rtn_b64 v[4:5], v6, v[50:51], v[4:5]
	s_waitcnt lgkmcnt(0)
	v_cmpx_eq_u64_e64 s[18:19], v[4:5]
	s_cbranch_execz .LBB147_95
; %bb.90:                               ;   in Loop: Header=BB147_85 Depth=3
	v_lshlrev_b32_e32 v4, 6, v52
	s_mov_b32 s25, 0
	s_delay_alu instid0(VALU_DEP_1)
	v_add_nc_u32_e32 v6, v62, v4
	ds_load_b64 v[4:5], v6 offset:48
.LBB147_91:                             ;   Parent Loop BB147_20 Depth=1
                                        ;     Parent Loop BB147_23 Depth=2
                                        ;       Parent Loop BB147_85 Depth=3
                                        ; =>      This Inner Loop Header: Depth=4
	s_waitcnt lgkmcnt(0)
	v_add_f64 v[7:8], v[4:5], v[0:1]
	ds_cmpstore_rtn_b64 v[7:8], v6, v[7:8], v[4:5] offset:48
	s_waitcnt lgkmcnt(0)
	v_cmp_eq_u64_e32 vcc_lo, v[7:8], v[4:5]
	v_dual_mov_b32 v4, v7 :: v_dual_mov_b32 v5, v8
	s_or_b32 s25, vcc_lo, s25
	s_delay_alu instid0(SALU_CYCLE_1)
	s_and_not1_b32 exec_lo, exec_lo, s25
	s_cbranch_execnz .LBB147_91
; %bb.92:                               ;   in Loop: Header=BB147_85 Depth=3
	s_or_b32 exec_lo, exec_lo, s25
	ds_load_b64 v[4:5], v6 offset:56
	s_mov_b32 s25, 0
.LBB147_93:                             ;   Parent Loop BB147_20 Depth=1
                                        ;     Parent Loop BB147_23 Depth=2
                                        ;       Parent Loop BB147_85 Depth=3
                                        ; =>      This Inner Loop Header: Depth=4
	s_waitcnt lgkmcnt(0)
	v_add_f64 v[7:8], v[4:5], v[2:3]
	ds_cmpstore_rtn_b64 v[7:8], v6, v[7:8], v[4:5] offset:56
	s_waitcnt lgkmcnt(0)
	v_cmp_eq_u64_e32 vcc_lo, v[7:8], v[4:5]
	v_dual_mov_b32 v4, v7 :: v_dual_mov_b32 v5, v8
	s_or_b32 s25, vcc_lo, s25
	s_delay_alu instid0(SALU_CYCLE_1)
	s_and_not1_b32 exec_lo, exec_lo, s25
	s_cbranch_execnz .LBB147_93
; %bb.94:                               ;   in Loop: Header=BB147_85 Depth=3
	s_or_b32 exec_lo, exec_lo, s25
	s_delay_alu instid0(SALU_CYCLE_1)
	s_xor_b32 s25, exec_lo, -1
.LBB147_95:                             ;   in Loop: Header=BB147_85 Depth=3
	s_or_b32 exec_lo, exec_lo, s24
	s_delay_alu instid0(SALU_CYCLE_1) | instskip(SKIP_1) | instid1(SALU_CYCLE_1)
	s_and_not1_b32 s22, s22, exec_lo
	s_and_b32 s24, s25, exec_lo
	s_or_b32 s22, s22, s24
.LBB147_96:                             ;   in Loop: Header=BB147_85 Depth=3
	s_or_b32 exec_lo, exec_lo, s23
	s_delay_alu instid0(SALU_CYCLE_1)
	s_and_b32 s22, s22, exec_lo
.LBB147_97:                             ;   in Loop: Header=BB147_85 Depth=3
	s_and_not1_saveexec_b32 s21, s21
	s_cbranch_execz .LBB147_84
; %bb.98:                               ;   in Loop: Header=BB147_85 Depth=3
	v_lshlrev_b32_e32 v4, 6, v52
	s_mov_b32 s23, 0
	s_delay_alu instid0(VALU_DEP_1)
	v_add_nc_u32_e32 v6, v62, v4
	ds_load_b64 v[4:5], v6 offset:48
.LBB147_99:                             ;   Parent Loop BB147_20 Depth=1
                                        ;     Parent Loop BB147_23 Depth=2
                                        ;       Parent Loop BB147_85 Depth=3
                                        ; =>      This Inner Loop Header: Depth=4
	s_waitcnt lgkmcnt(0)
	v_add_f64 v[7:8], v[4:5], v[0:1]
	ds_cmpstore_rtn_b64 v[7:8], v6, v[7:8], v[4:5] offset:48
	s_waitcnt lgkmcnt(0)
	v_cmp_eq_u64_e32 vcc_lo, v[7:8], v[4:5]
	v_dual_mov_b32 v4, v7 :: v_dual_mov_b32 v5, v8
	s_or_b32 s23, vcc_lo, s23
	s_delay_alu instid0(SALU_CYCLE_1)
	s_and_not1_b32 exec_lo, exec_lo, s23
	s_cbranch_execnz .LBB147_99
; %bb.100:                              ;   in Loop: Header=BB147_85 Depth=3
	s_or_b32 exec_lo, exec_lo, s23
	ds_load_b64 v[4:5], v6 offset:56
	s_mov_b32 s23, 0
.LBB147_101:                            ;   Parent Loop BB147_20 Depth=1
                                        ;     Parent Loop BB147_23 Depth=2
                                        ;       Parent Loop BB147_85 Depth=3
                                        ; =>      This Inner Loop Header: Depth=4
	s_waitcnt lgkmcnt(0)
	v_add_f64 v[7:8], v[4:5], v[2:3]
	ds_cmpstore_rtn_b64 v[7:8], v6, v[7:8], v[4:5] offset:56
	s_waitcnt lgkmcnt(0)
	v_cmp_eq_u64_e32 vcc_lo, v[7:8], v[4:5]
	v_dual_mov_b32 v4, v7 :: v_dual_mov_b32 v5, v8
	s_or_b32 s23, vcc_lo, s23
	s_delay_alu instid0(SALU_CYCLE_1)
	s_and_not1_b32 exec_lo, exec_lo, s23
	s_cbranch_execnz .LBB147_101
; %bb.102:                              ;   in Loop: Header=BB147_85 Depth=3
	s_or_b32 exec_lo, exec_lo, s23
	s_delay_alu instid0(SALU_CYCLE_1)
	s_and_not1_b32 s22, s22, exec_lo
	s_branch .LBB147_84
.LBB147_103:
	s_or_b32 exec_lo, exec_lo, s2
	s_delay_alu instid0(SALU_CYCLE_1)
	s_and_not1_b32 vcc_lo, exec_lo, s12
	s_waitcnt lgkmcnt(0)
	buffer_gl0_inv
	s_cbranch_vccnz .LBB147_15
.LBB147_104:
	v_lshlrev_b64 v[0:1], 3, v[20:21]
	v_sub_co_u32 v4, s2, v60, s39
	s_delay_alu instid0(VALU_DEP_1) | instskip(SKIP_1) | instid1(VALU_DEP_3)
	v_sub_co_ci_u32_e64 v5, null, 0, 0, s2
	s_mov_b32 s2, 0
	v_add_co_u32 v0, vcc_lo, s4, v0
	s_delay_alu instid0(VALU_DEP_4)
	v_add_co_ci_u32_e32 v1, vcc_lo, s5, v1, vcc_lo
	s_mov_b32 s3, exec_lo
	global_load_b128 v[0:3], v[0:1], off
	s_waitcnt vmcnt(0)
	v_sub_co_u32 v12, vcc_lo, v2, s39
	v_subrev_co_ci_u32_e32 v13, vcc_lo, 0, v3, vcc_lo
	v_add_co_u32 v14, vcc_lo, v0, v4
	v_add_co_ci_u32_e32 v15, vcc_lo, v1, v5, vcc_lo
	s_delay_alu instid0(VALU_DEP_1)
	v_cmpx_lt_i64_e64 v[14:15], v[12:13]
	s_cbranch_execz .LBB147_187
; %bb.105:
	s_cmp_eq_u32 s1, 0
	s_mov_b32 s4, s39
	s_cselect_b32 s5, 1, 2
	s_cselect_b32 s12, 2, 1
	s_branch .LBB147_107
.LBB147_106:                            ;   in Loop: Header=BB147_107 Depth=1
	s_or_b32 exec_lo, exec_lo, s13
	v_add_co_u32 v14, vcc_lo, v14, 16
	v_add_co_ci_u32_e32 v15, vcc_lo, 0, v15, vcc_lo
	s_delay_alu instid0(VALU_DEP_1) | instskip(SKIP_1) | instid1(SALU_CYCLE_1)
	v_cmp_ge_i64_e32 vcc_lo, v[14:15], v[12:13]
	s_or_b32 s2, vcc_lo, s2
	s_and_not1_b32 exec_lo, exec_lo, s2
	s_cbranch_execz .LBB147_187
.LBB147_107:                            ; =>This Loop Header: Depth=1
                                        ;     Child Loop BB147_109 Depth 2
                                        ;       Child Loop BB147_115 Depth 3
                                        ;       Child Loop BB147_117 Depth 3
                                        ;       Child Loop BB147_123 Depth 3
                                        ;       Child Loop BB147_125 Depth 3
                                        ;     Child Loop BB147_129 Depth 2
                                        ;       Child Loop BB147_135 Depth 3
                                        ;       Child Loop BB147_137 Depth 3
                                        ;       Child Loop BB147_143 Depth 3
                                        ;       Child Loop BB147_145 Depth 3
	;; [unrolled: 5-line block ×4, first 2 shown]
	v_lshlrev_b64 v[0:1], 6, v[14:15]
	v_lshlrev_b64 v[4:5], 3, v[14:15]
	;; [unrolled: 1-line block ×3, first 2 shown]
	s_mov_b32 s13, 0
	s_delay_alu instid0(VALU_DEP_3) | instskip(NEXT) | instid1(VALU_DEP_4)
	v_add_co_u32 v0, vcc_lo, s8, v0
	v_add_co_ci_u32_e32 v1, vcc_lo, s9, v1, vcc_lo
	s_delay_alu instid0(VALU_DEP_4) | instskip(NEXT) | instid1(VALU_DEP_4)
	v_add_co_u32 v4, vcc_lo, s6, v4
	v_or_b32_e32 v7, 0, v3
	global_load_b128 v[22:25], v[0:1], off
	v_or_b32_e32 v6, s5, v2
	v_add_co_ci_u32_e32 v5, vcc_lo, s7, v5, vcc_lo
	v_or_b32_e32 v3, 0, v3
	v_or_b32_e32 v2, s12, v2
	s_delay_alu instid0(VALU_DEP_4) | instskip(SKIP_4) | instid1(VALU_DEP_3)
	v_lshlrev_b64 v[6:7], 4, v[6:7]
	global_load_b64 v[29:30], v[4:5], off
	v_lshlrev_b64 v[2:3], 4, v[2:3]
	v_add_co_u32 v4, vcc_lo, s8, v6
	v_add_co_ci_u32_e32 v5, vcc_lo, s9, v7, vcc_lo
	v_add_co_u32 v6, vcc_lo, s8, v2
	s_delay_alu instid0(VALU_DEP_4)
	v_add_co_ci_u32_e32 v7, vcc_lo, s9, v3, vcc_lo
	s_clause 0x2
	global_load_b128 v[0:3], v[0:1], off offset:48
	global_load_b128 v[8:11], v[4:5], off
	global_load_b128 v[4:7], v[6:7], off
	s_waitcnt vmcnt(4)
	v_mul_f64 v[26:27], v[24:25], -v[16:17]
	v_mul_f64 v[31:32], v[18:19], v[24:25]
	s_delay_alu instid0(VALU_DEP_2) | instskip(NEXT) | instid1(VALU_DEP_2)
	v_fma_f64 v[25:26], v[18:19], v[22:23], v[26:27]
	v_fma_f64 v[27:28], v[16:17], v[22:23], v[31:32]
	s_waitcnt vmcnt(3)
	v_sub_co_u32 v22, vcc_lo, v29, s4
	v_subrev_co_ci_u32_e32 v23, vcc_lo, 0, v30, vcc_lo
	s_delay_alu instid0(VALU_DEP_2) | instskip(NEXT) | instid1(VALU_DEP_1)
	v_and_b32_e32 v24, 7, v22
	v_dual_mov_b32 v30, v25 :: v_dual_mov_b32 v29, v24
	s_branch .LBB147_109
.LBB147_108:                            ;   in Loop: Header=BB147_109 Depth=2
	s_or_b32 exec_lo, exec_lo, s14
	s_xor_b32 s14, s15, -1
	s_delay_alu instid0(SALU_CYCLE_1) | instskip(NEXT) | instid1(SALU_CYCLE_1)
	s_and_b32 s14, exec_lo, s14
	s_or_b32 s13, s14, s13
	s_delay_alu instid0(SALU_CYCLE_1)
	s_and_not1_b32 exec_lo, exec_lo, s13
	s_cbranch_execz .LBB147_127
.LBB147_109:                            ;   Parent Loop BB147_107 Depth=1
                                        ; =>  This Loop Header: Depth=2
                                        ;       Child Loop BB147_115 Depth 3
                                        ;       Child Loop BB147_117 Depth 3
	;; [unrolled: 1-line block ×4, first 2 shown]
	s_delay_alu instid0(VALU_DEP_1)
	v_lshl_add_u32 v32, v29, 3, v61
	s_mov_b32 s14, exec_lo
                                        ; implicit-def: $sgpr15
	ds_load_b64 v[30:31], v32
	s_waitcnt lgkmcnt(0)
	v_cmpx_ne_u64_e64 v[30:31], v[22:23]
	s_xor_b32 s14, exec_lo, s14
	s_cbranch_execz .LBB147_121
; %bb.110:                              ;   in Loop: Header=BB147_109 Depth=2
	s_mov_b32 s16, exec_lo
                                        ; implicit-def: $sgpr15
	v_cmpx_ne_u64_e64 s[18:19], v[30:31]
	s_xor_b32 s16, exec_lo, s16
; %bb.111:                              ;   in Loop: Header=BB147_109 Depth=2
	v_add_nc_u32_e32 v29, 1, v29
	s_mov_b32 s15, -1
                                        ; implicit-def: $vgpr32
	s_delay_alu instid0(VALU_DEP_1)
	v_and_b32_e32 v29, 7, v29
; %bb.112:                              ;   in Loop: Header=BB147_109 Depth=2
	s_and_not1_saveexec_b32 s16, s16
	s_cbranch_execz .LBB147_120
; %bb.113:                              ;   in Loop: Header=BB147_109 Depth=2
	v_dual_mov_b32 v31, s19 :: v_dual_mov_b32 v30, s18
	s_mov_b32 s20, -1
	s_mov_b32 s17, exec_lo
	ds_cmpstore_rtn_b64 v[30:31], v32, v[22:23], v[30:31]
	s_waitcnt lgkmcnt(0)
	v_cmpx_eq_u64_e64 s[18:19], v[30:31]
	s_cbranch_execz .LBB147_119
; %bb.114:                              ;   in Loop: Header=BB147_109 Depth=2
	v_lshlrev_b32_e32 v30, 6, v29
	s_mov_b32 s20, 0
	s_delay_alu instid0(VALU_DEP_1)
	v_add_nc_u32_e32 v32, v62, v30
	ds_load_b64 v[30:31], v32
.LBB147_115:                            ;   Parent Loop BB147_107 Depth=1
                                        ;     Parent Loop BB147_109 Depth=2
                                        ; =>    This Inner Loop Header: Depth=3
	s_waitcnt lgkmcnt(0)
	v_add_f64 v[33:34], v[30:31], v[25:26]
	ds_cmpstore_rtn_b64 v[33:34], v32, v[33:34], v[30:31]
	s_waitcnt lgkmcnt(0)
	v_cmp_eq_u64_e32 vcc_lo, v[33:34], v[30:31]
	v_dual_mov_b32 v30, v33 :: v_dual_mov_b32 v31, v34
	s_or_b32 s20, vcc_lo, s20
	s_delay_alu instid0(SALU_CYCLE_1)
	s_and_not1_b32 exec_lo, exec_lo, s20
	s_cbranch_execnz .LBB147_115
; %bb.116:                              ;   in Loop: Header=BB147_109 Depth=2
	s_or_b32 exec_lo, exec_lo, s20
	ds_load_b64 v[30:31], v32 offset:8
	s_mov_b32 s20, 0
.LBB147_117:                            ;   Parent Loop BB147_107 Depth=1
                                        ;     Parent Loop BB147_109 Depth=2
                                        ; =>    This Inner Loop Header: Depth=3
	s_waitcnt lgkmcnt(0)
	v_add_f64 v[33:34], v[30:31], v[27:28]
	ds_cmpstore_rtn_b64 v[33:34], v32, v[33:34], v[30:31] offset:8
	s_waitcnt lgkmcnt(0)
	v_cmp_eq_u64_e32 vcc_lo, v[33:34], v[30:31]
	v_dual_mov_b32 v30, v33 :: v_dual_mov_b32 v31, v34
	s_or_b32 s20, vcc_lo, s20
	s_delay_alu instid0(SALU_CYCLE_1)
	s_and_not1_b32 exec_lo, exec_lo, s20
	s_cbranch_execnz .LBB147_117
; %bb.118:                              ;   in Loop: Header=BB147_109 Depth=2
	s_or_b32 exec_lo, exec_lo, s20
	s_delay_alu instid0(SALU_CYCLE_1)
	s_xor_b32 s20, exec_lo, -1
.LBB147_119:                            ;   in Loop: Header=BB147_109 Depth=2
	s_or_b32 exec_lo, exec_lo, s17
	s_delay_alu instid0(SALU_CYCLE_1) | instskip(SKIP_1) | instid1(SALU_CYCLE_1)
	s_and_not1_b32 s15, s15, exec_lo
	s_and_b32 s17, s20, exec_lo
	s_or_b32 s15, s15, s17
.LBB147_120:                            ;   in Loop: Header=BB147_109 Depth=2
	s_or_b32 exec_lo, exec_lo, s16
	s_delay_alu instid0(SALU_CYCLE_1)
	s_and_b32 s15, s15, exec_lo
.LBB147_121:                            ;   in Loop: Header=BB147_109 Depth=2
	s_and_not1_saveexec_b32 s14, s14
	s_cbranch_execz .LBB147_108
; %bb.122:                              ;   in Loop: Header=BB147_109 Depth=2
	v_lshlrev_b32_e32 v30, 6, v29
	s_mov_b32 s16, 0
	s_delay_alu instid0(VALU_DEP_1)
	v_add_nc_u32_e32 v32, v62, v30
	ds_load_b64 v[30:31], v32
.LBB147_123:                            ;   Parent Loop BB147_107 Depth=1
                                        ;     Parent Loop BB147_109 Depth=2
                                        ; =>    This Inner Loop Header: Depth=3
	s_waitcnt lgkmcnt(0)
	v_add_f64 v[33:34], v[30:31], v[25:26]
	ds_cmpstore_rtn_b64 v[33:34], v32, v[33:34], v[30:31]
	s_waitcnt lgkmcnt(0)
	v_cmp_eq_u64_e32 vcc_lo, v[33:34], v[30:31]
	v_dual_mov_b32 v30, v33 :: v_dual_mov_b32 v31, v34
	s_or_b32 s16, vcc_lo, s16
	s_delay_alu instid0(SALU_CYCLE_1)
	s_and_not1_b32 exec_lo, exec_lo, s16
	s_cbranch_execnz .LBB147_123
; %bb.124:                              ;   in Loop: Header=BB147_109 Depth=2
	s_or_b32 exec_lo, exec_lo, s16
	ds_load_b64 v[30:31], v32 offset:8
	s_mov_b32 s16, 0
.LBB147_125:                            ;   Parent Loop BB147_107 Depth=1
                                        ;     Parent Loop BB147_109 Depth=2
                                        ; =>    This Inner Loop Header: Depth=3
	s_waitcnt lgkmcnt(0)
	v_add_f64 v[33:34], v[30:31], v[27:28]
	ds_cmpstore_rtn_b64 v[33:34], v32, v[33:34], v[30:31] offset:8
	s_waitcnt lgkmcnt(0)
	v_cmp_eq_u64_e32 vcc_lo, v[33:34], v[30:31]
	v_dual_mov_b32 v30, v33 :: v_dual_mov_b32 v31, v34
	s_or_b32 s16, vcc_lo, s16
	s_delay_alu instid0(SALU_CYCLE_1)
	s_and_not1_b32 exec_lo, exec_lo, s16
	s_cbranch_execnz .LBB147_125
; %bb.126:                              ;   in Loop: Header=BB147_109 Depth=2
	s_or_b32 exec_lo, exec_lo, s16
	s_delay_alu instid0(SALU_CYCLE_1)
	s_and_not1_b32 s15, s15, exec_lo
	s_branch .LBB147_108
.LBB147_127:                            ;   in Loop: Header=BB147_107 Depth=1
	s_or_b32 exec_lo, exec_lo, s13
	s_waitcnt vmcnt(1)
	v_mul_f64 v[25:26], v[10:11], -v[16:17]
	v_mul_f64 v[27:28], v[18:19], v[10:11]
	s_mov_b32 s13, 0
	s_delay_alu instid0(VALU_DEP_2) | instskip(NEXT) | instid1(VALU_DEP_2)
	v_fma_f64 v[10:11], v[18:19], v[8:9], v[25:26]
	v_fma_f64 v[8:9], v[16:17], v[8:9], v[27:28]
	v_mov_b32_e32 v26, v25
	v_mov_b32_e32 v25, v24
	s_branch .LBB147_129
.LBB147_128:                            ;   in Loop: Header=BB147_129 Depth=2
	s_or_b32 exec_lo, exec_lo, s14
	s_xor_b32 s14, s15, -1
	s_delay_alu instid0(SALU_CYCLE_1) | instskip(NEXT) | instid1(SALU_CYCLE_1)
	s_and_b32 s14, exec_lo, s14
	s_or_b32 s13, s14, s13
	s_delay_alu instid0(SALU_CYCLE_1)
	s_and_not1_b32 exec_lo, exec_lo, s13
	s_cbranch_execz .LBB147_147
.LBB147_129:                            ;   Parent Loop BB147_107 Depth=1
                                        ; =>  This Loop Header: Depth=2
                                        ;       Child Loop BB147_135 Depth 3
                                        ;       Child Loop BB147_137 Depth 3
	;; [unrolled: 1-line block ×4, first 2 shown]
	s_delay_alu instid0(VALU_DEP_1)
	v_lshl_add_u32 v28, v25, 3, v61
	s_mov_b32 s14, exec_lo
                                        ; implicit-def: $sgpr15
	ds_load_b64 v[26:27], v28
	s_waitcnt lgkmcnt(0)
	v_cmpx_ne_u64_e64 v[26:27], v[22:23]
	s_xor_b32 s14, exec_lo, s14
	s_cbranch_execz .LBB147_141
; %bb.130:                              ;   in Loop: Header=BB147_129 Depth=2
	s_mov_b32 s16, exec_lo
                                        ; implicit-def: $sgpr15
	v_cmpx_ne_u64_e64 s[18:19], v[26:27]
	s_xor_b32 s16, exec_lo, s16
; %bb.131:                              ;   in Loop: Header=BB147_129 Depth=2
	v_add_nc_u32_e32 v25, 1, v25
	s_mov_b32 s15, -1
                                        ; implicit-def: $vgpr28
	s_delay_alu instid0(VALU_DEP_1)
	v_and_b32_e32 v25, 7, v25
; %bb.132:                              ;   in Loop: Header=BB147_129 Depth=2
	s_and_not1_saveexec_b32 s16, s16
	s_cbranch_execz .LBB147_140
; %bb.133:                              ;   in Loop: Header=BB147_129 Depth=2
	v_dual_mov_b32 v27, s19 :: v_dual_mov_b32 v26, s18
	s_mov_b32 s20, -1
	s_mov_b32 s17, exec_lo
	ds_cmpstore_rtn_b64 v[26:27], v28, v[22:23], v[26:27]
	s_waitcnt lgkmcnt(0)
	v_cmpx_eq_u64_e64 s[18:19], v[26:27]
	s_cbranch_execz .LBB147_139
; %bb.134:                              ;   in Loop: Header=BB147_129 Depth=2
	v_lshlrev_b32_e32 v26, 6, v25
	s_mov_b32 s20, 0
	s_delay_alu instid0(VALU_DEP_1)
	v_add_nc_u32_e32 v28, v62, v26
	ds_load_b64 v[26:27], v28 offset:16
.LBB147_135:                            ;   Parent Loop BB147_107 Depth=1
                                        ;     Parent Loop BB147_129 Depth=2
                                        ; =>    This Inner Loop Header: Depth=3
	s_waitcnt lgkmcnt(0)
	v_add_f64 v[29:30], v[26:27], v[10:11]
	ds_cmpstore_rtn_b64 v[29:30], v28, v[29:30], v[26:27] offset:16
	s_waitcnt lgkmcnt(0)
	v_cmp_eq_u64_e32 vcc_lo, v[29:30], v[26:27]
	v_dual_mov_b32 v26, v29 :: v_dual_mov_b32 v27, v30
	s_or_b32 s20, vcc_lo, s20
	s_delay_alu instid0(SALU_CYCLE_1)
	s_and_not1_b32 exec_lo, exec_lo, s20
	s_cbranch_execnz .LBB147_135
; %bb.136:                              ;   in Loop: Header=BB147_129 Depth=2
	s_or_b32 exec_lo, exec_lo, s20
	ds_load_b64 v[26:27], v28 offset:24
	s_mov_b32 s20, 0
.LBB147_137:                            ;   Parent Loop BB147_107 Depth=1
                                        ;     Parent Loop BB147_129 Depth=2
                                        ; =>    This Inner Loop Header: Depth=3
	s_waitcnt lgkmcnt(0)
	v_add_f64 v[29:30], v[26:27], v[8:9]
	ds_cmpstore_rtn_b64 v[29:30], v28, v[29:30], v[26:27] offset:24
	s_waitcnt lgkmcnt(0)
	v_cmp_eq_u64_e32 vcc_lo, v[29:30], v[26:27]
	v_dual_mov_b32 v26, v29 :: v_dual_mov_b32 v27, v30
	s_or_b32 s20, vcc_lo, s20
	s_delay_alu instid0(SALU_CYCLE_1)
	s_and_not1_b32 exec_lo, exec_lo, s20
	s_cbranch_execnz .LBB147_137
; %bb.138:                              ;   in Loop: Header=BB147_129 Depth=2
	s_or_b32 exec_lo, exec_lo, s20
	s_delay_alu instid0(SALU_CYCLE_1)
	s_xor_b32 s20, exec_lo, -1
.LBB147_139:                            ;   in Loop: Header=BB147_129 Depth=2
	s_or_b32 exec_lo, exec_lo, s17
	s_delay_alu instid0(SALU_CYCLE_1) | instskip(SKIP_1) | instid1(SALU_CYCLE_1)
	s_and_not1_b32 s15, s15, exec_lo
	s_and_b32 s17, s20, exec_lo
	s_or_b32 s15, s15, s17
.LBB147_140:                            ;   in Loop: Header=BB147_129 Depth=2
	s_or_b32 exec_lo, exec_lo, s16
	s_delay_alu instid0(SALU_CYCLE_1)
	s_and_b32 s15, s15, exec_lo
.LBB147_141:                            ;   in Loop: Header=BB147_129 Depth=2
	s_and_not1_saveexec_b32 s14, s14
	s_cbranch_execz .LBB147_128
; %bb.142:                              ;   in Loop: Header=BB147_129 Depth=2
	v_lshlrev_b32_e32 v26, 6, v25
	s_mov_b32 s16, 0
	s_delay_alu instid0(VALU_DEP_1)
	v_add_nc_u32_e32 v28, v62, v26
	ds_load_b64 v[26:27], v28 offset:16
.LBB147_143:                            ;   Parent Loop BB147_107 Depth=1
                                        ;     Parent Loop BB147_129 Depth=2
                                        ; =>    This Inner Loop Header: Depth=3
	s_waitcnt lgkmcnt(0)
	v_add_f64 v[29:30], v[26:27], v[10:11]
	ds_cmpstore_rtn_b64 v[29:30], v28, v[29:30], v[26:27] offset:16
	s_waitcnt lgkmcnt(0)
	v_cmp_eq_u64_e32 vcc_lo, v[29:30], v[26:27]
	v_dual_mov_b32 v26, v29 :: v_dual_mov_b32 v27, v30
	s_or_b32 s16, vcc_lo, s16
	s_delay_alu instid0(SALU_CYCLE_1)
	s_and_not1_b32 exec_lo, exec_lo, s16
	s_cbranch_execnz .LBB147_143
; %bb.144:                              ;   in Loop: Header=BB147_129 Depth=2
	s_or_b32 exec_lo, exec_lo, s16
	ds_load_b64 v[26:27], v28 offset:24
	s_mov_b32 s16, 0
.LBB147_145:                            ;   Parent Loop BB147_107 Depth=1
                                        ;     Parent Loop BB147_129 Depth=2
                                        ; =>    This Inner Loop Header: Depth=3
	s_waitcnt lgkmcnt(0)
	v_add_f64 v[29:30], v[26:27], v[8:9]
	ds_cmpstore_rtn_b64 v[29:30], v28, v[29:30], v[26:27] offset:24
	s_waitcnt lgkmcnt(0)
	v_cmp_eq_u64_e32 vcc_lo, v[29:30], v[26:27]
	v_dual_mov_b32 v26, v29 :: v_dual_mov_b32 v27, v30
	s_or_b32 s16, vcc_lo, s16
	s_delay_alu instid0(SALU_CYCLE_1)
	s_and_not1_b32 exec_lo, exec_lo, s16
	s_cbranch_execnz .LBB147_145
; %bb.146:                              ;   in Loop: Header=BB147_129 Depth=2
	s_or_b32 exec_lo, exec_lo, s16
	s_delay_alu instid0(SALU_CYCLE_1)
	s_and_not1_b32 s15, s15, exec_lo
	s_branch .LBB147_128
.LBB147_147:                            ;   in Loop: Header=BB147_107 Depth=1
	s_or_b32 exec_lo, exec_lo, s13
	s_waitcnt vmcnt(0)
	v_mul_f64 v[8:9], v[6:7], -v[16:17]
	v_mul_f64 v[10:11], v[18:19], v[6:7]
	s_mov_b32 s13, 0
	s_delay_alu instid0(VALU_DEP_2) | instskip(NEXT) | instid1(VALU_DEP_2)
	v_fma_f64 v[6:7], v[18:19], v[4:5], v[8:9]
	v_fma_f64 v[4:5], v[16:17], v[4:5], v[10:11]
	v_dual_mov_b32 v8, v24 :: v_dual_mov_b32 v9, v25
	s_branch .LBB147_149
.LBB147_148:                            ;   in Loop: Header=BB147_149 Depth=2
	s_or_b32 exec_lo, exec_lo, s14
	s_xor_b32 s14, s15, -1
	s_delay_alu instid0(SALU_CYCLE_1) | instskip(NEXT) | instid1(SALU_CYCLE_1)
	s_and_b32 s14, exec_lo, s14
	s_or_b32 s13, s14, s13
	s_delay_alu instid0(SALU_CYCLE_1)
	s_and_not1_b32 exec_lo, exec_lo, s13
	s_cbranch_execz .LBB147_167
.LBB147_149:                            ;   Parent Loop BB147_107 Depth=1
                                        ; =>  This Loop Header: Depth=2
                                        ;       Child Loop BB147_155 Depth 3
                                        ;       Child Loop BB147_157 Depth 3
	;; [unrolled: 1-line block ×4, first 2 shown]
	s_delay_alu instid0(VALU_DEP_1)
	v_lshl_add_u32 v11, v8, 3, v61
	s_mov_b32 s14, exec_lo
                                        ; implicit-def: $sgpr15
	ds_load_b64 v[9:10], v11
	s_waitcnt lgkmcnt(0)
	v_cmpx_ne_u64_e64 v[9:10], v[22:23]
	s_xor_b32 s14, exec_lo, s14
	s_cbranch_execz .LBB147_161
; %bb.150:                              ;   in Loop: Header=BB147_149 Depth=2
	s_mov_b32 s16, exec_lo
                                        ; implicit-def: $sgpr15
	v_cmpx_ne_u64_e64 s[18:19], v[9:10]
	s_xor_b32 s16, exec_lo, s16
; %bb.151:                              ;   in Loop: Header=BB147_149 Depth=2
	v_add_nc_u32_e32 v8, 1, v8
	s_mov_b32 s15, -1
                                        ; implicit-def: $vgpr11
	s_delay_alu instid0(VALU_DEP_1)
	v_and_b32_e32 v8, 7, v8
; %bb.152:                              ;   in Loop: Header=BB147_149 Depth=2
	s_and_not1_saveexec_b32 s16, s16
	s_cbranch_execz .LBB147_160
; %bb.153:                              ;   in Loop: Header=BB147_149 Depth=2
	v_dual_mov_b32 v9, s18 :: v_dual_mov_b32 v10, s19
	s_mov_b32 s20, -1
	s_mov_b32 s17, exec_lo
	ds_cmpstore_rtn_b64 v[9:10], v11, v[22:23], v[9:10]
	s_waitcnt lgkmcnt(0)
	v_cmpx_eq_u64_e64 s[18:19], v[9:10]
	s_cbranch_execz .LBB147_159
; %bb.154:                              ;   in Loop: Header=BB147_149 Depth=2
	v_lshlrev_b32_e32 v9, 6, v8
	s_mov_b32 s20, 0
	s_delay_alu instid0(VALU_DEP_1)
	v_add_nc_u32_e32 v11, v62, v9
	ds_load_b64 v[9:10], v11 offset:32
.LBB147_155:                            ;   Parent Loop BB147_107 Depth=1
                                        ;     Parent Loop BB147_149 Depth=2
                                        ; =>    This Inner Loop Header: Depth=3
	s_waitcnt lgkmcnt(0)
	v_add_f64 v[25:26], v[9:10], v[6:7]
	ds_cmpstore_rtn_b64 v[25:26], v11, v[25:26], v[9:10] offset:32
	s_waitcnt lgkmcnt(0)
	v_cmp_eq_u64_e32 vcc_lo, v[25:26], v[9:10]
	v_dual_mov_b32 v9, v25 :: v_dual_mov_b32 v10, v26
	s_or_b32 s20, vcc_lo, s20
	s_delay_alu instid0(SALU_CYCLE_1)
	s_and_not1_b32 exec_lo, exec_lo, s20
	s_cbranch_execnz .LBB147_155
; %bb.156:                              ;   in Loop: Header=BB147_149 Depth=2
	s_or_b32 exec_lo, exec_lo, s20
	ds_load_b64 v[9:10], v11 offset:40
	s_mov_b32 s20, 0
.LBB147_157:                            ;   Parent Loop BB147_107 Depth=1
                                        ;     Parent Loop BB147_149 Depth=2
                                        ; =>    This Inner Loop Header: Depth=3
	s_waitcnt lgkmcnt(0)
	v_add_f64 v[25:26], v[9:10], v[4:5]
	ds_cmpstore_rtn_b64 v[25:26], v11, v[25:26], v[9:10] offset:40
	s_waitcnt lgkmcnt(0)
	v_cmp_eq_u64_e32 vcc_lo, v[25:26], v[9:10]
	v_dual_mov_b32 v9, v25 :: v_dual_mov_b32 v10, v26
	s_or_b32 s20, vcc_lo, s20
	s_delay_alu instid0(SALU_CYCLE_1)
	s_and_not1_b32 exec_lo, exec_lo, s20
	s_cbranch_execnz .LBB147_157
; %bb.158:                              ;   in Loop: Header=BB147_149 Depth=2
	s_or_b32 exec_lo, exec_lo, s20
	s_delay_alu instid0(SALU_CYCLE_1)
	s_xor_b32 s20, exec_lo, -1
.LBB147_159:                            ;   in Loop: Header=BB147_149 Depth=2
	s_or_b32 exec_lo, exec_lo, s17
	s_delay_alu instid0(SALU_CYCLE_1) | instskip(SKIP_1) | instid1(SALU_CYCLE_1)
	s_and_not1_b32 s15, s15, exec_lo
	s_and_b32 s17, s20, exec_lo
	s_or_b32 s15, s15, s17
.LBB147_160:                            ;   in Loop: Header=BB147_149 Depth=2
	s_or_b32 exec_lo, exec_lo, s16
	s_delay_alu instid0(SALU_CYCLE_1)
	s_and_b32 s15, s15, exec_lo
.LBB147_161:                            ;   in Loop: Header=BB147_149 Depth=2
	s_and_not1_saveexec_b32 s14, s14
	s_cbranch_execz .LBB147_148
; %bb.162:                              ;   in Loop: Header=BB147_149 Depth=2
	v_lshlrev_b32_e32 v9, 6, v8
	s_mov_b32 s16, 0
	s_delay_alu instid0(VALU_DEP_1)
	v_add_nc_u32_e32 v11, v62, v9
	ds_load_b64 v[9:10], v11 offset:32
.LBB147_163:                            ;   Parent Loop BB147_107 Depth=1
                                        ;     Parent Loop BB147_149 Depth=2
                                        ; =>    This Inner Loop Header: Depth=3
	s_waitcnt lgkmcnt(0)
	v_add_f64 v[25:26], v[9:10], v[6:7]
	ds_cmpstore_rtn_b64 v[25:26], v11, v[25:26], v[9:10] offset:32
	s_waitcnt lgkmcnt(0)
	v_cmp_eq_u64_e32 vcc_lo, v[25:26], v[9:10]
	v_dual_mov_b32 v9, v25 :: v_dual_mov_b32 v10, v26
	s_or_b32 s16, vcc_lo, s16
	s_delay_alu instid0(SALU_CYCLE_1)
	s_and_not1_b32 exec_lo, exec_lo, s16
	s_cbranch_execnz .LBB147_163
; %bb.164:                              ;   in Loop: Header=BB147_149 Depth=2
	s_or_b32 exec_lo, exec_lo, s16
	ds_load_b64 v[9:10], v11 offset:40
	s_mov_b32 s16, 0
.LBB147_165:                            ;   Parent Loop BB147_107 Depth=1
                                        ;     Parent Loop BB147_149 Depth=2
                                        ; =>    This Inner Loop Header: Depth=3
	s_waitcnt lgkmcnt(0)
	v_add_f64 v[25:26], v[9:10], v[4:5]
	ds_cmpstore_rtn_b64 v[25:26], v11, v[25:26], v[9:10] offset:40
	s_waitcnt lgkmcnt(0)
	v_cmp_eq_u64_e32 vcc_lo, v[25:26], v[9:10]
	v_dual_mov_b32 v9, v25 :: v_dual_mov_b32 v10, v26
	s_or_b32 s16, vcc_lo, s16
	s_delay_alu instid0(SALU_CYCLE_1)
	s_and_not1_b32 exec_lo, exec_lo, s16
	s_cbranch_execnz .LBB147_165
; %bb.166:                              ;   in Loop: Header=BB147_149 Depth=2
	s_or_b32 exec_lo, exec_lo, s16
	s_delay_alu instid0(SALU_CYCLE_1)
	s_and_not1_b32 s15, s15, exec_lo
	s_branch .LBB147_148
.LBB147_167:                            ;   in Loop: Header=BB147_107 Depth=1
	s_or_b32 exec_lo, exec_lo, s13
	v_mul_f64 v[4:5], v[2:3], -v[16:17]
	v_mul_f64 v[6:7], v[18:19], v[2:3]
	s_mov_b32 s13, 0
	s_delay_alu instid0(VALU_DEP_2) | instskip(NEXT) | instid1(VALU_DEP_2)
	v_fma_f64 v[2:3], v[18:19], v[0:1], v[4:5]
	v_fma_f64 v[0:1], v[16:17], v[0:1], v[6:7]
	s_branch .LBB147_169
.LBB147_168:                            ;   in Loop: Header=BB147_169 Depth=2
	s_or_b32 exec_lo, exec_lo, s14
	s_xor_b32 s14, s15, -1
	s_delay_alu instid0(SALU_CYCLE_1) | instskip(NEXT) | instid1(SALU_CYCLE_1)
	s_and_b32 s14, exec_lo, s14
	s_or_b32 s13, s14, s13
	s_delay_alu instid0(SALU_CYCLE_1)
	s_and_not1_b32 exec_lo, exec_lo, s13
	s_cbranch_execz .LBB147_106
.LBB147_169:                            ;   Parent Loop BB147_107 Depth=1
                                        ; =>  This Loop Header: Depth=2
                                        ;       Child Loop BB147_175 Depth 3
                                        ;       Child Loop BB147_177 Depth 3
	;; [unrolled: 1-line block ×4, first 2 shown]
	v_lshl_add_u32 v6, v24, 3, v61
	s_mov_b32 s14, exec_lo
                                        ; implicit-def: $sgpr15
	ds_load_b64 v[4:5], v6
	s_waitcnt lgkmcnt(0)
	v_cmpx_ne_u64_e64 v[4:5], v[22:23]
	s_xor_b32 s14, exec_lo, s14
	s_cbranch_execz .LBB147_181
; %bb.170:                              ;   in Loop: Header=BB147_169 Depth=2
	s_mov_b32 s16, exec_lo
                                        ; implicit-def: $sgpr15
	v_cmpx_ne_u64_e64 s[18:19], v[4:5]
	s_xor_b32 s16, exec_lo, s16
; %bb.171:                              ;   in Loop: Header=BB147_169 Depth=2
	v_add_nc_u32_e32 v4, 1, v24
	s_mov_b32 s15, -1
                                        ; implicit-def: $vgpr6
	s_delay_alu instid0(VALU_DEP_1)
	v_and_b32_e32 v24, 7, v4
; %bb.172:                              ;   in Loop: Header=BB147_169 Depth=2
	s_and_not1_saveexec_b32 s16, s16
	s_cbranch_execz .LBB147_180
; %bb.173:                              ;   in Loop: Header=BB147_169 Depth=2
	v_dual_mov_b32 v4, s18 :: v_dual_mov_b32 v5, s19
	s_mov_b32 s20, -1
	s_mov_b32 s17, exec_lo
	ds_cmpstore_rtn_b64 v[4:5], v6, v[22:23], v[4:5]
	s_waitcnt lgkmcnt(0)
	v_cmpx_eq_u64_e64 s[18:19], v[4:5]
	s_cbranch_execz .LBB147_179
; %bb.174:                              ;   in Loop: Header=BB147_169 Depth=2
	v_lshlrev_b32_e32 v4, 6, v24
	s_mov_b32 s20, 0
	s_delay_alu instid0(VALU_DEP_1)
	v_add_nc_u32_e32 v6, v62, v4
	ds_load_b64 v[4:5], v6 offset:48
.LBB147_175:                            ;   Parent Loop BB147_107 Depth=1
                                        ;     Parent Loop BB147_169 Depth=2
                                        ; =>    This Inner Loop Header: Depth=3
	s_waitcnt lgkmcnt(0)
	v_add_f64 v[7:8], v[4:5], v[2:3]
	ds_cmpstore_rtn_b64 v[7:8], v6, v[7:8], v[4:5] offset:48
	s_waitcnt lgkmcnt(0)
	v_cmp_eq_u64_e32 vcc_lo, v[7:8], v[4:5]
	v_dual_mov_b32 v4, v7 :: v_dual_mov_b32 v5, v8
	s_or_b32 s20, vcc_lo, s20
	s_delay_alu instid0(SALU_CYCLE_1)
	s_and_not1_b32 exec_lo, exec_lo, s20
	s_cbranch_execnz .LBB147_175
; %bb.176:                              ;   in Loop: Header=BB147_169 Depth=2
	s_or_b32 exec_lo, exec_lo, s20
	ds_load_b64 v[4:5], v6 offset:56
	s_mov_b32 s20, 0
.LBB147_177:                            ;   Parent Loop BB147_107 Depth=1
                                        ;     Parent Loop BB147_169 Depth=2
                                        ; =>    This Inner Loop Header: Depth=3
	s_waitcnt lgkmcnt(0)
	v_add_f64 v[7:8], v[4:5], v[0:1]
	ds_cmpstore_rtn_b64 v[7:8], v6, v[7:8], v[4:5] offset:56
	s_waitcnt lgkmcnt(0)
	v_cmp_eq_u64_e32 vcc_lo, v[7:8], v[4:5]
	v_dual_mov_b32 v4, v7 :: v_dual_mov_b32 v5, v8
	s_or_b32 s20, vcc_lo, s20
	s_delay_alu instid0(SALU_CYCLE_1)
	s_and_not1_b32 exec_lo, exec_lo, s20
	s_cbranch_execnz .LBB147_177
; %bb.178:                              ;   in Loop: Header=BB147_169 Depth=2
	s_or_b32 exec_lo, exec_lo, s20
	s_delay_alu instid0(SALU_CYCLE_1)
	s_xor_b32 s20, exec_lo, -1
.LBB147_179:                            ;   in Loop: Header=BB147_169 Depth=2
	s_or_b32 exec_lo, exec_lo, s17
	s_delay_alu instid0(SALU_CYCLE_1) | instskip(SKIP_1) | instid1(SALU_CYCLE_1)
	s_and_not1_b32 s15, s15, exec_lo
	s_and_b32 s17, s20, exec_lo
	s_or_b32 s15, s15, s17
.LBB147_180:                            ;   in Loop: Header=BB147_169 Depth=2
	s_or_b32 exec_lo, exec_lo, s16
	s_delay_alu instid0(SALU_CYCLE_1)
	s_and_b32 s15, s15, exec_lo
.LBB147_181:                            ;   in Loop: Header=BB147_169 Depth=2
	s_and_not1_saveexec_b32 s14, s14
	s_cbranch_execz .LBB147_168
; %bb.182:                              ;   in Loop: Header=BB147_169 Depth=2
	v_lshlrev_b32_e32 v4, 6, v24
	s_mov_b32 s16, 0
	s_delay_alu instid0(VALU_DEP_1)
	v_add_nc_u32_e32 v6, v62, v4
	ds_load_b64 v[4:5], v6 offset:48
.LBB147_183:                            ;   Parent Loop BB147_107 Depth=1
                                        ;     Parent Loop BB147_169 Depth=2
                                        ; =>    This Inner Loop Header: Depth=3
	s_waitcnt lgkmcnt(0)
	v_add_f64 v[7:8], v[4:5], v[2:3]
	ds_cmpstore_rtn_b64 v[7:8], v6, v[7:8], v[4:5] offset:48
	s_waitcnt lgkmcnt(0)
	v_cmp_eq_u64_e32 vcc_lo, v[7:8], v[4:5]
	v_dual_mov_b32 v4, v7 :: v_dual_mov_b32 v5, v8
	s_or_b32 s16, vcc_lo, s16
	s_delay_alu instid0(SALU_CYCLE_1)
	s_and_not1_b32 exec_lo, exec_lo, s16
	s_cbranch_execnz .LBB147_183
; %bb.184:                              ;   in Loop: Header=BB147_169 Depth=2
	s_or_b32 exec_lo, exec_lo, s16
	ds_load_b64 v[4:5], v6 offset:56
	s_mov_b32 s16, 0
.LBB147_185:                            ;   Parent Loop BB147_107 Depth=1
                                        ;     Parent Loop BB147_169 Depth=2
                                        ; =>    This Inner Loop Header: Depth=3
	s_waitcnt lgkmcnt(0)
	v_add_f64 v[7:8], v[4:5], v[0:1]
	ds_cmpstore_rtn_b64 v[7:8], v6, v[7:8], v[4:5] offset:56
	s_waitcnt lgkmcnt(0)
	v_cmp_eq_u64_e32 vcc_lo, v[7:8], v[4:5]
	v_dual_mov_b32 v4, v7 :: v_dual_mov_b32 v5, v8
	s_or_b32 s16, vcc_lo, s16
	s_delay_alu instid0(SALU_CYCLE_1)
	s_and_not1_b32 exec_lo, exec_lo, s16
	s_cbranch_execnz .LBB147_185
; %bb.186:                              ;   in Loop: Header=BB147_169 Depth=2
	s_or_b32 exec_lo, exec_lo, s16
	s_delay_alu instid0(SALU_CYCLE_1)
	s_and_not1_b32 s15, s15, exec_lo
	s_branch .LBB147_168
.LBB147_187:
	s_or_b32 exec_lo, exec_lo, s3
	buffer_gl0_inv
	s_and_b32 exec_lo, exec_lo, s0
	s_cbranch_execz .LBB147_16
.LBB147_188:
	v_lshl_add_u32 v0, v60, 3, v61
	ds_load_b64 v[0:1], v0
	s_waitcnt lgkmcnt(0)
	v_cmp_gt_i64_e32 vcc_lo, s[18:19], v[0:1]
	s_and_b32 exec_lo, exec_lo, vcc_lo
	s_cbranch_execz .LBB147_16
; %bb.189:
	v_lshlrev_b64 v[2:3], 3, v[20:21]
	v_lshlrev_b32_e32 v20, 2, v60
	s_cmp_eq_u32 s1, 0
	v_lshl_add_u32 v22, v60, 6, v62
	s_cselect_b32 s0, 1, 2
	ds_load_b128 v[6:9], v61 offset:16
	v_add_co_u32 v2, vcc_lo, s10, v2
	v_add_co_ci_u32_e32 v3, vcc_lo, s11, v3, vcc_lo
	v_or_b32_e32 v21, s0, v20
	s_cselect_b32 s0, 2, 1
	global_load_b64 v[18:19], v[2:3], off
	ds_load_b128 v[2:5], v61
	ds_load_b128 v[10:13], v61 offset:32
	ds_load_b128 v[14:17], v61 offset:48
	v_or_b32_e32 v20, s0, v20
	v_lshl_add_u32 v21, v21, 4, v62
	s_waitcnt lgkmcnt(2)
	v_cmp_gt_i64_e32 vcc_lo, v[0:1], v[2:3]
	v_cndmask_b32_e64 v2, 0, 1, vcc_lo
	s_waitcnt vmcnt(0)
	v_sub_co_u32 v3, vcc_lo, v18, s38
	v_subrev_co_ci_u32_e32 v18, vcc_lo, 0, v19, vcc_lo
	v_cmp_gt_i64_e32 vcc_lo, v[0:1], v[4:5]
	v_cndmask_b32_e64 v4, 0, 1, vcc_lo
	s_delay_alu instid0(VALU_DEP_4) | instskip(NEXT) | instid1(VALU_DEP_4)
	v_add_co_u32 v2, vcc_lo, v3, v2
	v_add_co_ci_u32_e32 v3, vcc_lo, 0, v18, vcc_lo
	v_cmp_gt_i64_e32 vcc_lo, v[0:1], v[6:7]
	v_cndmask_b32_e64 v5, 0, 1, vcc_lo
	s_delay_alu instid0(VALU_DEP_4) | instskip(NEXT) | instid1(VALU_DEP_4)
	v_add_co_u32 v2, vcc_lo, v2, v4
	v_add_co_ci_u32_e32 v3, vcc_lo, 0, v3, vcc_lo
	;; [unrolled: 5-line block ×3, first 2 shown]
	s_waitcnt lgkmcnt(1)
	v_cmp_gt_i64_e32 vcc_lo, v[0:1], v[10:11]
	v_cndmask_b32_e64 v5, 0, 1, vcc_lo
	v_add_co_u32 v2, vcc_lo, v2, v4
	v_add_co_ci_u32_e32 v3, vcc_lo, 0, v3, vcc_lo
	v_cmp_gt_i64_e32 vcc_lo, v[0:1], v[12:13]
	v_cndmask_b32_e64 v4, 0, 1, vcc_lo
	s_delay_alu instid0(VALU_DEP_4) | instskip(NEXT) | instid1(VALU_DEP_4)
	v_add_co_u32 v2, vcc_lo, v2, v5
	v_add_co_ci_u32_e32 v3, vcc_lo, 0, v3, vcc_lo
	s_waitcnt lgkmcnt(0)
	v_cmp_gt_i64_e32 vcc_lo, v[0:1], v[14:15]
	v_lshl_add_u32 v14, v20, 4, v62
	v_cndmask_b32_e64 v5, 0, 1, vcc_lo
	v_add_co_u32 v2, vcc_lo, v2, v4
	v_add_co_ci_u32_e32 v3, vcc_lo, 0, v3, vcc_lo
	v_cmp_gt_i64_e32 vcc_lo, v[0:1], v[16:17]
	v_cndmask_b32_e64 v4, 0, 1, vcc_lo
	s_delay_alu instid0(VALU_DEP_4) | instskip(NEXT) | instid1(VALU_DEP_4)
	v_add_co_u32 v2, vcc_lo, v2, v5
	v_add_co_ci_u32_e32 v3, vcc_lo, 0, v3, vcc_lo
	s_delay_alu instid0(VALU_DEP_2) | instskip(NEXT) | instid1(VALU_DEP_2)
	v_add_co_u32 v18, vcc_lo, v2, v4
	v_add_co_ci_u32_e32 v19, vcc_lo, 0, v3, vcc_lo
	ds_load_2addr_b64 v[2:5], v22 offset1:1
	ds_load_2addr_b64 v[6:9], v22 offset0:6 offset1:7
	ds_load_2addr_b64 v[10:13], v21 offset1:1
	ds_load_2addr_b64 v[14:17], v14 offset1:1
	v_add_co_u32 v0, vcc_lo, v0, s38
	v_lshlrev_b64 v[20:21], 3, v[18:19]
	v_lshlrev_b64 v[18:19], 6, v[18:19]
	v_add_co_ci_u32_e32 v1, vcc_lo, 0, v1, vcc_lo
	s_delay_alu instid0(VALU_DEP_3) | instskip(NEXT) | instid1(VALU_DEP_4)
	v_add_co_u32 v20, vcc_lo, s40, v20
	v_add_co_ci_u32_e32 v21, vcc_lo, s41, v21, vcc_lo
	s_delay_alu instid0(VALU_DEP_4)
	v_add_co_u32 v18, vcc_lo, s42, v18
	v_add_co_ci_u32_e32 v19, vcc_lo, s43, v19, vcc_lo
	global_store_b64 v[20:21], v[0:1], off
	s_waitcnt lgkmcnt(3)
	global_store_b128 v[18:19], v[2:5], off
	s_waitcnt lgkmcnt(1)
	global_store_b128 v[18:19], v[10:13], off offset:16
	s_waitcnt lgkmcnt(0)
	s_clause 0x1
	global_store_b128 v[18:19], v[14:17], off offset:32
	global_store_b128 v[18:19], v[6:9], off offset:48
	s_nop 0
	s_sendmsg sendmsg(MSG_DEALLOC_VGPRS)
	s_endpgm
	.section	.rodata,"a",@progbits
	.p2align	6, 0x0
	.amdhsa_kernel _ZN9rocsparseL27bsrgemm_fill_wf_per_row_2x2ILj256ELj16ELj8ELj137Ell21rocsparse_complex_numIdEEEv20rocsparse_direction_T4_S4_PKS4_S6_NS_24const_host_device_scalarIT5_EEPKT3_S6_PKS8_SC_S6_SE_S9_SC_S6_SE_SC_PS4_PS8_21rocsparse_index_base_SH_SH_SH_bbb
		.amdhsa_group_segment_fixed_size 13312
		.amdhsa_private_segment_fixed_size 0
		.amdhsa_kernarg_size 188
		.amdhsa_user_sgpr_count 15
		.amdhsa_user_sgpr_dispatch_ptr 1
		.amdhsa_user_sgpr_queue_ptr 0
		.amdhsa_user_sgpr_kernarg_segment_ptr 1
		.amdhsa_user_sgpr_dispatch_id 0
		.amdhsa_user_sgpr_private_segment_size 0
		.amdhsa_wavefront_size32 1
		.amdhsa_uses_dynamic_stack 0
		.amdhsa_enable_private_segment 0
		.amdhsa_system_sgpr_workgroup_id_x 1
		.amdhsa_system_sgpr_workgroup_id_y 0
		.amdhsa_system_sgpr_workgroup_id_z 0
		.amdhsa_system_sgpr_workgroup_info 0
		.amdhsa_system_vgpr_workitem_id 2
		.amdhsa_next_free_vgpr 66
		.amdhsa_next_free_sgpr 48
		.amdhsa_reserve_vcc 1
		.amdhsa_float_round_mode_32 0
		.amdhsa_float_round_mode_16_64 0
		.amdhsa_float_denorm_mode_32 3
		.amdhsa_float_denorm_mode_16_64 3
		.amdhsa_dx10_clamp 1
		.amdhsa_ieee_mode 1
		.amdhsa_fp16_overflow 0
		.amdhsa_workgroup_processor_mode 1
		.amdhsa_memory_ordered 1
		.amdhsa_forward_progress 0
		.amdhsa_shared_vgpr_count 0
		.amdhsa_exception_fp_ieee_invalid_op 0
		.amdhsa_exception_fp_denorm_src 0
		.amdhsa_exception_fp_ieee_div_zero 0
		.amdhsa_exception_fp_ieee_overflow 0
		.amdhsa_exception_fp_ieee_underflow 0
		.amdhsa_exception_fp_ieee_inexact 0
		.amdhsa_exception_int_div_zero 0
	.end_amdhsa_kernel
	.section	.text._ZN9rocsparseL27bsrgemm_fill_wf_per_row_2x2ILj256ELj16ELj8ELj137Ell21rocsparse_complex_numIdEEEv20rocsparse_direction_T4_S4_PKS4_S6_NS_24const_host_device_scalarIT5_EEPKT3_S6_PKS8_SC_S6_SE_S9_SC_S6_SE_SC_PS4_PS8_21rocsparse_index_base_SH_SH_SH_bbb,"axG",@progbits,_ZN9rocsparseL27bsrgemm_fill_wf_per_row_2x2ILj256ELj16ELj8ELj137Ell21rocsparse_complex_numIdEEEv20rocsparse_direction_T4_S4_PKS4_S6_NS_24const_host_device_scalarIT5_EEPKT3_S6_PKS8_SC_S6_SE_S9_SC_S6_SE_SC_PS4_PS8_21rocsparse_index_base_SH_SH_SH_bbb,comdat
.Lfunc_end147:
	.size	_ZN9rocsparseL27bsrgemm_fill_wf_per_row_2x2ILj256ELj16ELj8ELj137Ell21rocsparse_complex_numIdEEEv20rocsparse_direction_T4_S4_PKS4_S6_NS_24const_host_device_scalarIT5_EEPKT3_S6_PKS8_SC_S6_SE_S9_SC_S6_SE_SC_PS4_PS8_21rocsparse_index_base_SH_SH_SH_bbb, .Lfunc_end147-_ZN9rocsparseL27bsrgemm_fill_wf_per_row_2x2ILj256ELj16ELj8ELj137Ell21rocsparse_complex_numIdEEEv20rocsparse_direction_T4_S4_PKS4_S6_NS_24const_host_device_scalarIT5_EEPKT3_S6_PKS8_SC_S6_SE_S9_SC_S6_SE_SC_PS4_PS8_21rocsparse_index_base_SH_SH_SH_bbb
                                        ; -- End function
	.section	.AMDGPU.csdata,"",@progbits
; Kernel info:
; codeLenInByte = 7216
; NumSgprs: 50
; NumVgprs: 66
; ScratchSize: 0
; MemoryBound: 0
; FloatMode: 240
; IeeeMode: 1
; LDSByteSize: 13312 bytes/workgroup (compile time only)
; SGPRBlocks: 6
; VGPRBlocks: 8
; NumSGPRsForWavesPerEU: 50
; NumVGPRsForWavesPerEU: 66
; Occupancy: 16
; WaveLimiterHint : 1
; COMPUTE_PGM_RSRC2:SCRATCH_EN: 0
; COMPUTE_PGM_RSRC2:USER_SGPR: 15
; COMPUTE_PGM_RSRC2:TRAP_HANDLER: 0
; COMPUTE_PGM_RSRC2:TGID_X_EN: 1
; COMPUTE_PGM_RSRC2:TGID_Y_EN: 0
; COMPUTE_PGM_RSRC2:TGID_Z_EN: 0
; COMPUTE_PGM_RSRC2:TIDIG_COMP_CNT: 2
	.section	.text._ZN9rocsparseL27bsrgemm_fill_wf_per_row_2x2ILj256ELj16ELj16ELj137Ell21rocsparse_complex_numIdEEEv20rocsparse_direction_T4_S4_PKS4_S6_NS_24const_host_device_scalarIT5_EEPKT3_S6_PKS8_SC_S6_SE_S9_SC_S6_SE_SC_PS4_PS8_21rocsparse_index_base_SH_SH_SH_bbb,"axG",@progbits,_ZN9rocsparseL27bsrgemm_fill_wf_per_row_2x2ILj256ELj16ELj16ELj137Ell21rocsparse_complex_numIdEEEv20rocsparse_direction_T4_S4_PKS4_S6_NS_24const_host_device_scalarIT5_EEPKT3_S6_PKS8_SC_S6_SE_S9_SC_S6_SE_SC_PS4_PS8_21rocsparse_index_base_SH_SH_SH_bbb,comdat
	.globl	_ZN9rocsparseL27bsrgemm_fill_wf_per_row_2x2ILj256ELj16ELj16ELj137Ell21rocsparse_complex_numIdEEEv20rocsparse_direction_T4_S4_PKS4_S6_NS_24const_host_device_scalarIT5_EEPKT3_S6_PKS8_SC_S6_SE_S9_SC_S6_SE_SC_PS4_PS8_21rocsparse_index_base_SH_SH_SH_bbb ; -- Begin function _ZN9rocsparseL27bsrgemm_fill_wf_per_row_2x2ILj256ELj16ELj16ELj137Ell21rocsparse_complex_numIdEEEv20rocsparse_direction_T4_S4_PKS4_S6_NS_24const_host_device_scalarIT5_EEPKT3_S6_PKS8_SC_S6_SE_S9_SC_S6_SE_SC_PS4_PS8_21rocsparse_index_base_SH_SH_SH_bbb
	.p2align	8
	.type	_ZN9rocsparseL27bsrgemm_fill_wf_per_row_2x2ILj256ELj16ELj16ELj137Ell21rocsparse_complex_numIdEEEv20rocsparse_direction_T4_S4_PKS4_S6_NS_24const_host_device_scalarIT5_EEPKT3_S6_PKS8_SC_S6_SE_S9_SC_S6_SE_SC_PS4_PS8_21rocsparse_index_base_SH_SH_SH_bbb,@function
_ZN9rocsparseL27bsrgemm_fill_wf_per_row_2x2ILj256ELj16ELj16ELj137Ell21rocsparse_complex_numIdEEEv20rocsparse_direction_T4_S4_PKS4_S6_NS_24const_host_device_scalarIT5_EEPKT3_S6_PKS8_SC_S6_SE_S9_SC_S6_SE_SC_PS4_PS8_21rocsparse_index_base_SH_SH_SH_bbb: ; @_ZN9rocsparseL27bsrgemm_fill_wf_per_row_2x2ILj256ELj16ELj16ELj137Ell21rocsparse_complex_numIdEEEv20rocsparse_direction_T4_S4_PKS4_S6_NS_24const_host_device_scalarIT5_EEPKT3_S6_PKS8_SC_S6_SE_S9_SC_S6_SE_SC_PS4_PS8_21rocsparse_index_base_SH_SH_SH_bbb
; %bb.0:
	s_clause 0x3
	s_load_b32 s14, s[0:1], 0xb8
	s_load_b128 s[4:7], s[0:1], 0x28
	s_load_b128 s[36:39], s[0:1], 0x68
	s_load_b128 s[24:27], s[0:1], 0xa8
	v_mov_b32_e32 v16, 0
	v_mov_b32_e32 v17, 0
	s_waitcnt lgkmcnt(0)
	s_bitcmp1_b32 s14, 0
	v_dual_mov_b32 v1, s4 :: v_dual_mov_b32 v2, s5
	s_cselect_b32 s12, -1, 0
	s_bitcmp1_b32 s14, 16
	v_dual_mov_b32 v23, v17 :: v_dual_mov_b32 v22, v16
	s_cselect_b32 s2, -1, 0
	v_dual_mov_b32 v25, v17 :: v_dual_mov_b32 v24, v16
	s_xor_b32 s13, s2, -1
	v_dual_mov_b32 v3, s36 :: v_dual_mov_b32 v4, s37
	v_cndmask_b32_e64 v5, 0, 1, s13
	s_bitcmp0_b32 s14, 0
	s_clause 0x1
	scratch_store_b64 off, v[1:2], off
	scratch_store_b64 off, v[3:4], off offset:8
	v_cmp_ne_u32_e32 vcc_lo, 1, v5
	s_cbranch_scc1 .LBB148_3
; %bb.1:
	s_mov_b64 s[8:9], src_private_base
	s_and_b32 s3, s2, exec_lo
	s_cselect_b32 s3, s9, s5
	s_delay_alu instid0(SALU_CYCLE_1) | instskip(SKIP_2) | instid1(VALU_DEP_2)
	v_dual_mov_b32 v1, 0 :: v_dual_mov_b32 v2, s3
	v_dual_mov_b32 v25, s7 :: v_dual_mov_b32 v24, s6
	s_and_b32 vcc_lo, exec_lo, vcc_lo
	v_cndmask_b32_e64 v1, s4, v1, s2
	flat_load_b64 v[22:23], v[1:2]
	s_cbranch_vccnz .LBB148_3
; %bb.2:
	v_dual_mov_b32 v1, s4 :: v_dual_mov_b32 v2, s5
	flat_load_b64 v[24:25], v[1:2] offset:8
.LBB148_3:
	s_clause 0x4
	s_load_b128 s[28:31], s[0:1], 0x98
	s_load_b256 s[4:11], s[0:1], 0x78
	s_load_b128 s[40:43], s[0:1], 0x58
	s_load_b128 s[44:47], s[0:1], 0x18
	s_load_b256 s[16:23], s[0:1], 0x38
	s_bitcmp1_b32 s14, 8
	v_dual_mov_b32 v19, v17 :: v_dual_mov_b32 v18, v16
	s_cselect_b32 s3, -1, 0
	s_bfe_u32 s14, s14, 0x10008
	s_delay_alu instid0(SALU_CYCLE_1)
	s_cmp_eq_u32 s14, 0
	s_cbranch_scc1 .LBB148_6
; %bb.4:
	s_mov_b64 s[34:35], src_private_base
	s_and_b32 s14, s2, exec_lo
	s_cselect_b32 s14, s35, s37
	s_delay_alu instid0(SALU_CYCLE_1) | instskip(SKIP_2) | instid1(VALU_DEP_2)
	v_dual_mov_b32 v1, 8 :: v_dual_mov_b32 v2, s14
	v_dual_mov_b32 v16, s38 :: v_dual_mov_b32 v17, s39
	s_and_not1_b32 vcc_lo, exec_lo, s13
	v_cndmask_b32_e64 v1, s36, v1, s2
	flat_load_b64 v[18:19], v[1:2]
	s_cbranch_vccnz .LBB148_6
; %bb.5:
	v_dual_mov_b32 v1, s36 :: v_dual_mov_b32 v2, s37
	flat_load_b64 v[16:17], v[1:2] offset:8
.LBB148_6:
	s_load_b128 s[36:39], s[0:1], 0x8
	v_and_b32_e32 v1, 0xf0, v0
	v_and_b32_e32 v60, 15, v0
	v_lshrrev_b32_e32 v4, 4, v0
	v_mov_b32_e32 v0, 0
	s_mov_b32 s2, 0
	v_lshl_or_b32 v61, v1, 3, 0x4000
	s_delay_alu instid0(VALU_DEP_2) | instskip(SKIP_1) | instid1(VALU_DEP_3)
	v_dual_mov_b32 v1, v0 :: v_dual_lshlrev_b32 v2, 4, v60
	v_or_b32_e32 v5, -16, v60
	v_lshl_or_b32 v63, v60, 3, v61
	v_mov_b32_e32 v3, v0
	s_waitcnt lgkmcnt(0)
	v_mov_b32_e32 v7, s38
	v_lshl_or_b32 v6, v4, 10, v2
	v_mov_b32_e32 v8, s39
	v_mov_b32_e32 v2, v0
	ds_store_b64 v63, v[7:8]
.LBB148_7:                              ; =>This Inner Loop Header: Depth=1
	v_add_nc_u32_e32 v5, 16, v5
	ds_store_b128 v6, v[0:3]
	v_add_nc_u32_e32 v6, 0x100, v6
	v_cmp_lt_u32_e32 vcc_lo, 47, v5
	s_or_b32 s2, vcc_lo, s2
	s_delay_alu instid0(SALU_CYCLE_1)
	s_and_not1_b32 exec_lo, exec_lo, s2
	s_cbranch_execnz .LBB148_7
; %bb.8:
	s_or_b32 exec_lo, exec_lo, s2
	v_lshl_or_b32 v0, s15, 4, v4
	v_mov_b32_e32 v1, 0
	s_waitcnt vmcnt(0) lgkmcnt(0)
	s_waitcnt_vscnt null, 0x0
	s_barrier
	buffer_gl0_inv
	s_mov_b32 s2, exec_lo
	v_cmpx_gt_i64_e64 s[36:37], v[0:1]
	s_cbranch_execz .LBB148_186
; %bb.9:
	s_cmp_eq_u64 s[46:47], 0
	s_cbranch_scc1 .LBB148_11
; %bb.10:
	s_load_b64 s[14:15], s[44:45], 0x0
	v_lshlrev_b64 v[0:1], 3, v[0:1]
	s_waitcnt lgkmcnt(0)
	s_lshl_b64 s[14:15], s[14:15], 3
	s_delay_alu instid0(SALU_CYCLE_1) | instskip(SKIP_1) | instid1(VALU_DEP_1)
	s_add_u32 s2, s46, s14
	s_addc_u32 s13, s47, s15
	v_add_co_u32 v0, vcc_lo, s2, v0
	v_add_co_ci_u32_e32 v1, vcc_lo, s13, v1, vcc_lo
	global_load_b64 v[0:1], v[0:1], off
.LBB148_11:
	s_load_b32 s0, s[0:1], 0x0
	s_waitcnt vmcnt(0)
	v_lshlrev_b64 v[20:21], 3, v[0:1]
	v_lshlrev_b32_e32 v62, 10, v4
	s_and_not1_b32 vcc_lo, exec_lo, s12
	s_cbranch_vccnz .LBB148_99
; %bb.12:
	s_delay_alu instid0(VALU_DEP_2) | instskip(NEXT) | instid1(VALU_DEP_3)
	v_add_co_u32 v0, vcc_lo, s16, v20
	v_add_co_ci_u32_e32 v1, vcc_lo, s17, v21, vcc_lo
	v_sub_co_u32 v4, s1, v60, s24
	s_delay_alu instid0(VALU_DEP_1)
	v_sub_co_ci_u32_e64 v5, null, 0, 0, s1
	global_load_b128 v[0:3], v[0:1], off
	s_mov_b32 s2, 0
	s_mov_b32 s1, exec_lo
	s_waitcnt vmcnt(0)
	v_sub_co_u32 v26, vcc_lo, v2, s24
	v_subrev_co_ci_u32_e32 v27, vcc_lo, 0, v3, vcc_lo
	v_add_co_u32 v28, vcc_lo, v0, v4
	v_add_co_ci_u32_e32 v29, vcc_lo, v1, v5, vcc_lo
	s_delay_alu instid0(VALU_DEP_1)
	v_cmpx_lt_i64_e64 v[28:29], v[26:27]
	s_cbranch_execz .LBB148_98
; %bb.13:
	s_waitcnt lgkmcnt(0)
	s_cmp_eq_u32 s0, 0
	s_mov_b32 s12, s25
	s_cselect_b32 s13, 1, 2
	s_cselect_b32 s14, 2, 1
	s_branch .LBB148_15
.LBB148_14:                             ;   in Loop: Header=BB148_15 Depth=1
	s_or_b32 exec_lo, exec_lo, s15
	v_add_co_u32 v28, vcc_lo, v28, 16
	v_add_co_ci_u32_e32 v29, vcc_lo, 0, v29, vcc_lo
	s_delay_alu instid0(VALU_DEP_1) | instskip(SKIP_1) | instid1(SALU_CYCLE_1)
	v_cmp_ge_i64_e32 vcc_lo, v[28:29], v[26:27]
	s_or_b32 s2, vcc_lo, s2
	s_and_not1_b32 exec_lo, exec_lo, s2
	s_cbranch_execz .LBB148_98
.LBB148_15:                             ; =>This Loop Header: Depth=1
                                        ;     Child Loop BB148_18 Depth 2
                                        ;       Child Loop BB148_20 Depth 3
                                        ;         Child Loop BB148_26 Depth 4
                                        ;         Child Loop BB148_28 Depth 4
                                        ;         Child Loop BB148_34 Depth 4
                                        ;         Child Loop BB148_36 Depth 4
                                        ;       Child Loop BB148_40 Depth 3
                                        ;         Child Loop BB148_46 Depth 4
                                        ;         Child Loop BB148_48 Depth 4
                                        ;         Child Loop BB148_54 Depth 4
                                        ;         Child Loop BB148_56 Depth 4
	;; [unrolled: 5-line block ×4, first 2 shown]
	v_lshlrev_b64 v[0:1], 3, v[28:29]
	s_mov_b32 s15, exec_lo
	s_delay_alu instid0(VALU_DEP_1) | instskip(NEXT) | instid1(VALU_DEP_2)
	v_add_co_u32 v0, vcc_lo, s18, v0
	v_add_co_ci_u32_e32 v1, vcc_lo, s19, v1, vcc_lo
	global_load_b64 v[0:1], v[0:1], off
	s_waitcnt vmcnt(0)
	v_sub_co_u32 v0, vcc_lo, v0, s24
	v_subrev_co_ci_u32_e32 v1, vcc_lo, 0, v1, vcc_lo
	s_delay_alu instid0(VALU_DEP_1) | instskip(NEXT) | instid1(VALU_DEP_1)
	v_lshlrev_b64 v[0:1], 3, v[0:1]
	v_add_co_u32 v0, vcc_lo, s22, v0
	s_delay_alu instid0(VALU_DEP_2)
	v_add_co_ci_u32_e32 v1, vcc_lo, s23, v1, vcc_lo
	global_load_b128 v[0:3], v[0:1], off
	s_waitcnt vmcnt(0)
	v_cmpx_lt_i64_e64 v[0:1], v[2:3]
	s_cbranch_execz .LBB148_14
; %bb.16:                               ;   in Loop: Header=BB148_15 Depth=1
	v_lshlrev_b64 v[4:5], 2, v[28:29]
	v_lshlrev_b64 v[6:7], 6, v[28:29]
	s_mov_b32 s16, 0
	s_delay_alu instid0(VALU_DEP_2) | instskip(NEXT) | instid1(VALU_DEP_3)
	v_or_b32_e32 v9, 0, v5
	v_or_b32_e32 v8, s13, v4
	;; [unrolled: 1-line block ×4, first 2 shown]
	v_add_co_u32 v10, vcc_lo, s20, v6
	s_delay_alu instid0(VALU_DEP_4) | instskip(SKIP_1) | instid1(VALU_DEP_4)
	v_lshlrev_b64 v[8:9], 4, v[8:9]
	v_add_co_ci_u32_e32 v11, vcc_lo, s21, v7, vcc_lo
	v_lshlrev_b64 v[12:13], 4, v[12:13]
	global_load_b128 v[4:7], v[10:11], off
	v_add_co_u32 v14, vcc_lo, s20, v8
	v_add_co_ci_u32_e32 v15, vcc_lo, s21, v9, vcc_lo
	v_add_co_u32 v30, vcc_lo, s20, v12
	v_add_co_ci_u32_e32 v31, vcc_lo, s21, v13, vcc_lo
	s_clause 0x2
	global_load_b128 v[8:11], v[10:11], off offset:48
	global_load_b128 v[12:15], v[14:15], off
	global_load_b128 v[44:47], v[30:31], off
	s_waitcnt vmcnt(3)
	v_mul_f64 v[30:31], v[6:7], -v[24:25]
	v_mul_f64 v[6:7], v[22:23], v[6:7]
	s_waitcnt vmcnt(2)
	v_mul_f64 v[34:35], v[10:11], -v[24:25]
	v_mul_f64 v[10:11], v[22:23], v[10:11]
	;; [unrolled: 3-line block ×4, first 2 shown]
	v_fma_f64 v[30:31], v[22:23], v[4:5], v[30:31]
	v_fma_f64 v[32:33], v[24:25], v[4:5], v[6:7]
	;; [unrolled: 1-line block ×8, first 2 shown]
	v_sub_co_u32 v46, vcc_lo, v2, s12
	v_subrev_co_ci_u32_e32 v47, vcc_lo, 0, v3, vcc_lo
	v_sub_co_u32 v48, vcc_lo, v0, s12
	v_subrev_co_ci_u32_e32 v49, vcc_lo, 0, v1, vcc_lo
	s_branch .LBB148_18
.LBB148_17:                             ;   in Loop: Header=BB148_18 Depth=2
	s_or_b32 exec_lo, exec_lo, s17
	v_add_co_u32 v48, vcc_lo, v48, 1
	v_add_co_ci_u32_e32 v49, vcc_lo, 0, v49, vcc_lo
	s_delay_alu instid0(VALU_DEP_1) | instskip(SKIP_1) | instid1(SALU_CYCLE_1)
	v_cmp_ge_i64_e32 vcc_lo, v[48:49], v[46:47]
	s_or_b32 s16, vcc_lo, s16
	s_and_not1_b32 exec_lo, exec_lo, s16
	s_cbranch_execz .LBB148_14
.LBB148_18:                             ;   Parent Loop BB148_15 Depth=1
                                        ; =>  This Loop Header: Depth=2
                                        ;       Child Loop BB148_20 Depth 3
                                        ;         Child Loop BB148_26 Depth 4
                                        ;         Child Loop BB148_28 Depth 4
                                        ;         Child Loop BB148_34 Depth 4
                                        ;         Child Loop BB148_36 Depth 4
                                        ;       Child Loop BB148_40 Depth 3
                                        ;         Child Loop BB148_46 Depth 4
                                        ;         Child Loop BB148_48 Depth 4
                                        ;         Child Loop BB148_54 Depth 4
                                        ;         Child Loop BB148_56 Depth 4
	;; [unrolled: 5-line block ×4, first 2 shown]
	s_delay_alu instid0(VALU_DEP_1) | instskip(SKIP_1) | instid1(VALU_DEP_1)
	v_lshlrev_b64 v[0:1], 2, v[48:49]
	s_mov_b32 s17, 0
	v_or_b32_e32 v3, 0, v1
	s_delay_alu instid0(VALU_DEP_2) | instskip(SKIP_2) | instid1(VALU_DEP_3)
	v_or_b32_e32 v2, s14, v0
	v_or_b32_e32 v1, 0, v1
	;; [unrolled: 1-line block ×3, first 2 shown]
	v_lshlrev_b64 v[2:3], 4, v[2:3]
	s_delay_alu instid0(VALU_DEP_2) | instskip(NEXT) | instid1(VALU_DEP_2)
	v_lshlrev_b64 v[0:1], 4, v[0:1]
	v_add_co_u32 v2, vcc_lo, s42, v2
	s_delay_alu instid0(VALU_DEP_3) | instskip(SKIP_2) | instid1(VALU_DEP_1)
	v_add_co_ci_u32_e32 v3, vcc_lo, s43, v3, vcc_lo
	global_load_b128 v[12:15], v[2:3], off
	v_lshlrev_b64 v[2:3], 6, v[48:49]
	v_add_co_u32 v4, vcc_lo, s42, v2
	s_delay_alu instid0(VALU_DEP_2)
	v_add_co_ci_u32_e32 v5, vcc_lo, s43, v3, vcc_lo
	v_lshlrev_b64 v[2:3], 3, v[48:49]
	global_load_b128 v[8:11], v[4:5], off
	v_add_co_u32 v2, vcc_lo, s40, v2
	v_add_co_ci_u32_e32 v3, vcc_lo, s41, v3, vcc_lo
	v_add_co_u32 v0, vcc_lo, s42, v0
	v_add_co_ci_u32_e32 v1, vcc_lo, s43, v1, vcc_lo
	global_load_b64 v[50:51], v[2:3], off
	s_clause 0x1
	global_load_b128 v[0:3], v[0:1], off
	global_load_b128 v[4:7], v[4:5], off offset:48
	s_waitcnt vmcnt(4)
	v_mul_f64 v[52:53], v[14:15], -v[40:41]
	v_mul_f64 v[54:55], v[38:39], v[14:15]
	s_waitcnt vmcnt(2)
	v_sub_co_u32 v50, vcc_lo, v50, s12
	v_subrev_co_ci_u32_e32 v51, vcc_lo, 0, v51, vcc_lo
	s_delay_alu instid0(VALU_DEP_4) | instskip(NEXT) | instid1(VALU_DEP_4)
	v_fma_f64 v[52:53], v[38:39], v[12:13], v[52:53]
	v_fma_f64 v[54:55], v[40:41], v[12:13], v[54:55]
	s_delay_alu instid0(VALU_DEP_2) | instskip(NEXT) | instid1(VALU_DEP_2)
	v_fma_f64 v[52:53], v[30:31], v[8:9], v[52:53]
	v_fma_f64 v[55:56], v[32:33], v[8:9], v[54:55]
	s_delay_alu instid0(VALU_DEP_2) | instskip(NEXT) | instid1(VALU_DEP_2)
	v_fma_f64 v[53:54], -v[32:33], v[10:11], v[52:53]
	v_fma_f64 v[55:56], v[30:31], v[10:11], v[55:56]
	v_lshl_add_u32 v52, v50, 3, v50
	s_delay_alu instid0(VALU_DEP_1) | instskip(NEXT) | instid1(VALU_DEP_1)
	v_and_b32_e32 v52, 15, v52
	v_dual_mov_b32 v58, v53 :: v_dual_mov_b32 v57, v52
	s_branch .LBB148_20
.LBB148_19:                             ;   in Loop: Header=BB148_20 Depth=3
	s_or_b32 exec_lo, exec_lo, s25
	s_xor_b32 s25, s33, -1
	s_delay_alu instid0(SALU_CYCLE_1) | instskip(NEXT) | instid1(SALU_CYCLE_1)
	s_and_b32 s25, exec_lo, s25
	s_or_b32 s17, s25, s17
	s_delay_alu instid0(SALU_CYCLE_1)
	s_and_not1_b32 exec_lo, exec_lo, s17
	s_cbranch_execz .LBB148_38
.LBB148_20:                             ;   Parent Loop BB148_15 Depth=1
                                        ;     Parent Loop BB148_18 Depth=2
                                        ; =>    This Loop Header: Depth=3
                                        ;         Child Loop BB148_26 Depth 4
                                        ;         Child Loop BB148_28 Depth 4
	;; [unrolled: 1-line block ×4, first 2 shown]
	s_delay_alu instid0(VALU_DEP_1)
	v_lshl_add_u32 v64, v57, 3, v61
	s_mov_b32 s25, exec_lo
                                        ; implicit-def: $sgpr33
	ds_load_b64 v[58:59], v64
	s_waitcnt lgkmcnt(0)
	v_cmpx_ne_u64_e64 v[58:59], v[50:51]
	s_xor_b32 s25, exec_lo, s25
	s_cbranch_execz .LBB148_32
; %bb.21:                               ;   in Loop: Header=BB148_20 Depth=3
	s_mov_b32 s34, exec_lo
                                        ; implicit-def: $sgpr33
	v_cmpx_ne_u64_e64 s[38:39], v[58:59]
	s_xor_b32 s34, exec_lo, s34
; %bb.22:                               ;   in Loop: Header=BB148_20 Depth=3
	v_add_nc_u32_e32 v57, 1, v57
	s_mov_b32 s33, -1
                                        ; implicit-def: $vgpr64
	s_delay_alu instid0(VALU_DEP_1)
	v_and_b32_e32 v57, 15, v57
; %bb.23:                               ;   in Loop: Header=BB148_20 Depth=3
	s_and_not1_saveexec_b32 s34, s34
	s_cbranch_execz .LBB148_31
; %bb.24:                               ;   in Loop: Header=BB148_20 Depth=3
	v_dual_mov_b32 v59, s39 :: v_dual_mov_b32 v58, s38
	s_mov_b32 s36, -1
	s_mov_b32 s35, exec_lo
	ds_cmpstore_rtn_b64 v[58:59], v64, v[50:51], v[58:59]
	s_waitcnt lgkmcnt(0)
	v_cmpx_eq_u64_e64 s[38:39], v[58:59]
	s_cbranch_execz .LBB148_30
; %bb.25:                               ;   in Loop: Header=BB148_20 Depth=3
	v_lshlrev_b32_e32 v58, 6, v57
	s_mov_b32 s36, 0
	s_delay_alu instid0(VALU_DEP_1)
	v_add_nc_u32_e32 v64, v62, v58
	ds_load_b64 v[58:59], v64
.LBB148_26:                             ;   Parent Loop BB148_15 Depth=1
                                        ;     Parent Loop BB148_18 Depth=2
                                        ;       Parent Loop BB148_20 Depth=3
                                        ; =>      This Inner Loop Header: Depth=4
	s_waitcnt lgkmcnt(0)
	v_add_f64 v[65:66], v[58:59], v[53:54]
	ds_cmpstore_rtn_b64 v[65:66], v64, v[65:66], v[58:59]
	s_waitcnt lgkmcnt(0)
	v_cmp_eq_u64_e32 vcc_lo, v[65:66], v[58:59]
	v_dual_mov_b32 v58, v65 :: v_dual_mov_b32 v59, v66
	s_or_b32 s36, vcc_lo, s36
	s_delay_alu instid0(SALU_CYCLE_1)
	s_and_not1_b32 exec_lo, exec_lo, s36
	s_cbranch_execnz .LBB148_26
; %bb.27:                               ;   in Loop: Header=BB148_20 Depth=3
	s_or_b32 exec_lo, exec_lo, s36
	ds_load_b64 v[58:59], v64 offset:8
	s_mov_b32 s36, 0
.LBB148_28:                             ;   Parent Loop BB148_15 Depth=1
                                        ;     Parent Loop BB148_18 Depth=2
                                        ;       Parent Loop BB148_20 Depth=3
                                        ; =>      This Inner Loop Header: Depth=4
	s_waitcnt lgkmcnt(0)
	v_add_f64 v[65:66], v[58:59], v[55:56]
	ds_cmpstore_rtn_b64 v[65:66], v64, v[65:66], v[58:59] offset:8
	s_waitcnt lgkmcnt(0)
	v_cmp_eq_u64_e32 vcc_lo, v[65:66], v[58:59]
	v_dual_mov_b32 v58, v65 :: v_dual_mov_b32 v59, v66
	s_or_b32 s36, vcc_lo, s36
	s_delay_alu instid0(SALU_CYCLE_1)
	s_and_not1_b32 exec_lo, exec_lo, s36
	s_cbranch_execnz .LBB148_28
; %bb.29:                               ;   in Loop: Header=BB148_20 Depth=3
	s_or_b32 exec_lo, exec_lo, s36
	s_delay_alu instid0(SALU_CYCLE_1)
	s_xor_b32 s36, exec_lo, -1
.LBB148_30:                             ;   in Loop: Header=BB148_20 Depth=3
	s_or_b32 exec_lo, exec_lo, s35
	s_delay_alu instid0(SALU_CYCLE_1) | instskip(SKIP_1) | instid1(SALU_CYCLE_1)
	s_and_not1_b32 s33, s33, exec_lo
	s_and_b32 s35, s36, exec_lo
	s_or_b32 s33, s33, s35
.LBB148_31:                             ;   in Loop: Header=BB148_20 Depth=3
	s_or_b32 exec_lo, exec_lo, s34
	s_delay_alu instid0(SALU_CYCLE_1)
	s_and_b32 s33, s33, exec_lo
.LBB148_32:                             ;   in Loop: Header=BB148_20 Depth=3
	s_and_not1_saveexec_b32 s25, s25
	s_cbranch_execz .LBB148_19
; %bb.33:                               ;   in Loop: Header=BB148_20 Depth=3
	v_lshlrev_b32_e32 v58, 6, v57
	s_mov_b32 s34, 0
	s_delay_alu instid0(VALU_DEP_1)
	v_add_nc_u32_e32 v64, v62, v58
	ds_load_b64 v[58:59], v64
.LBB148_34:                             ;   Parent Loop BB148_15 Depth=1
                                        ;     Parent Loop BB148_18 Depth=2
                                        ;       Parent Loop BB148_20 Depth=3
                                        ; =>      This Inner Loop Header: Depth=4
	s_waitcnt lgkmcnt(0)
	v_add_f64 v[65:66], v[58:59], v[53:54]
	ds_cmpstore_rtn_b64 v[65:66], v64, v[65:66], v[58:59]
	s_waitcnt lgkmcnt(0)
	v_cmp_eq_u64_e32 vcc_lo, v[65:66], v[58:59]
	v_dual_mov_b32 v58, v65 :: v_dual_mov_b32 v59, v66
	s_or_b32 s34, vcc_lo, s34
	s_delay_alu instid0(SALU_CYCLE_1)
	s_and_not1_b32 exec_lo, exec_lo, s34
	s_cbranch_execnz .LBB148_34
; %bb.35:                               ;   in Loop: Header=BB148_20 Depth=3
	s_or_b32 exec_lo, exec_lo, s34
	ds_load_b64 v[58:59], v64 offset:8
	s_mov_b32 s34, 0
.LBB148_36:                             ;   Parent Loop BB148_15 Depth=1
                                        ;     Parent Loop BB148_18 Depth=2
                                        ;       Parent Loop BB148_20 Depth=3
                                        ; =>      This Inner Loop Header: Depth=4
	s_waitcnt lgkmcnt(0)
	v_add_f64 v[65:66], v[58:59], v[55:56]
	ds_cmpstore_rtn_b64 v[65:66], v64, v[65:66], v[58:59] offset:8
	s_waitcnt lgkmcnt(0)
	v_cmp_eq_u64_e32 vcc_lo, v[65:66], v[58:59]
	v_dual_mov_b32 v58, v65 :: v_dual_mov_b32 v59, v66
	s_or_b32 s34, vcc_lo, s34
	s_delay_alu instid0(SALU_CYCLE_1)
	s_and_not1_b32 exec_lo, exec_lo, s34
	s_cbranch_execnz .LBB148_36
; %bb.37:                               ;   in Loop: Header=BB148_20 Depth=3
	s_or_b32 exec_lo, exec_lo, s34
	s_delay_alu instid0(SALU_CYCLE_1)
	s_and_not1_b32 s33, s33, exec_lo
	s_branch .LBB148_19
.LBB148_38:                             ;   in Loop: Header=BB148_18 Depth=2
	s_or_b32 exec_lo, exec_lo, s17
	s_waitcnt vmcnt(0)
	v_mul_f64 v[53:54], v[6:7], -v[40:41]
	v_mul_f64 v[55:56], v[38:39], v[6:7]
	s_mov_b32 s17, 0
	s_delay_alu instid0(VALU_DEP_2) | instskip(NEXT) | instid1(VALU_DEP_2)
	v_fma_f64 v[53:54], v[38:39], v[4:5], v[53:54]
	v_fma_f64 v[55:56], v[40:41], v[4:5], v[55:56]
	s_delay_alu instid0(VALU_DEP_2) | instskip(NEXT) | instid1(VALU_DEP_2)
	v_fma_f64 v[53:54], v[30:31], v[0:1], v[53:54]
	v_fma_f64 v[55:56], v[32:33], v[0:1], v[55:56]
	s_delay_alu instid0(VALU_DEP_2) | instskip(NEXT) | instid1(VALU_DEP_2)
	v_fma_f64 v[53:54], -v[32:33], v[2:3], v[53:54]
	v_fma_f64 v[55:56], v[30:31], v[2:3], v[55:56]
	s_delay_alu instid0(VALU_DEP_2)
	v_dual_mov_b32 v58, v53 :: v_dual_mov_b32 v57, v52
	s_branch .LBB148_40
.LBB148_39:                             ;   in Loop: Header=BB148_40 Depth=3
	s_or_b32 exec_lo, exec_lo, s25
	s_xor_b32 s25, s33, -1
	s_delay_alu instid0(SALU_CYCLE_1) | instskip(NEXT) | instid1(SALU_CYCLE_1)
	s_and_b32 s25, exec_lo, s25
	s_or_b32 s17, s25, s17
	s_delay_alu instid0(SALU_CYCLE_1)
	s_and_not1_b32 exec_lo, exec_lo, s17
	s_cbranch_execz .LBB148_58
.LBB148_40:                             ;   Parent Loop BB148_15 Depth=1
                                        ;     Parent Loop BB148_18 Depth=2
                                        ; =>    This Loop Header: Depth=3
                                        ;         Child Loop BB148_46 Depth 4
                                        ;         Child Loop BB148_48 Depth 4
	;; [unrolled: 1-line block ×4, first 2 shown]
	s_delay_alu instid0(VALU_DEP_1)
	v_lshl_add_u32 v64, v57, 3, v61
	s_mov_b32 s25, exec_lo
                                        ; implicit-def: $sgpr33
	ds_load_b64 v[58:59], v64
	s_waitcnt lgkmcnt(0)
	v_cmpx_ne_u64_e64 v[58:59], v[50:51]
	s_xor_b32 s25, exec_lo, s25
	s_cbranch_execz .LBB148_52
; %bb.41:                               ;   in Loop: Header=BB148_40 Depth=3
	s_mov_b32 s34, exec_lo
                                        ; implicit-def: $sgpr33
	v_cmpx_ne_u64_e64 s[38:39], v[58:59]
	s_xor_b32 s34, exec_lo, s34
; %bb.42:                               ;   in Loop: Header=BB148_40 Depth=3
	v_add_nc_u32_e32 v57, 1, v57
	s_mov_b32 s33, -1
                                        ; implicit-def: $vgpr64
	s_delay_alu instid0(VALU_DEP_1)
	v_and_b32_e32 v57, 15, v57
; %bb.43:                               ;   in Loop: Header=BB148_40 Depth=3
	s_and_not1_saveexec_b32 s34, s34
	s_cbranch_execz .LBB148_51
; %bb.44:                               ;   in Loop: Header=BB148_40 Depth=3
	v_dual_mov_b32 v59, s39 :: v_dual_mov_b32 v58, s38
	s_mov_b32 s36, -1
	s_mov_b32 s35, exec_lo
	ds_cmpstore_rtn_b64 v[58:59], v64, v[50:51], v[58:59]
	s_waitcnt lgkmcnt(0)
	v_cmpx_eq_u64_e64 s[38:39], v[58:59]
	s_cbranch_execz .LBB148_50
; %bb.45:                               ;   in Loop: Header=BB148_40 Depth=3
	v_lshlrev_b32_e32 v58, 6, v57
	s_mov_b32 s36, 0
	s_delay_alu instid0(VALU_DEP_1)
	v_add_nc_u32_e32 v64, v62, v58
	ds_load_b64 v[58:59], v64 offset:16
.LBB148_46:                             ;   Parent Loop BB148_15 Depth=1
                                        ;     Parent Loop BB148_18 Depth=2
                                        ;       Parent Loop BB148_40 Depth=3
                                        ; =>      This Inner Loop Header: Depth=4
	s_waitcnt lgkmcnt(0)
	v_add_f64 v[65:66], v[58:59], v[53:54]
	ds_cmpstore_rtn_b64 v[65:66], v64, v[65:66], v[58:59] offset:16
	s_waitcnt lgkmcnt(0)
	v_cmp_eq_u64_e32 vcc_lo, v[65:66], v[58:59]
	v_dual_mov_b32 v58, v65 :: v_dual_mov_b32 v59, v66
	s_or_b32 s36, vcc_lo, s36
	s_delay_alu instid0(SALU_CYCLE_1)
	s_and_not1_b32 exec_lo, exec_lo, s36
	s_cbranch_execnz .LBB148_46
; %bb.47:                               ;   in Loop: Header=BB148_40 Depth=3
	s_or_b32 exec_lo, exec_lo, s36
	ds_load_b64 v[58:59], v64 offset:24
	s_mov_b32 s36, 0
.LBB148_48:                             ;   Parent Loop BB148_15 Depth=1
                                        ;     Parent Loop BB148_18 Depth=2
                                        ;       Parent Loop BB148_40 Depth=3
                                        ; =>      This Inner Loop Header: Depth=4
	s_waitcnt lgkmcnt(0)
	v_add_f64 v[65:66], v[58:59], v[55:56]
	ds_cmpstore_rtn_b64 v[65:66], v64, v[65:66], v[58:59] offset:24
	s_waitcnt lgkmcnt(0)
	v_cmp_eq_u64_e32 vcc_lo, v[65:66], v[58:59]
	v_dual_mov_b32 v58, v65 :: v_dual_mov_b32 v59, v66
	s_or_b32 s36, vcc_lo, s36
	s_delay_alu instid0(SALU_CYCLE_1)
	s_and_not1_b32 exec_lo, exec_lo, s36
	s_cbranch_execnz .LBB148_48
; %bb.49:                               ;   in Loop: Header=BB148_40 Depth=3
	s_or_b32 exec_lo, exec_lo, s36
	s_delay_alu instid0(SALU_CYCLE_1)
	s_xor_b32 s36, exec_lo, -1
.LBB148_50:                             ;   in Loop: Header=BB148_40 Depth=3
	s_or_b32 exec_lo, exec_lo, s35
	s_delay_alu instid0(SALU_CYCLE_1) | instskip(SKIP_1) | instid1(SALU_CYCLE_1)
	s_and_not1_b32 s33, s33, exec_lo
	s_and_b32 s35, s36, exec_lo
	s_or_b32 s33, s33, s35
.LBB148_51:                             ;   in Loop: Header=BB148_40 Depth=3
	s_or_b32 exec_lo, exec_lo, s34
	s_delay_alu instid0(SALU_CYCLE_1)
	s_and_b32 s33, s33, exec_lo
.LBB148_52:                             ;   in Loop: Header=BB148_40 Depth=3
	s_and_not1_saveexec_b32 s25, s25
	s_cbranch_execz .LBB148_39
; %bb.53:                               ;   in Loop: Header=BB148_40 Depth=3
	v_lshlrev_b32_e32 v58, 6, v57
	s_mov_b32 s34, 0
	s_delay_alu instid0(VALU_DEP_1)
	v_add_nc_u32_e32 v64, v62, v58
	ds_load_b64 v[58:59], v64 offset:16
.LBB148_54:                             ;   Parent Loop BB148_15 Depth=1
                                        ;     Parent Loop BB148_18 Depth=2
                                        ;       Parent Loop BB148_40 Depth=3
                                        ; =>      This Inner Loop Header: Depth=4
	s_waitcnt lgkmcnt(0)
	v_add_f64 v[65:66], v[58:59], v[53:54]
	ds_cmpstore_rtn_b64 v[65:66], v64, v[65:66], v[58:59] offset:16
	s_waitcnt lgkmcnt(0)
	v_cmp_eq_u64_e32 vcc_lo, v[65:66], v[58:59]
	v_dual_mov_b32 v58, v65 :: v_dual_mov_b32 v59, v66
	s_or_b32 s34, vcc_lo, s34
	s_delay_alu instid0(SALU_CYCLE_1)
	s_and_not1_b32 exec_lo, exec_lo, s34
	s_cbranch_execnz .LBB148_54
; %bb.55:                               ;   in Loop: Header=BB148_40 Depth=3
	s_or_b32 exec_lo, exec_lo, s34
	ds_load_b64 v[58:59], v64 offset:24
	s_mov_b32 s34, 0
.LBB148_56:                             ;   Parent Loop BB148_15 Depth=1
                                        ;     Parent Loop BB148_18 Depth=2
                                        ;       Parent Loop BB148_40 Depth=3
                                        ; =>      This Inner Loop Header: Depth=4
	s_waitcnt lgkmcnt(0)
	v_add_f64 v[65:66], v[58:59], v[55:56]
	ds_cmpstore_rtn_b64 v[65:66], v64, v[65:66], v[58:59] offset:24
	s_waitcnt lgkmcnt(0)
	v_cmp_eq_u64_e32 vcc_lo, v[65:66], v[58:59]
	v_dual_mov_b32 v58, v65 :: v_dual_mov_b32 v59, v66
	s_or_b32 s34, vcc_lo, s34
	s_delay_alu instid0(SALU_CYCLE_1)
	s_and_not1_b32 exec_lo, exec_lo, s34
	s_cbranch_execnz .LBB148_56
; %bb.57:                               ;   in Loop: Header=BB148_40 Depth=3
	s_or_b32 exec_lo, exec_lo, s34
	s_delay_alu instid0(SALU_CYCLE_1)
	s_and_not1_b32 s33, s33, exec_lo
	s_branch .LBB148_39
.LBB148_58:                             ;   in Loop: Header=BB148_18 Depth=2
	s_or_b32 exec_lo, exec_lo, s17
	v_mul_f64 v[53:54], v[14:15], -v[36:37]
	v_mul_f64 v[14:15], v[34:35], v[14:15]
	s_mov_b32 s17, 0
	s_delay_alu instid0(VALU_DEP_2) | instskip(NEXT) | instid1(VALU_DEP_2)
	v_fma_f64 v[53:54], v[34:35], v[12:13], v[53:54]
	v_fma_f64 v[12:13], v[36:37], v[12:13], v[14:15]
	s_delay_alu instid0(VALU_DEP_2) | instskip(NEXT) | instid1(VALU_DEP_2)
	v_fma_f64 v[14:15], v[42:43], v[8:9], v[53:54]
	v_fma_f64 v[12:13], v[44:45], v[8:9], v[12:13]
	s_delay_alu instid0(VALU_DEP_2) | instskip(NEXT) | instid1(VALU_DEP_2)
	v_fma_f64 v[8:9], -v[44:45], v[10:11], v[14:15]
	v_fma_f64 v[10:11], v[42:43], v[10:11], v[12:13]
	v_dual_mov_b32 v12, v52 :: v_dual_mov_b32 v13, v53
	s_branch .LBB148_60
.LBB148_59:                             ;   in Loop: Header=BB148_60 Depth=3
	s_or_b32 exec_lo, exec_lo, s25
	s_xor_b32 s25, s33, -1
	s_delay_alu instid0(SALU_CYCLE_1) | instskip(NEXT) | instid1(SALU_CYCLE_1)
	s_and_b32 s25, exec_lo, s25
	s_or_b32 s17, s25, s17
	s_delay_alu instid0(SALU_CYCLE_1)
	s_and_not1_b32 exec_lo, exec_lo, s17
	s_cbranch_execz .LBB148_78
.LBB148_60:                             ;   Parent Loop BB148_15 Depth=1
                                        ;     Parent Loop BB148_18 Depth=2
                                        ; =>    This Loop Header: Depth=3
                                        ;         Child Loop BB148_66 Depth 4
                                        ;         Child Loop BB148_68 Depth 4
	;; [unrolled: 1-line block ×4, first 2 shown]
	s_delay_alu instid0(VALU_DEP_1)
	v_lshl_add_u32 v15, v12, 3, v61
	s_mov_b32 s25, exec_lo
                                        ; implicit-def: $sgpr33
	ds_load_b64 v[13:14], v15
	s_waitcnt lgkmcnt(0)
	v_cmpx_ne_u64_e64 v[13:14], v[50:51]
	s_xor_b32 s25, exec_lo, s25
	s_cbranch_execz .LBB148_72
; %bb.61:                               ;   in Loop: Header=BB148_60 Depth=3
	s_mov_b32 s34, exec_lo
                                        ; implicit-def: $sgpr33
	v_cmpx_ne_u64_e64 s[38:39], v[13:14]
	s_xor_b32 s34, exec_lo, s34
; %bb.62:                               ;   in Loop: Header=BB148_60 Depth=3
	v_add_nc_u32_e32 v12, 1, v12
	s_mov_b32 s33, -1
                                        ; implicit-def: $vgpr15
	s_delay_alu instid0(VALU_DEP_1)
	v_and_b32_e32 v12, 15, v12
; %bb.63:                               ;   in Loop: Header=BB148_60 Depth=3
	s_and_not1_saveexec_b32 s34, s34
	s_cbranch_execz .LBB148_71
; %bb.64:                               ;   in Loop: Header=BB148_60 Depth=3
	v_dual_mov_b32 v13, s38 :: v_dual_mov_b32 v14, s39
	s_mov_b32 s36, -1
	s_mov_b32 s35, exec_lo
	ds_cmpstore_rtn_b64 v[13:14], v15, v[50:51], v[13:14]
	s_waitcnt lgkmcnt(0)
	v_cmpx_eq_u64_e64 s[38:39], v[13:14]
	s_cbranch_execz .LBB148_70
; %bb.65:                               ;   in Loop: Header=BB148_60 Depth=3
	v_lshlrev_b32_e32 v13, 6, v12
	s_mov_b32 s36, 0
	s_delay_alu instid0(VALU_DEP_1)
	v_add_nc_u32_e32 v15, v62, v13
	ds_load_b64 v[13:14], v15 offset:32
.LBB148_66:                             ;   Parent Loop BB148_15 Depth=1
                                        ;     Parent Loop BB148_18 Depth=2
                                        ;       Parent Loop BB148_60 Depth=3
                                        ; =>      This Inner Loop Header: Depth=4
	s_waitcnt lgkmcnt(0)
	v_add_f64 v[53:54], v[13:14], v[8:9]
	ds_cmpstore_rtn_b64 v[53:54], v15, v[53:54], v[13:14] offset:32
	s_waitcnt lgkmcnt(0)
	v_cmp_eq_u64_e32 vcc_lo, v[53:54], v[13:14]
	v_dual_mov_b32 v13, v53 :: v_dual_mov_b32 v14, v54
	s_or_b32 s36, vcc_lo, s36
	s_delay_alu instid0(SALU_CYCLE_1)
	s_and_not1_b32 exec_lo, exec_lo, s36
	s_cbranch_execnz .LBB148_66
; %bb.67:                               ;   in Loop: Header=BB148_60 Depth=3
	s_or_b32 exec_lo, exec_lo, s36
	ds_load_b64 v[13:14], v15 offset:40
	s_mov_b32 s36, 0
.LBB148_68:                             ;   Parent Loop BB148_15 Depth=1
                                        ;     Parent Loop BB148_18 Depth=2
                                        ;       Parent Loop BB148_60 Depth=3
                                        ; =>      This Inner Loop Header: Depth=4
	s_waitcnt lgkmcnt(0)
	v_add_f64 v[53:54], v[13:14], v[10:11]
	ds_cmpstore_rtn_b64 v[53:54], v15, v[53:54], v[13:14] offset:40
	s_waitcnt lgkmcnt(0)
	v_cmp_eq_u64_e32 vcc_lo, v[53:54], v[13:14]
	v_dual_mov_b32 v13, v53 :: v_dual_mov_b32 v14, v54
	s_or_b32 s36, vcc_lo, s36
	s_delay_alu instid0(SALU_CYCLE_1)
	s_and_not1_b32 exec_lo, exec_lo, s36
	s_cbranch_execnz .LBB148_68
; %bb.69:                               ;   in Loop: Header=BB148_60 Depth=3
	s_or_b32 exec_lo, exec_lo, s36
	s_delay_alu instid0(SALU_CYCLE_1)
	s_xor_b32 s36, exec_lo, -1
.LBB148_70:                             ;   in Loop: Header=BB148_60 Depth=3
	s_or_b32 exec_lo, exec_lo, s35
	s_delay_alu instid0(SALU_CYCLE_1) | instskip(SKIP_1) | instid1(SALU_CYCLE_1)
	s_and_not1_b32 s33, s33, exec_lo
	s_and_b32 s35, s36, exec_lo
	s_or_b32 s33, s33, s35
.LBB148_71:                             ;   in Loop: Header=BB148_60 Depth=3
	s_or_b32 exec_lo, exec_lo, s34
	s_delay_alu instid0(SALU_CYCLE_1)
	s_and_b32 s33, s33, exec_lo
.LBB148_72:                             ;   in Loop: Header=BB148_60 Depth=3
	s_and_not1_saveexec_b32 s25, s25
	s_cbranch_execz .LBB148_59
; %bb.73:                               ;   in Loop: Header=BB148_60 Depth=3
	v_lshlrev_b32_e32 v13, 6, v12
	s_mov_b32 s34, 0
	s_delay_alu instid0(VALU_DEP_1)
	v_add_nc_u32_e32 v15, v62, v13
	ds_load_b64 v[13:14], v15 offset:32
.LBB148_74:                             ;   Parent Loop BB148_15 Depth=1
                                        ;     Parent Loop BB148_18 Depth=2
                                        ;       Parent Loop BB148_60 Depth=3
                                        ; =>      This Inner Loop Header: Depth=4
	s_waitcnt lgkmcnt(0)
	v_add_f64 v[53:54], v[13:14], v[8:9]
	ds_cmpstore_rtn_b64 v[53:54], v15, v[53:54], v[13:14] offset:32
	s_waitcnt lgkmcnt(0)
	v_cmp_eq_u64_e32 vcc_lo, v[53:54], v[13:14]
	v_dual_mov_b32 v13, v53 :: v_dual_mov_b32 v14, v54
	s_or_b32 s34, vcc_lo, s34
	s_delay_alu instid0(SALU_CYCLE_1)
	s_and_not1_b32 exec_lo, exec_lo, s34
	s_cbranch_execnz .LBB148_74
; %bb.75:                               ;   in Loop: Header=BB148_60 Depth=3
	s_or_b32 exec_lo, exec_lo, s34
	ds_load_b64 v[13:14], v15 offset:40
	s_mov_b32 s34, 0
.LBB148_76:                             ;   Parent Loop BB148_15 Depth=1
                                        ;     Parent Loop BB148_18 Depth=2
                                        ;       Parent Loop BB148_60 Depth=3
                                        ; =>      This Inner Loop Header: Depth=4
	s_waitcnt lgkmcnt(0)
	v_add_f64 v[53:54], v[13:14], v[10:11]
	ds_cmpstore_rtn_b64 v[53:54], v15, v[53:54], v[13:14] offset:40
	s_waitcnt lgkmcnt(0)
	v_cmp_eq_u64_e32 vcc_lo, v[53:54], v[13:14]
	v_dual_mov_b32 v13, v53 :: v_dual_mov_b32 v14, v54
	s_or_b32 s34, vcc_lo, s34
	s_delay_alu instid0(SALU_CYCLE_1)
	s_and_not1_b32 exec_lo, exec_lo, s34
	s_cbranch_execnz .LBB148_76
; %bb.77:                               ;   in Loop: Header=BB148_60 Depth=3
	s_or_b32 exec_lo, exec_lo, s34
	s_delay_alu instid0(SALU_CYCLE_1)
	s_and_not1_b32 s33, s33, exec_lo
	s_branch .LBB148_59
.LBB148_78:                             ;   in Loop: Header=BB148_18 Depth=2
	s_or_b32 exec_lo, exec_lo, s17
	v_mul_f64 v[8:9], v[6:7], -v[36:37]
	v_mul_f64 v[6:7], v[34:35], v[6:7]
	s_mov_b32 s17, 0
	s_delay_alu instid0(VALU_DEP_2) | instskip(NEXT) | instid1(VALU_DEP_2)
	v_fma_f64 v[8:9], v[34:35], v[4:5], v[8:9]
	v_fma_f64 v[4:5], v[36:37], v[4:5], v[6:7]
	s_delay_alu instid0(VALU_DEP_2) | instskip(NEXT) | instid1(VALU_DEP_2)
	v_fma_f64 v[6:7], v[42:43], v[0:1], v[8:9]
	v_fma_f64 v[4:5], v[44:45], v[0:1], v[4:5]
	s_delay_alu instid0(VALU_DEP_2) | instskip(NEXT) | instid1(VALU_DEP_2)
	v_fma_f64 v[0:1], -v[44:45], v[2:3], v[6:7]
	v_fma_f64 v[2:3], v[42:43], v[2:3], v[4:5]
	s_branch .LBB148_80
.LBB148_79:                             ;   in Loop: Header=BB148_80 Depth=3
	s_or_b32 exec_lo, exec_lo, s25
	s_xor_b32 s25, s33, -1
	s_delay_alu instid0(SALU_CYCLE_1) | instskip(NEXT) | instid1(SALU_CYCLE_1)
	s_and_b32 s25, exec_lo, s25
	s_or_b32 s17, s25, s17
	s_delay_alu instid0(SALU_CYCLE_1)
	s_and_not1_b32 exec_lo, exec_lo, s17
	s_cbranch_execz .LBB148_17
.LBB148_80:                             ;   Parent Loop BB148_15 Depth=1
                                        ;     Parent Loop BB148_18 Depth=2
                                        ; =>    This Loop Header: Depth=3
                                        ;         Child Loop BB148_86 Depth 4
                                        ;         Child Loop BB148_88 Depth 4
	;; [unrolled: 1-line block ×4, first 2 shown]
	v_lshl_add_u32 v6, v52, 3, v61
	s_mov_b32 s25, exec_lo
                                        ; implicit-def: $sgpr33
	ds_load_b64 v[4:5], v6
	s_waitcnt lgkmcnt(0)
	v_cmpx_ne_u64_e64 v[4:5], v[50:51]
	s_xor_b32 s25, exec_lo, s25
	s_cbranch_execz .LBB148_92
; %bb.81:                               ;   in Loop: Header=BB148_80 Depth=3
	s_mov_b32 s34, exec_lo
                                        ; implicit-def: $sgpr33
	v_cmpx_ne_u64_e64 s[38:39], v[4:5]
	s_xor_b32 s34, exec_lo, s34
; %bb.82:                               ;   in Loop: Header=BB148_80 Depth=3
	v_add_nc_u32_e32 v4, 1, v52
	s_mov_b32 s33, -1
                                        ; implicit-def: $vgpr6
	s_delay_alu instid0(VALU_DEP_1)
	v_and_b32_e32 v52, 15, v4
; %bb.83:                               ;   in Loop: Header=BB148_80 Depth=3
	s_and_not1_saveexec_b32 s34, s34
	s_cbranch_execz .LBB148_91
; %bb.84:                               ;   in Loop: Header=BB148_80 Depth=3
	v_dual_mov_b32 v4, s38 :: v_dual_mov_b32 v5, s39
	s_mov_b32 s36, -1
	s_mov_b32 s35, exec_lo
	ds_cmpstore_rtn_b64 v[4:5], v6, v[50:51], v[4:5]
	s_waitcnt lgkmcnt(0)
	v_cmpx_eq_u64_e64 s[38:39], v[4:5]
	s_cbranch_execz .LBB148_90
; %bb.85:                               ;   in Loop: Header=BB148_80 Depth=3
	v_lshlrev_b32_e32 v4, 6, v52
	s_mov_b32 s36, 0
	s_delay_alu instid0(VALU_DEP_1)
	v_add_nc_u32_e32 v6, v62, v4
	ds_load_b64 v[4:5], v6 offset:48
.LBB148_86:                             ;   Parent Loop BB148_15 Depth=1
                                        ;     Parent Loop BB148_18 Depth=2
                                        ;       Parent Loop BB148_80 Depth=3
                                        ; =>      This Inner Loop Header: Depth=4
	s_waitcnt lgkmcnt(0)
	v_add_f64 v[7:8], v[4:5], v[0:1]
	ds_cmpstore_rtn_b64 v[7:8], v6, v[7:8], v[4:5] offset:48
	s_waitcnt lgkmcnt(0)
	v_cmp_eq_u64_e32 vcc_lo, v[7:8], v[4:5]
	v_dual_mov_b32 v4, v7 :: v_dual_mov_b32 v5, v8
	s_or_b32 s36, vcc_lo, s36
	s_delay_alu instid0(SALU_CYCLE_1)
	s_and_not1_b32 exec_lo, exec_lo, s36
	s_cbranch_execnz .LBB148_86
; %bb.87:                               ;   in Loop: Header=BB148_80 Depth=3
	s_or_b32 exec_lo, exec_lo, s36
	ds_load_b64 v[4:5], v6 offset:56
	s_mov_b32 s36, 0
.LBB148_88:                             ;   Parent Loop BB148_15 Depth=1
                                        ;     Parent Loop BB148_18 Depth=2
                                        ;       Parent Loop BB148_80 Depth=3
                                        ; =>      This Inner Loop Header: Depth=4
	s_waitcnt lgkmcnt(0)
	v_add_f64 v[7:8], v[4:5], v[2:3]
	ds_cmpstore_rtn_b64 v[7:8], v6, v[7:8], v[4:5] offset:56
	s_waitcnt lgkmcnt(0)
	v_cmp_eq_u64_e32 vcc_lo, v[7:8], v[4:5]
	v_dual_mov_b32 v4, v7 :: v_dual_mov_b32 v5, v8
	s_or_b32 s36, vcc_lo, s36
	s_delay_alu instid0(SALU_CYCLE_1)
	s_and_not1_b32 exec_lo, exec_lo, s36
	s_cbranch_execnz .LBB148_88
; %bb.89:                               ;   in Loop: Header=BB148_80 Depth=3
	s_or_b32 exec_lo, exec_lo, s36
	s_delay_alu instid0(SALU_CYCLE_1)
	s_xor_b32 s36, exec_lo, -1
.LBB148_90:                             ;   in Loop: Header=BB148_80 Depth=3
	s_or_b32 exec_lo, exec_lo, s35
	s_delay_alu instid0(SALU_CYCLE_1) | instskip(SKIP_1) | instid1(SALU_CYCLE_1)
	s_and_not1_b32 s33, s33, exec_lo
	s_and_b32 s35, s36, exec_lo
	s_or_b32 s33, s33, s35
.LBB148_91:                             ;   in Loop: Header=BB148_80 Depth=3
	s_or_b32 exec_lo, exec_lo, s34
	s_delay_alu instid0(SALU_CYCLE_1)
	s_and_b32 s33, s33, exec_lo
.LBB148_92:                             ;   in Loop: Header=BB148_80 Depth=3
	s_and_not1_saveexec_b32 s25, s25
	s_cbranch_execz .LBB148_79
; %bb.93:                               ;   in Loop: Header=BB148_80 Depth=3
	v_lshlrev_b32_e32 v4, 6, v52
	s_mov_b32 s34, 0
	s_delay_alu instid0(VALU_DEP_1)
	v_add_nc_u32_e32 v6, v62, v4
	ds_load_b64 v[4:5], v6 offset:48
.LBB148_94:                             ;   Parent Loop BB148_15 Depth=1
                                        ;     Parent Loop BB148_18 Depth=2
                                        ;       Parent Loop BB148_80 Depth=3
                                        ; =>      This Inner Loop Header: Depth=4
	s_waitcnt lgkmcnt(0)
	v_add_f64 v[7:8], v[4:5], v[0:1]
	ds_cmpstore_rtn_b64 v[7:8], v6, v[7:8], v[4:5] offset:48
	s_waitcnt lgkmcnt(0)
	v_cmp_eq_u64_e32 vcc_lo, v[7:8], v[4:5]
	v_dual_mov_b32 v4, v7 :: v_dual_mov_b32 v5, v8
	s_or_b32 s34, vcc_lo, s34
	s_delay_alu instid0(SALU_CYCLE_1)
	s_and_not1_b32 exec_lo, exec_lo, s34
	s_cbranch_execnz .LBB148_94
; %bb.95:                               ;   in Loop: Header=BB148_80 Depth=3
	s_or_b32 exec_lo, exec_lo, s34
	ds_load_b64 v[4:5], v6 offset:56
	s_mov_b32 s34, 0
.LBB148_96:                             ;   Parent Loop BB148_15 Depth=1
                                        ;     Parent Loop BB148_18 Depth=2
                                        ;       Parent Loop BB148_80 Depth=3
                                        ; =>      This Inner Loop Header: Depth=4
	s_waitcnt lgkmcnt(0)
	v_add_f64 v[7:8], v[4:5], v[2:3]
	ds_cmpstore_rtn_b64 v[7:8], v6, v[7:8], v[4:5] offset:56
	s_waitcnt lgkmcnt(0)
	v_cmp_eq_u64_e32 vcc_lo, v[7:8], v[4:5]
	v_dual_mov_b32 v4, v7 :: v_dual_mov_b32 v5, v8
	s_or_b32 s34, vcc_lo, s34
	s_delay_alu instid0(SALU_CYCLE_1)
	s_and_not1_b32 exec_lo, exec_lo, s34
	s_cbranch_execnz .LBB148_96
; %bb.97:                               ;   in Loop: Header=BB148_80 Depth=3
	s_or_b32 exec_lo, exec_lo, s34
	s_delay_alu instid0(SALU_CYCLE_1)
	s_and_not1_b32 s33, s33, exec_lo
	s_branch .LBB148_79
.LBB148_98:
	s_or_b32 exec_lo, exec_lo, s1
.LBB148_99:
	s_delay_alu instid0(SALU_CYCLE_1)
	s_and_not1_b32 vcc_lo, exec_lo, s3
	s_waitcnt lgkmcnt(0)
	buffer_gl0_inv
	s_cbranch_vccnz .LBB148_184
; %bb.100:
	v_add_co_u32 v0, vcc_lo, s4, v20
	v_add_co_ci_u32_e32 v1, vcc_lo, s5, v21, vcc_lo
	v_sub_co_u32 v4, s1, v60, s27
	s_delay_alu instid0(VALU_DEP_1)
	v_sub_co_ci_u32_e64 v5, null, 0, 0, s1
	global_load_b128 v[0:3], v[0:1], off
	s_mov_b32 s1, 0
	s_mov_b32 s2, exec_lo
	s_waitcnt vmcnt(0)
	v_sub_co_u32 v12, vcc_lo, v2, s27
	v_subrev_co_ci_u32_e32 v13, vcc_lo, 0, v3, vcc_lo
	v_add_co_u32 v14, vcc_lo, v0, v4
	v_add_co_ci_u32_e32 v15, vcc_lo, v1, v5, vcc_lo
	s_delay_alu instid0(VALU_DEP_1)
	v_cmpx_lt_i64_e64 v[14:15], v[12:13]
	s_cbranch_execz .LBB148_183
; %bb.101:
	s_cmp_eq_u32 s0, 0
	s_mov_b32 s3, s27
	s_cselect_b32 s4, 1, 2
	s_cselect_b32 s5, 2, 1
	s_branch .LBB148_103
.LBB148_102:                            ;   in Loop: Header=BB148_103 Depth=1
	s_or_b32 exec_lo, exec_lo, s12
	v_add_co_u32 v14, vcc_lo, v14, 16
	v_add_co_ci_u32_e32 v15, vcc_lo, 0, v15, vcc_lo
	s_delay_alu instid0(VALU_DEP_1) | instskip(SKIP_1) | instid1(SALU_CYCLE_1)
	v_cmp_ge_i64_e32 vcc_lo, v[14:15], v[12:13]
	s_or_b32 s1, vcc_lo, s1
	s_and_not1_b32 exec_lo, exec_lo, s1
	s_cbranch_execz .LBB148_183
.LBB148_103:                            ; =>This Loop Header: Depth=1
                                        ;     Child Loop BB148_105 Depth 2
                                        ;       Child Loop BB148_111 Depth 3
                                        ;       Child Loop BB148_113 Depth 3
                                        ;       Child Loop BB148_119 Depth 3
                                        ;       Child Loop BB148_121 Depth 3
                                        ;     Child Loop BB148_125 Depth 2
                                        ;       Child Loop BB148_131 Depth 3
                                        ;       Child Loop BB148_133 Depth 3
                                        ;       Child Loop BB148_139 Depth 3
                                        ;       Child Loop BB148_141 Depth 3
	;; [unrolled: 5-line block ×4, first 2 shown]
	v_lshlrev_b64 v[0:1], 6, v[14:15]
	v_lshlrev_b64 v[2:3], 3, v[14:15]
	;; [unrolled: 1-line block ×3, first 2 shown]
	s_mov_b32 s12, 0
	s_delay_alu instid0(VALU_DEP_3) | instskip(NEXT) | instid1(VALU_DEP_4)
	v_add_co_u32 v0, vcc_lo, s8, v0
	v_add_co_ci_u32_e32 v1, vcc_lo, s9, v1, vcc_lo
	s_delay_alu instid0(VALU_DEP_4)
	v_add_co_u32 v2, vcc_lo, s6, v2
	v_add_co_ci_u32_e32 v3, vcc_lo, s7, v3, vcc_lo
	global_load_b128 v[22:25], v[0:1], off
	v_or_b32_e32 v7, 0, v5
	v_or_b32_e32 v6, s4, v4
	global_load_b64 v[29:30], v[2:3], off
	v_or_b32_e32 v3, 0, v5
	v_or_b32_e32 v2, s5, v4
	v_lshlrev_b64 v[4:5], 4, v[6:7]
	s_delay_alu instid0(VALU_DEP_2) | instskip(NEXT) | instid1(VALU_DEP_2)
	v_lshlrev_b64 v[2:3], 4, v[2:3]
	v_add_co_u32 v4, vcc_lo, s8, v4
	s_delay_alu instid0(VALU_DEP_3) | instskip(NEXT) | instid1(VALU_DEP_3)
	v_add_co_ci_u32_e32 v5, vcc_lo, s9, v5, vcc_lo
	v_add_co_u32 v6, vcc_lo, s8, v2
	s_delay_alu instid0(VALU_DEP_4)
	v_add_co_ci_u32_e32 v7, vcc_lo, s9, v3, vcc_lo
	s_clause 0x2
	global_load_b128 v[0:3], v[0:1], off offset:48
	global_load_b128 v[8:11], v[4:5], off
	global_load_b128 v[4:7], v[6:7], off
	s_waitcnt vmcnt(4)
	v_mul_f64 v[26:27], v[24:25], -v[16:17]
	v_mul_f64 v[31:32], v[18:19], v[24:25]
	s_delay_alu instid0(VALU_DEP_2) | instskip(NEXT) | instid1(VALU_DEP_2)
	v_fma_f64 v[25:26], v[18:19], v[22:23], v[26:27]
	v_fma_f64 v[27:28], v[16:17], v[22:23], v[31:32]
	s_waitcnt vmcnt(3)
	v_sub_co_u32 v22, vcc_lo, v29, s3
	v_subrev_co_ci_u32_e32 v23, vcc_lo, 0, v30, vcc_lo
	s_delay_alu instid0(VALU_DEP_2) | instskip(NEXT) | instid1(VALU_DEP_1)
	v_lshl_add_u32 v24, v22, 3, v22
	v_and_b32_e32 v24, 15, v24
	s_delay_alu instid0(VALU_DEP_1)
	v_dual_mov_b32 v30, v25 :: v_dual_mov_b32 v29, v24
	s_branch .LBB148_105
.LBB148_104:                            ;   in Loop: Header=BB148_105 Depth=2
	s_or_b32 exec_lo, exec_lo, s13
	s_xor_b32 s13, s14, -1
	s_delay_alu instid0(SALU_CYCLE_1) | instskip(NEXT) | instid1(SALU_CYCLE_1)
	s_and_b32 s13, exec_lo, s13
	s_or_b32 s12, s13, s12
	s_delay_alu instid0(SALU_CYCLE_1)
	s_and_not1_b32 exec_lo, exec_lo, s12
	s_cbranch_execz .LBB148_123
.LBB148_105:                            ;   Parent Loop BB148_103 Depth=1
                                        ; =>  This Loop Header: Depth=2
                                        ;       Child Loop BB148_111 Depth 3
                                        ;       Child Loop BB148_113 Depth 3
                                        ;       Child Loop BB148_119 Depth 3
                                        ;       Child Loop BB148_121 Depth 3
	s_delay_alu instid0(VALU_DEP_1)
	v_lshl_add_u32 v32, v29, 3, v61
	s_mov_b32 s13, exec_lo
                                        ; implicit-def: $sgpr14
	ds_load_b64 v[30:31], v32
	s_waitcnt lgkmcnt(0)
	v_cmpx_ne_u64_e64 v[30:31], v[22:23]
	s_xor_b32 s13, exec_lo, s13
	s_cbranch_execz .LBB148_117
; %bb.106:                              ;   in Loop: Header=BB148_105 Depth=2
	s_mov_b32 s15, exec_lo
                                        ; implicit-def: $sgpr14
	v_cmpx_ne_u64_e64 s[38:39], v[30:31]
	s_xor_b32 s15, exec_lo, s15
; %bb.107:                              ;   in Loop: Header=BB148_105 Depth=2
	v_add_nc_u32_e32 v29, 1, v29
	s_mov_b32 s14, -1
                                        ; implicit-def: $vgpr32
	s_delay_alu instid0(VALU_DEP_1)
	v_and_b32_e32 v29, 15, v29
; %bb.108:                              ;   in Loop: Header=BB148_105 Depth=2
	s_and_not1_saveexec_b32 s15, s15
	s_cbranch_execz .LBB148_116
; %bb.109:                              ;   in Loop: Header=BB148_105 Depth=2
	v_dual_mov_b32 v30, s38 :: v_dual_mov_b32 v31, s39
	s_mov_b32 s17, -1
	s_mov_b32 s16, exec_lo
	ds_cmpstore_rtn_b64 v[30:31], v32, v[22:23], v[30:31]
	s_waitcnt lgkmcnt(0)
	v_cmpx_eq_u64_e64 s[38:39], v[30:31]
	s_cbranch_execz .LBB148_115
; %bb.110:                              ;   in Loop: Header=BB148_105 Depth=2
	v_lshlrev_b32_e32 v30, 6, v29
	s_mov_b32 s17, 0
	s_delay_alu instid0(VALU_DEP_1)
	v_add_nc_u32_e32 v32, v62, v30
	ds_load_b64 v[30:31], v32
.LBB148_111:                            ;   Parent Loop BB148_103 Depth=1
                                        ;     Parent Loop BB148_105 Depth=2
                                        ; =>    This Inner Loop Header: Depth=3
	s_waitcnt lgkmcnt(0)
	v_add_f64 v[33:34], v[30:31], v[25:26]
	ds_cmpstore_rtn_b64 v[33:34], v32, v[33:34], v[30:31]
	s_waitcnt lgkmcnt(0)
	v_cmp_eq_u64_e32 vcc_lo, v[33:34], v[30:31]
	v_dual_mov_b32 v30, v33 :: v_dual_mov_b32 v31, v34
	s_or_b32 s17, vcc_lo, s17
	s_delay_alu instid0(SALU_CYCLE_1)
	s_and_not1_b32 exec_lo, exec_lo, s17
	s_cbranch_execnz .LBB148_111
; %bb.112:                              ;   in Loop: Header=BB148_105 Depth=2
	s_or_b32 exec_lo, exec_lo, s17
	ds_load_b64 v[30:31], v32 offset:8
	s_mov_b32 s17, 0
.LBB148_113:                            ;   Parent Loop BB148_103 Depth=1
                                        ;     Parent Loop BB148_105 Depth=2
                                        ; =>    This Inner Loop Header: Depth=3
	s_waitcnt lgkmcnt(0)
	v_add_f64 v[33:34], v[30:31], v[27:28]
	ds_cmpstore_rtn_b64 v[33:34], v32, v[33:34], v[30:31] offset:8
	s_waitcnt lgkmcnt(0)
	v_cmp_eq_u64_e32 vcc_lo, v[33:34], v[30:31]
	v_dual_mov_b32 v30, v33 :: v_dual_mov_b32 v31, v34
	s_or_b32 s17, vcc_lo, s17
	s_delay_alu instid0(SALU_CYCLE_1)
	s_and_not1_b32 exec_lo, exec_lo, s17
	s_cbranch_execnz .LBB148_113
; %bb.114:                              ;   in Loop: Header=BB148_105 Depth=2
	s_or_b32 exec_lo, exec_lo, s17
	s_delay_alu instid0(SALU_CYCLE_1)
	s_xor_b32 s17, exec_lo, -1
.LBB148_115:                            ;   in Loop: Header=BB148_105 Depth=2
	s_or_b32 exec_lo, exec_lo, s16
	s_delay_alu instid0(SALU_CYCLE_1) | instskip(SKIP_1) | instid1(SALU_CYCLE_1)
	s_and_not1_b32 s14, s14, exec_lo
	s_and_b32 s16, s17, exec_lo
	s_or_b32 s14, s14, s16
.LBB148_116:                            ;   in Loop: Header=BB148_105 Depth=2
	s_or_b32 exec_lo, exec_lo, s15
	s_delay_alu instid0(SALU_CYCLE_1)
	s_and_b32 s14, s14, exec_lo
.LBB148_117:                            ;   in Loop: Header=BB148_105 Depth=2
	s_and_not1_saveexec_b32 s13, s13
	s_cbranch_execz .LBB148_104
; %bb.118:                              ;   in Loop: Header=BB148_105 Depth=2
	v_lshlrev_b32_e32 v30, 6, v29
	s_mov_b32 s15, 0
	s_delay_alu instid0(VALU_DEP_1)
	v_add_nc_u32_e32 v32, v62, v30
	ds_load_b64 v[30:31], v32
.LBB148_119:                            ;   Parent Loop BB148_103 Depth=1
                                        ;     Parent Loop BB148_105 Depth=2
                                        ; =>    This Inner Loop Header: Depth=3
	s_waitcnt lgkmcnt(0)
	v_add_f64 v[33:34], v[30:31], v[25:26]
	ds_cmpstore_rtn_b64 v[33:34], v32, v[33:34], v[30:31]
	s_waitcnt lgkmcnt(0)
	v_cmp_eq_u64_e32 vcc_lo, v[33:34], v[30:31]
	v_dual_mov_b32 v30, v33 :: v_dual_mov_b32 v31, v34
	s_or_b32 s15, vcc_lo, s15
	s_delay_alu instid0(SALU_CYCLE_1)
	s_and_not1_b32 exec_lo, exec_lo, s15
	s_cbranch_execnz .LBB148_119
; %bb.120:                              ;   in Loop: Header=BB148_105 Depth=2
	s_or_b32 exec_lo, exec_lo, s15
	ds_load_b64 v[30:31], v32 offset:8
	s_mov_b32 s15, 0
.LBB148_121:                            ;   Parent Loop BB148_103 Depth=1
                                        ;     Parent Loop BB148_105 Depth=2
                                        ; =>    This Inner Loop Header: Depth=3
	s_waitcnt lgkmcnt(0)
	v_add_f64 v[33:34], v[30:31], v[27:28]
	ds_cmpstore_rtn_b64 v[33:34], v32, v[33:34], v[30:31] offset:8
	s_waitcnt lgkmcnt(0)
	v_cmp_eq_u64_e32 vcc_lo, v[33:34], v[30:31]
	v_dual_mov_b32 v30, v33 :: v_dual_mov_b32 v31, v34
	s_or_b32 s15, vcc_lo, s15
	s_delay_alu instid0(SALU_CYCLE_1)
	s_and_not1_b32 exec_lo, exec_lo, s15
	s_cbranch_execnz .LBB148_121
; %bb.122:                              ;   in Loop: Header=BB148_105 Depth=2
	s_or_b32 exec_lo, exec_lo, s15
	s_delay_alu instid0(SALU_CYCLE_1)
	s_and_not1_b32 s14, s14, exec_lo
	s_branch .LBB148_104
.LBB148_123:                            ;   in Loop: Header=BB148_103 Depth=1
	s_or_b32 exec_lo, exec_lo, s12
	s_waitcnt vmcnt(1)
	v_mul_f64 v[25:26], v[10:11], -v[16:17]
	v_mul_f64 v[27:28], v[18:19], v[10:11]
	s_mov_b32 s12, 0
	s_delay_alu instid0(VALU_DEP_2) | instskip(NEXT) | instid1(VALU_DEP_2)
	v_fma_f64 v[10:11], v[18:19], v[8:9], v[25:26]
	v_fma_f64 v[8:9], v[16:17], v[8:9], v[27:28]
	v_mov_b32_e32 v26, v25
	v_mov_b32_e32 v25, v24
	s_branch .LBB148_125
.LBB148_124:                            ;   in Loop: Header=BB148_125 Depth=2
	s_or_b32 exec_lo, exec_lo, s13
	s_xor_b32 s13, s14, -1
	s_delay_alu instid0(SALU_CYCLE_1) | instskip(NEXT) | instid1(SALU_CYCLE_1)
	s_and_b32 s13, exec_lo, s13
	s_or_b32 s12, s13, s12
	s_delay_alu instid0(SALU_CYCLE_1)
	s_and_not1_b32 exec_lo, exec_lo, s12
	s_cbranch_execz .LBB148_143
.LBB148_125:                            ;   Parent Loop BB148_103 Depth=1
                                        ; =>  This Loop Header: Depth=2
                                        ;       Child Loop BB148_131 Depth 3
                                        ;       Child Loop BB148_133 Depth 3
                                        ;       Child Loop BB148_139 Depth 3
                                        ;       Child Loop BB148_141 Depth 3
	s_delay_alu instid0(VALU_DEP_1)
	v_lshl_add_u32 v28, v25, 3, v61
	s_mov_b32 s13, exec_lo
                                        ; implicit-def: $sgpr14
	ds_load_b64 v[26:27], v28
	s_waitcnt lgkmcnt(0)
	v_cmpx_ne_u64_e64 v[26:27], v[22:23]
	s_xor_b32 s13, exec_lo, s13
	s_cbranch_execz .LBB148_137
; %bb.126:                              ;   in Loop: Header=BB148_125 Depth=2
	s_mov_b32 s15, exec_lo
                                        ; implicit-def: $sgpr14
	v_cmpx_ne_u64_e64 s[38:39], v[26:27]
	s_xor_b32 s15, exec_lo, s15
; %bb.127:                              ;   in Loop: Header=BB148_125 Depth=2
	v_add_nc_u32_e32 v25, 1, v25
	s_mov_b32 s14, -1
                                        ; implicit-def: $vgpr28
	s_delay_alu instid0(VALU_DEP_1)
	v_and_b32_e32 v25, 15, v25
; %bb.128:                              ;   in Loop: Header=BB148_125 Depth=2
	s_and_not1_saveexec_b32 s15, s15
	s_cbranch_execz .LBB148_136
; %bb.129:                              ;   in Loop: Header=BB148_125 Depth=2
	v_dual_mov_b32 v26, s38 :: v_dual_mov_b32 v27, s39
	s_mov_b32 s17, -1
	s_mov_b32 s16, exec_lo
	ds_cmpstore_rtn_b64 v[26:27], v28, v[22:23], v[26:27]
	s_waitcnt lgkmcnt(0)
	v_cmpx_eq_u64_e64 s[38:39], v[26:27]
	s_cbranch_execz .LBB148_135
; %bb.130:                              ;   in Loop: Header=BB148_125 Depth=2
	v_lshlrev_b32_e32 v26, 6, v25
	s_mov_b32 s17, 0
	s_delay_alu instid0(VALU_DEP_1)
	v_add_nc_u32_e32 v28, v62, v26
	ds_load_b64 v[26:27], v28 offset:16
.LBB148_131:                            ;   Parent Loop BB148_103 Depth=1
                                        ;     Parent Loop BB148_125 Depth=2
                                        ; =>    This Inner Loop Header: Depth=3
	s_waitcnt lgkmcnt(0)
	v_add_f64 v[29:30], v[26:27], v[10:11]
	ds_cmpstore_rtn_b64 v[29:30], v28, v[29:30], v[26:27] offset:16
	s_waitcnt lgkmcnt(0)
	v_cmp_eq_u64_e32 vcc_lo, v[29:30], v[26:27]
	v_dual_mov_b32 v26, v29 :: v_dual_mov_b32 v27, v30
	s_or_b32 s17, vcc_lo, s17
	s_delay_alu instid0(SALU_CYCLE_1)
	s_and_not1_b32 exec_lo, exec_lo, s17
	s_cbranch_execnz .LBB148_131
; %bb.132:                              ;   in Loop: Header=BB148_125 Depth=2
	s_or_b32 exec_lo, exec_lo, s17
	ds_load_b64 v[26:27], v28 offset:24
	s_mov_b32 s17, 0
.LBB148_133:                            ;   Parent Loop BB148_103 Depth=1
                                        ;     Parent Loop BB148_125 Depth=2
                                        ; =>    This Inner Loop Header: Depth=3
	s_waitcnt lgkmcnt(0)
	v_add_f64 v[29:30], v[26:27], v[8:9]
	ds_cmpstore_rtn_b64 v[29:30], v28, v[29:30], v[26:27] offset:24
	s_waitcnt lgkmcnt(0)
	v_cmp_eq_u64_e32 vcc_lo, v[29:30], v[26:27]
	v_dual_mov_b32 v26, v29 :: v_dual_mov_b32 v27, v30
	s_or_b32 s17, vcc_lo, s17
	s_delay_alu instid0(SALU_CYCLE_1)
	s_and_not1_b32 exec_lo, exec_lo, s17
	s_cbranch_execnz .LBB148_133
; %bb.134:                              ;   in Loop: Header=BB148_125 Depth=2
	s_or_b32 exec_lo, exec_lo, s17
	s_delay_alu instid0(SALU_CYCLE_1)
	s_xor_b32 s17, exec_lo, -1
.LBB148_135:                            ;   in Loop: Header=BB148_125 Depth=2
	s_or_b32 exec_lo, exec_lo, s16
	s_delay_alu instid0(SALU_CYCLE_1) | instskip(SKIP_1) | instid1(SALU_CYCLE_1)
	s_and_not1_b32 s14, s14, exec_lo
	s_and_b32 s16, s17, exec_lo
	s_or_b32 s14, s14, s16
.LBB148_136:                            ;   in Loop: Header=BB148_125 Depth=2
	s_or_b32 exec_lo, exec_lo, s15
	s_delay_alu instid0(SALU_CYCLE_1)
	s_and_b32 s14, s14, exec_lo
.LBB148_137:                            ;   in Loop: Header=BB148_125 Depth=2
	s_and_not1_saveexec_b32 s13, s13
	s_cbranch_execz .LBB148_124
; %bb.138:                              ;   in Loop: Header=BB148_125 Depth=2
	v_lshlrev_b32_e32 v26, 6, v25
	s_mov_b32 s15, 0
	s_delay_alu instid0(VALU_DEP_1)
	v_add_nc_u32_e32 v28, v62, v26
	ds_load_b64 v[26:27], v28 offset:16
.LBB148_139:                            ;   Parent Loop BB148_103 Depth=1
                                        ;     Parent Loop BB148_125 Depth=2
                                        ; =>    This Inner Loop Header: Depth=3
	s_waitcnt lgkmcnt(0)
	v_add_f64 v[29:30], v[26:27], v[10:11]
	ds_cmpstore_rtn_b64 v[29:30], v28, v[29:30], v[26:27] offset:16
	s_waitcnt lgkmcnt(0)
	v_cmp_eq_u64_e32 vcc_lo, v[29:30], v[26:27]
	v_dual_mov_b32 v26, v29 :: v_dual_mov_b32 v27, v30
	s_or_b32 s15, vcc_lo, s15
	s_delay_alu instid0(SALU_CYCLE_1)
	s_and_not1_b32 exec_lo, exec_lo, s15
	s_cbranch_execnz .LBB148_139
; %bb.140:                              ;   in Loop: Header=BB148_125 Depth=2
	s_or_b32 exec_lo, exec_lo, s15
	ds_load_b64 v[26:27], v28 offset:24
	s_mov_b32 s15, 0
.LBB148_141:                            ;   Parent Loop BB148_103 Depth=1
                                        ;     Parent Loop BB148_125 Depth=2
                                        ; =>    This Inner Loop Header: Depth=3
	s_waitcnt lgkmcnt(0)
	v_add_f64 v[29:30], v[26:27], v[8:9]
	ds_cmpstore_rtn_b64 v[29:30], v28, v[29:30], v[26:27] offset:24
	s_waitcnt lgkmcnt(0)
	v_cmp_eq_u64_e32 vcc_lo, v[29:30], v[26:27]
	v_dual_mov_b32 v26, v29 :: v_dual_mov_b32 v27, v30
	s_or_b32 s15, vcc_lo, s15
	s_delay_alu instid0(SALU_CYCLE_1)
	s_and_not1_b32 exec_lo, exec_lo, s15
	s_cbranch_execnz .LBB148_141
; %bb.142:                              ;   in Loop: Header=BB148_125 Depth=2
	s_or_b32 exec_lo, exec_lo, s15
	s_delay_alu instid0(SALU_CYCLE_1)
	s_and_not1_b32 s14, s14, exec_lo
	s_branch .LBB148_124
.LBB148_143:                            ;   in Loop: Header=BB148_103 Depth=1
	s_or_b32 exec_lo, exec_lo, s12
	s_waitcnt vmcnt(0)
	v_mul_f64 v[8:9], v[6:7], -v[16:17]
	v_mul_f64 v[10:11], v[18:19], v[6:7]
	s_mov_b32 s12, 0
	s_delay_alu instid0(VALU_DEP_2) | instskip(NEXT) | instid1(VALU_DEP_2)
	v_fma_f64 v[6:7], v[18:19], v[4:5], v[8:9]
	v_fma_f64 v[4:5], v[16:17], v[4:5], v[10:11]
	v_dual_mov_b32 v8, v24 :: v_dual_mov_b32 v9, v25
	s_branch .LBB148_145
.LBB148_144:                            ;   in Loop: Header=BB148_145 Depth=2
	s_or_b32 exec_lo, exec_lo, s13
	s_xor_b32 s13, s14, -1
	s_delay_alu instid0(SALU_CYCLE_1) | instskip(NEXT) | instid1(SALU_CYCLE_1)
	s_and_b32 s13, exec_lo, s13
	s_or_b32 s12, s13, s12
	s_delay_alu instid0(SALU_CYCLE_1)
	s_and_not1_b32 exec_lo, exec_lo, s12
	s_cbranch_execz .LBB148_163
.LBB148_145:                            ;   Parent Loop BB148_103 Depth=1
                                        ; =>  This Loop Header: Depth=2
                                        ;       Child Loop BB148_151 Depth 3
                                        ;       Child Loop BB148_153 Depth 3
	;; [unrolled: 1-line block ×4, first 2 shown]
	s_delay_alu instid0(VALU_DEP_1)
	v_lshl_add_u32 v11, v8, 3, v61
	s_mov_b32 s13, exec_lo
                                        ; implicit-def: $sgpr14
	ds_load_b64 v[9:10], v11
	s_waitcnt lgkmcnt(0)
	v_cmpx_ne_u64_e64 v[9:10], v[22:23]
	s_xor_b32 s13, exec_lo, s13
	s_cbranch_execz .LBB148_157
; %bb.146:                              ;   in Loop: Header=BB148_145 Depth=2
	s_mov_b32 s15, exec_lo
                                        ; implicit-def: $sgpr14
	v_cmpx_ne_u64_e64 s[38:39], v[9:10]
	s_xor_b32 s15, exec_lo, s15
; %bb.147:                              ;   in Loop: Header=BB148_145 Depth=2
	v_add_nc_u32_e32 v8, 1, v8
	s_mov_b32 s14, -1
                                        ; implicit-def: $vgpr11
	s_delay_alu instid0(VALU_DEP_1)
	v_and_b32_e32 v8, 15, v8
; %bb.148:                              ;   in Loop: Header=BB148_145 Depth=2
	s_and_not1_saveexec_b32 s15, s15
	s_cbranch_execz .LBB148_156
; %bb.149:                              ;   in Loop: Header=BB148_145 Depth=2
	v_dual_mov_b32 v9, s38 :: v_dual_mov_b32 v10, s39
	s_mov_b32 s17, -1
	s_mov_b32 s16, exec_lo
	ds_cmpstore_rtn_b64 v[9:10], v11, v[22:23], v[9:10]
	s_waitcnt lgkmcnt(0)
	v_cmpx_eq_u64_e64 s[38:39], v[9:10]
	s_cbranch_execz .LBB148_155
; %bb.150:                              ;   in Loop: Header=BB148_145 Depth=2
	v_lshlrev_b32_e32 v9, 6, v8
	s_mov_b32 s17, 0
	s_delay_alu instid0(VALU_DEP_1)
	v_add_nc_u32_e32 v11, v62, v9
	ds_load_b64 v[9:10], v11 offset:32
.LBB148_151:                            ;   Parent Loop BB148_103 Depth=1
                                        ;     Parent Loop BB148_145 Depth=2
                                        ; =>    This Inner Loop Header: Depth=3
	s_waitcnt lgkmcnt(0)
	v_add_f64 v[25:26], v[9:10], v[6:7]
	ds_cmpstore_rtn_b64 v[25:26], v11, v[25:26], v[9:10] offset:32
	s_waitcnt lgkmcnt(0)
	v_cmp_eq_u64_e32 vcc_lo, v[25:26], v[9:10]
	v_dual_mov_b32 v9, v25 :: v_dual_mov_b32 v10, v26
	s_or_b32 s17, vcc_lo, s17
	s_delay_alu instid0(SALU_CYCLE_1)
	s_and_not1_b32 exec_lo, exec_lo, s17
	s_cbranch_execnz .LBB148_151
; %bb.152:                              ;   in Loop: Header=BB148_145 Depth=2
	s_or_b32 exec_lo, exec_lo, s17
	ds_load_b64 v[9:10], v11 offset:40
	s_mov_b32 s17, 0
.LBB148_153:                            ;   Parent Loop BB148_103 Depth=1
                                        ;     Parent Loop BB148_145 Depth=2
                                        ; =>    This Inner Loop Header: Depth=3
	s_waitcnt lgkmcnt(0)
	v_add_f64 v[25:26], v[9:10], v[4:5]
	ds_cmpstore_rtn_b64 v[25:26], v11, v[25:26], v[9:10] offset:40
	s_waitcnt lgkmcnt(0)
	v_cmp_eq_u64_e32 vcc_lo, v[25:26], v[9:10]
	v_dual_mov_b32 v9, v25 :: v_dual_mov_b32 v10, v26
	s_or_b32 s17, vcc_lo, s17
	s_delay_alu instid0(SALU_CYCLE_1)
	s_and_not1_b32 exec_lo, exec_lo, s17
	s_cbranch_execnz .LBB148_153
; %bb.154:                              ;   in Loop: Header=BB148_145 Depth=2
	s_or_b32 exec_lo, exec_lo, s17
	s_delay_alu instid0(SALU_CYCLE_1)
	s_xor_b32 s17, exec_lo, -1
.LBB148_155:                            ;   in Loop: Header=BB148_145 Depth=2
	s_or_b32 exec_lo, exec_lo, s16
	s_delay_alu instid0(SALU_CYCLE_1) | instskip(SKIP_1) | instid1(SALU_CYCLE_1)
	s_and_not1_b32 s14, s14, exec_lo
	s_and_b32 s16, s17, exec_lo
	s_or_b32 s14, s14, s16
.LBB148_156:                            ;   in Loop: Header=BB148_145 Depth=2
	s_or_b32 exec_lo, exec_lo, s15
	s_delay_alu instid0(SALU_CYCLE_1)
	s_and_b32 s14, s14, exec_lo
.LBB148_157:                            ;   in Loop: Header=BB148_145 Depth=2
	s_and_not1_saveexec_b32 s13, s13
	s_cbranch_execz .LBB148_144
; %bb.158:                              ;   in Loop: Header=BB148_145 Depth=2
	v_lshlrev_b32_e32 v9, 6, v8
	s_mov_b32 s15, 0
	s_delay_alu instid0(VALU_DEP_1)
	v_add_nc_u32_e32 v11, v62, v9
	ds_load_b64 v[9:10], v11 offset:32
.LBB148_159:                            ;   Parent Loop BB148_103 Depth=1
                                        ;     Parent Loop BB148_145 Depth=2
                                        ; =>    This Inner Loop Header: Depth=3
	s_waitcnt lgkmcnt(0)
	v_add_f64 v[25:26], v[9:10], v[6:7]
	ds_cmpstore_rtn_b64 v[25:26], v11, v[25:26], v[9:10] offset:32
	s_waitcnt lgkmcnt(0)
	v_cmp_eq_u64_e32 vcc_lo, v[25:26], v[9:10]
	v_dual_mov_b32 v9, v25 :: v_dual_mov_b32 v10, v26
	s_or_b32 s15, vcc_lo, s15
	s_delay_alu instid0(SALU_CYCLE_1)
	s_and_not1_b32 exec_lo, exec_lo, s15
	s_cbranch_execnz .LBB148_159
; %bb.160:                              ;   in Loop: Header=BB148_145 Depth=2
	s_or_b32 exec_lo, exec_lo, s15
	ds_load_b64 v[9:10], v11 offset:40
	s_mov_b32 s15, 0
.LBB148_161:                            ;   Parent Loop BB148_103 Depth=1
                                        ;     Parent Loop BB148_145 Depth=2
                                        ; =>    This Inner Loop Header: Depth=3
	s_waitcnt lgkmcnt(0)
	v_add_f64 v[25:26], v[9:10], v[4:5]
	ds_cmpstore_rtn_b64 v[25:26], v11, v[25:26], v[9:10] offset:40
	s_waitcnt lgkmcnt(0)
	v_cmp_eq_u64_e32 vcc_lo, v[25:26], v[9:10]
	v_dual_mov_b32 v9, v25 :: v_dual_mov_b32 v10, v26
	s_or_b32 s15, vcc_lo, s15
	s_delay_alu instid0(SALU_CYCLE_1)
	s_and_not1_b32 exec_lo, exec_lo, s15
	s_cbranch_execnz .LBB148_161
; %bb.162:                              ;   in Loop: Header=BB148_145 Depth=2
	s_or_b32 exec_lo, exec_lo, s15
	s_delay_alu instid0(SALU_CYCLE_1)
	s_and_not1_b32 s14, s14, exec_lo
	s_branch .LBB148_144
.LBB148_163:                            ;   in Loop: Header=BB148_103 Depth=1
	s_or_b32 exec_lo, exec_lo, s12
	v_mul_f64 v[4:5], v[2:3], -v[16:17]
	v_mul_f64 v[6:7], v[18:19], v[2:3]
	s_mov_b32 s12, 0
	s_delay_alu instid0(VALU_DEP_2) | instskip(NEXT) | instid1(VALU_DEP_2)
	v_fma_f64 v[2:3], v[18:19], v[0:1], v[4:5]
	v_fma_f64 v[0:1], v[16:17], v[0:1], v[6:7]
	s_branch .LBB148_165
.LBB148_164:                            ;   in Loop: Header=BB148_165 Depth=2
	s_or_b32 exec_lo, exec_lo, s13
	s_xor_b32 s13, s14, -1
	s_delay_alu instid0(SALU_CYCLE_1) | instskip(NEXT) | instid1(SALU_CYCLE_1)
	s_and_b32 s13, exec_lo, s13
	s_or_b32 s12, s13, s12
	s_delay_alu instid0(SALU_CYCLE_1)
	s_and_not1_b32 exec_lo, exec_lo, s12
	s_cbranch_execz .LBB148_102
.LBB148_165:                            ;   Parent Loop BB148_103 Depth=1
                                        ; =>  This Loop Header: Depth=2
                                        ;       Child Loop BB148_171 Depth 3
                                        ;       Child Loop BB148_173 Depth 3
	;; [unrolled: 1-line block ×4, first 2 shown]
	v_lshl_add_u32 v6, v24, 3, v61
	s_mov_b32 s13, exec_lo
                                        ; implicit-def: $sgpr14
	ds_load_b64 v[4:5], v6
	s_waitcnt lgkmcnt(0)
	v_cmpx_ne_u64_e64 v[4:5], v[22:23]
	s_xor_b32 s13, exec_lo, s13
	s_cbranch_execz .LBB148_177
; %bb.166:                              ;   in Loop: Header=BB148_165 Depth=2
	s_mov_b32 s15, exec_lo
                                        ; implicit-def: $sgpr14
	v_cmpx_ne_u64_e64 s[38:39], v[4:5]
	s_xor_b32 s15, exec_lo, s15
; %bb.167:                              ;   in Loop: Header=BB148_165 Depth=2
	v_add_nc_u32_e32 v4, 1, v24
	s_mov_b32 s14, -1
                                        ; implicit-def: $vgpr6
	s_delay_alu instid0(VALU_DEP_1)
	v_and_b32_e32 v24, 15, v4
; %bb.168:                              ;   in Loop: Header=BB148_165 Depth=2
	s_and_not1_saveexec_b32 s15, s15
	s_cbranch_execz .LBB148_176
; %bb.169:                              ;   in Loop: Header=BB148_165 Depth=2
	v_dual_mov_b32 v4, s38 :: v_dual_mov_b32 v5, s39
	s_mov_b32 s17, -1
	s_mov_b32 s16, exec_lo
	ds_cmpstore_rtn_b64 v[4:5], v6, v[22:23], v[4:5]
	s_waitcnt lgkmcnt(0)
	v_cmpx_eq_u64_e64 s[38:39], v[4:5]
	s_cbranch_execz .LBB148_175
; %bb.170:                              ;   in Loop: Header=BB148_165 Depth=2
	v_lshlrev_b32_e32 v4, 6, v24
	s_mov_b32 s17, 0
	s_delay_alu instid0(VALU_DEP_1)
	v_add_nc_u32_e32 v6, v62, v4
	ds_load_b64 v[4:5], v6 offset:48
.LBB148_171:                            ;   Parent Loop BB148_103 Depth=1
                                        ;     Parent Loop BB148_165 Depth=2
                                        ; =>    This Inner Loop Header: Depth=3
	s_waitcnt lgkmcnt(0)
	v_add_f64 v[7:8], v[4:5], v[2:3]
	ds_cmpstore_rtn_b64 v[7:8], v6, v[7:8], v[4:5] offset:48
	s_waitcnt lgkmcnt(0)
	v_cmp_eq_u64_e32 vcc_lo, v[7:8], v[4:5]
	v_dual_mov_b32 v4, v7 :: v_dual_mov_b32 v5, v8
	s_or_b32 s17, vcc_lo, s17
	s_delay_alu instid0(SALU_CYCLE_1)
	s_and_not1_b32 exec_lo, exec_lo, s17
	s_cbranch_execnz .LBB148_171
; %bb.172:                              ;   in Loop: Header=BB148_165 Depth=2
	s_or_b32 exec_lo, exec_lo, s17
	ds_load_b64 v[4:5], v6 offset:56
	s_mov_b32 s17, 0
.LBB148_173:                            ;   Parent Loop BB148_103 Depth=1
                                        ;     Parent Loop BB148_165 Depth=2
                                        ; =>    This Inner Loop Header: Depth=3
	s_waitcnt lgkmcnt(0)
	v_add_f64 v[7:8], v[4:5], v[0:1]
	ds_cmpstore_rtn_b64 v[7:8], v6, v[7:8], v[4:5] offset:56
	s_waitcnt lgkmcnt(0)
	v_cmp_eq_u64_e32 vcc_lo, v[7:8], v[4:5]
	v_dual_mov_b32 v4, v7 :: v_dual_mov_b32 v5, v8
	s_or_b32 s17, vcc_lo, s17
	s_delay_alu instid0(SALU_CYCLE_1)
	s_and_not1_b32 exec_lo, exec_lo, s17
	s_cbranch_execnz .LBB148_173
; %bb.174:                              ;   in Loop: Header=BB148_165 Depth=2
	s_or_b32 exec_lo, exec_lo, s17
	s_delay_alu instid0(SALU_CYCLE_1)
	s_xor_b32 s17, exec_lo, -1
.LBB148_175:                            ;   in Loop: Header=BB148_165 Depth=2
	s_or_b32 exec_lo, exec_lo, s16
	s_delay_alu instid0(SALU_CYCLE_1) | instskip(SKIP_1) | instid1(SALU_CYCLE_1)
	s_and_not1_b32 s14, s14, exec_lo
	s_and_b32 s16, s17, exec_lo
	s_or_b32 s14, s14, s16
.LBB148_176:                            ;   in Loop: Header=BB148_165 Depth=2
	s_or_b32 exec_lo, exec_lo, s15
	s_delay_alu instid0(SALU_CYCLE_1)
	s_and_b32 s14, s14, exec_lo
.LBB148_177:                            ;   in Loop: Header=BB148_165 Depth=2
	s_and_not1_saveexec_b32 s13, s13
	s_cbranch_execz .LBB148_164
; %bb.178:                              ;   in Loop: Header=BB148_165 Depth=2
	v_lshlrev_b32_e32 v4, 6, v24
	s_mov_b32 s15, 0
	s_delay_alu instid0(VALU_DEP_1)
	v_add_nc_u32_e32 v6, v62, v4
	ds_load_b64 v[4:5], v6 offset:48
.LBB148_179:                            ;   Parent Loop BB148_103 Depth=1
                                        ;     Parent Loop BB148_165 Depth=2
                                        ; =>    This Inner Loop Header: Depth=3
	s_waitcnt lgkmcnt(0)
	v_add_f64 v[7:8], v[4:5], v[2:3]
	ds_cmpstore_rtn_b64 v[7:8], v6, v[7:8], v[4:5] offset:48
	s_waitcnt lgkmcnt(0)
	v_cmp_eq_u64_e32 vcc_lo, v[7:8], v[4:5]
	v_dual_mov_b32 v4, v7 :: v_dual_mov_b32 v5, v8
	s_or_b32 s15, vcc_lo, s15
	s_delay_alu instid0(SALU_CYCLE_1)
	s_and_not1_b32 exec_lo, exec_lo, s15
	s_cbranch_execnz .LBB148_179
; %bb.180:                              ;   in Loop: Header=BB148_165 Depth=2
	s_or_b32 exec_lo, exec_lo, s15
	ds_load_b64 v[4:5], v6 offset:56
	s_mov_b32 s15, 0
.LBB148_181:                            ;   Parent Loop BB148_103 Depth=1
                                        ;     Parent Loop BB148_165 Depth=2
                                        ; =>    This Inner Loop Header: Depth=3
	s_waitcnt lgkmcnt(0)
	v_add_f64 v[7:8], v[4:5], v[0:1]
	ds_cmpstore_rtn_b64 v[7:8], v6, v[7:8], v[4:5] offset:56
	s_waitcnt lgkmcnt(0)
	v_cmp_eq_u64_e32 vcc_lo, v[7:8], v[4:5]
	v_dual_mov_b32 v4, v7 :: v_dual_mov_b32 v5, v8
	s_or_b32 s15, vcc_lo, s15
	s_delay_alu instid0(SALU_CYCLE_1)
	s_and_not1_b32 exec_lo, exec_lo, s15
	s_cbranch_execnz .LBB148_181
; %bb.182:                              ;   in Loop: Header=BB148_165 Depth=2
	s_or_b32 exec_lo, exec_lo, s15
	s_delay_alu instid0(SALU_CYCLE_1)
	s_and_not1_b32 s14, s14, exec_lo
	s_branch .LBB148_164
.LBB148_183:
	s_or_b32 exec_lo, exec_lo, s2
.LBB148_184:
	buffer_gl0_inv
	ds_load_b64 v[0:1], v63
	s_waitcnt lgkmcnt(0)
	v_cmp_gt_i64_e32 vcc_lo, s[38:39], v[0:1]
	s_and_b32 exec_lo, exec_lo, vcc_lo
	s_cbranch_execz .LBB148_186
; %bb.185:
	v_add_co_u32 v2, vcc_lo, s10, v20
	v_add_co_ci_u32_e32 v3, vcc_lo, s11, v21, vcc_lo
	v_lshlrev_b32_e32 v36, 2, v60
	s_cmp_eq_u32 s0, 0
	v_lshl_add_u32 v38, v60, 6, v62
	global_load_b64 v[34:35], v[2:3], off
	ds_load_b128 v[2:5], v61
	ds_load_b128 v[6:9], v61 offset:16
	ds_load_b128 v[10:13], v61 offset:32
	;; [unrolled: 1-line block ×7, first 2 shown]
	s_cselect_b32 s0, 1, 2
	s_delay_alu instid0(SALU_CYCLE_1) | instskip(SKIP_1) | instid1(SALU_CYCLE_1)
	v_or_b32_e32 v37, s0, v36
	s_cselect_b32 s0, 2, 1
	v_or_b32_e32 v36, s0, v36
	s_delay_alu instid0(VALU_DEP_2)
	v_lshl_add_u32 v37, v37, 4, v62
	s_waitcnt lgkmcnt(7)
	v_cmp_gt_i64_e32 vcc_lo, v[0:1], v[2:3]
	v_cndmask_b32_e64 v2, 0, 1, vcc_lo
	s_waitcnt vmcnt(0)
	v_sub_co_u32 v3, vcc_lo, v34, s26
	v_subrev_co_ci_u32_e32 v34, vcc_lo, 0, v35, vcc_lo
	v_cmp_gt_i64_e32 vcc_lo, v[0:1], v[4:5]
	v_cndmask_b32_e64 v4, 0, 1, vcc_lo
	s_delay_alu instid0(VALU_DEP_4) | instskip(NEXT) | instid1(VALU_DEP_4)
	v_add_co_u32 v2, vcc_lo, v3, v2
	v_add_co_ci_u32_e32 v3, vcc_lo, 0, v34, vcc_lo
	s_waitcnt lgkmcnt(6)
	v_cmp_gt_i64_e32 vcc_lo, v[0:1], v[6:7]
	v_cndmask_b32_e64 v5, 0, 1, vcc_lo
	v_add_co_u32 v2, vcc_lo, v2, v4
	v_add_co_ci_u32_e32 v3, vcc_lo, 0, v3, vcc_lo
	v_cmp_gt_i64_e32 vcc_lo, v[0:1], v[8:9]
	v_cndmask_b32_e64 v4, 0, 1, vcc_lo
	s_delay_alu instid0(VALU_DEP_4) | instskip(NEXT) | instid1(VALU_DEP_4)
	v_add_co_u32 v2, vcc_lo, v2, v5
	v_add_co_ci_u32_e32 v3, vcc_lo, 0, v3, vcc_lo
	s_waitcnt lgkmcnt(5)
	v_cmp_gt_i64_e32 vcc_lo, v[0:1], v[10:11]
	v_cndmask_b32_e64 v5, 0, 1, vcc_lo
	v_add_co_u32 v2, vcc_lo, v2, v4
	v_add_co_ci_u32_e32 v3, vcc_lo, 0, v3, vcc_lo
	v_cmp_gt_i64_e32 vcc_lo, v[0:1], v[12:13]
	v_cndmask_b32_e64 v4, 0, 1, vcc_lo
	s_delay_alu instid0(VALU_DEP_4) | instskip(NEXT) | instid1(VALU_DEP_4)
	v_add_co_u32 v2, vcc_lo, v2, v5
	v_add_co_ci_u32_e32 v3, vcc_lo, 0, v3, vcc_lo
	s_waitcnt lgkmcnt(4)
	v_cmp_gt_i64_e32 vcc_lo, v[0:1], v[14:15]
	v_lshl_add_u32 v14, v36, 4, v62
	v_cndmask_b32_e64 v5, 0, 1, vcc_lo
	v_add_co_u32 v2, vcc_lo, v2, v4
	v_add_co_ci_u32_e32 v3, vcc_lo, 0, v3, vcc_lo
	v_cmp_gt_i64_e32 vcc_lo, v[0:1], v[16:17]
	v_cndmask_b32_e64 v4, 0, 1, vcc_lo
	s_delay_alu instid0(VALU_DEP_4) | instskip(NEXT) | instid1(VALU_DEP_4)
	v_add_co_u32 v2, vcc_lo, v2, v5
	v_add_co_ci_u32_e32 v3, vcc_lo, 0, v3, vcc_lo
	s_waitcnt lgkmcnt(3)
	v_cmp_gt_i64_e32 vcc_lo, v[0:1], v[18:19]
	v_cndmask_b32_e64 v5, 0, 1, vcc_lo
	v_add_co_u32 v2, vcc_lo, v2, v4
	v_add_co_ci_u32_e32 v3, vcc_lo, 0, v3, vcc_lo
	v_cmp_gt_i64_e32 vcc_lo, v[0:1], v[20:21]
	v_cndmask_b32_e64 v4, 0, 1, vcc_lo
	s_delay_alu instid0(VALU_DEP_4) | instskip(NEXT) | instid1(VALU_DEP_4)
	v_add_co_u32 v2, vcc_lo, v2, v5
	v_add_co_ci_u32_e32 v3, vcc_lo, 0, v3, vcc_lo
	s_waitcnt lgkmcnt(2)
	v_cmp_gt_i64_e32 vcc_lo, v[0:1], v[22:23]
	;; [unrolled: 10-line block ×4, first 2 shown]
	v_cndmask_b32_e64 v5, 0, 1, vcc_lo
	v_add_co_u32 v2, vcc_lo, v2, v4
	v_add_co_ci_u32_e32 v3, vcc_lo, 0, v3, vcc_lo
	v_cmp_gt_i64_e32 vcc_lo, v[0:1], v[32:33]
	v_cndmask_b32_e64 v4, 0, 1, vcc_lo
	s_delay_alu instid0(VALU_DEP_4) | instskip(NEXT) | instid1(VALU_DEP_4)
	v_add_co_u32 v2, vcc_lo, v2, v5
	v_add_co_ci_u32_e32 v3, vcc_lo, 0, v3, vcc_lo
	s_delay_alu instid0(VALU_DEP_2) | instskip(NEXT) | instid1(VALU_DEP_2)
	v_add_co_u32 v18, vcc_lo, v2, v4
	v_add_co_ci_u32_e32 v19, vcc_lo, 0, v3, vcc_lo
	ds_load_2addr_b64 v[2:5], v38 offset1:1
	ds_load_2addr_b64 v[6:9], v38 offset0:6 offset1:7
	ds_load_2addr_b64 v[10:13], v37 offset1:1
	ds_load_2addr_b64 v[14:17], v14 offset1:1
	v_add_co_u32 v0, vcc_lo, v0, s26
	v_lshlrev_b64 v[20:21], 3, v[18:19]
	v_lshlrev_b64 v[18:19], 6, v[18:19]
	v_add_co_ci_u32_e32 v1, vcc_lo, 0, v1, vcc_lo
	s_delay_alu instid0(VALU_DEP_3) | instskip(NEXT) | instid1(VALU_DEP_4)
	v_add_co_u32 v20, vcc_lo, s28, v20
	v_add_co_ci_u32_e32 v21, vcc_lo, s29, v21, vcc_lo
	s_delay_alu instid0(VALU_DEP_4)
	v_add_co_u32 v18, vcc_lo, s30, v18
	v_add_co_ci_u32_e32 v19, vcc_lo, s31, v19, vcc_lo
	global_store_b64 v[20:21], v[0:1], off
	s_waitcnt lgkmcnt(3)
	global_store_b128 v[18:19], v[2:5], off
	s_waitcnt lgkmcnt(1)
	global_store_b128 v[18:19], v[10:13], off offset:16
	s_waitcnt lgkmcnt(0)
	s_clause 0x1
	global_store_b128 v[18:19], v[14:17], off offset:32
	global_store_b128 v[18:19], v[6:9], off offset:48
.LBB148_186:
	s_nop 0
	s_sendmsg sendmsg(MSG_DEALLOC_VGPRS)
	s_endpgm
	.section	.rodata,"a",@progbits
	.p2align	6, 0x0
	.amdhsa_kernel _ZN9rocsparseL27bsrgemm_fill_wf_per_row_2x2ILj256ELj16ELj16ELj137Ell21rocsparse_complex_numIdEEEv20rocsparse_direction_T4_S4_PKS4_S6_NS_24const_host_device_scalarIT5_EEPKT3_S6_PKS8_SC_S6_SE_S9_SC_S6_SE_SC_PS4_PS8_21rocsparse_index_base_SH_SH_SH_bbb
		.amdhsa_group_segment_fixed_size 18432
		.amdhsa_private_segment_fixed_size 24
		.amdhsa_kernarg_size 188
		.amdhsa_user_sgpr_count 15
		.amdhsa_user_sgpr_dispatch_ptr 0
		.amdhsa_user_sgpr_queue_ptr 0
		.amdhsa_user_sgpr_kernarg_segment_ptr 1
		.amdhsa_user_sgpr_dispatch_id 0
		.amdhsa_user_sgpr_private_segment_size 0
		.amdhsa_wavefront_size32 1
		.amdhsa_uses_dynamic_stack 0
		.amdhsa_enable_private_segment 1
		.amdhsa_system_sgpr_workgroup_id_x 1
		.amdhsa_system_sgpr_workgroup_id_y 0
		.amdhsa_system_sgpr_workgroup_id_z 0
		.amdhsa_system_sgpr_workgroup_info 0
		.amdhsa_system_vgpr_workitem_id 0
		.amdhsa_next_free_vgpr 67
		.amdhsa_next_free_sgpr 48
		.amdhsa_reserve_vcc 1
		.amdhsa_float_round_mode_32 0
		.amdhsa_float_round_mode_16_64 0
		.amdhsa_float_denorm_mode_32 3
		.amdhsa_float_denorm_mode_16_64 3
		.amdhsa_dx10_clamp 1
		.amdhsa_ieee_mode 1
		.amdhsa_fp16_overflow 0
		.amdhsa_workgroup_processor_mode 1
		.amdhsa_memory_ordered 1
		.amdhsa_forward_progress 0
		.amdhsa_shared_vgpr_count 0
		.amdhsa_exception_fp_ieee_invalid_op 0
		.amdhsa_exception_fp_denorm_src 0
		.amdhsa_exception_fp_ieee_div_zero 0
		.amdhsa_exception_fp_ieee_overflow 0
		.amdhsa_exception_fp_ieee_underflow 0
		.amdhsa_exception_fp_ieee_inexact 0
		.amdhsa_exception_int_div_zero 0
	.end_amdhsa_kernel
	.section	.text._ZN9rocsparseL27bsrgemm_fill_wf_per_row_2x2ILj256ELj16ELj16ELj137Ell21rocsparse_complex_numIdEEEv20rocsparse_direction_T4_S4_PKS4_S6_NS_24const_host_device_scalarIT5_EEPKT3_S6_PKS8_SC_S6_SE_S9_SC_S6_SE_SC_PS4_PS8_21rocsparse_index_base_SH_SH_SH_bbb,"axG",@progbits,_ZN9rocsparseL27bsrgemm_fill_wf_per_row_2x2ILj256ELj16ELj16ELj137Ell21rocsparse_complex_numIdEEEv20rocsparse_direction_T4_S4_PKS4_S6_NS_24const_host_device_scalarIT5_EEPKT3_S6_PKS8_SC_S6_SE_S9_SC_S6_SE_SC_PS4_PS8_21rocsparse_index_base_SH_SH_SH_bbb,comdat
.Lfunc_end148:
	.size	_ZN9rocsparseL27bsrgemm_fill_wf_per_row_2x2ILj256ELj16ELj16ELj137Ell21rocsparse_complex_numIdEEEv20rocsparse_direction_T4_S4_PKS4_S6_NS_24const_host_device_scalarIT5_EEPKT3_S6_PKS8_SC_S6_SE_S9_SC_S6_SE_SC_PS4_PS8_21rocsparse_index_base_SH_SH_SH_bbb, .Lfunc_end148-_ZN9rocsparseL27bsrgemm_fill_wf_per_row_2x2ILj256ELj16ELj16ELj137Ell21rocsparse_complex_numIdEEEv20rocsparse_direction_T4_S4_PKS4_S6_NS_24const_host_device_scalarIT5_EEPKT3_S6_PKS8_SC_S6_SE_S9_SC_S6_SE_SC_PS4_PS8_21rocsparse_index_base_SH_SH_SH_bbb
                                        ; -- End function
	.section	.AMDGPU.csdata,"",@progbits
; Kernel info:
; codeLenInByte = 7336
; NumSgprs: 50
; NumVgprs: 67
; ScratchSize: 24
; MemoryBound: 0
; FloatMode: 240
; IeeeMode: 1
; LDSByteSize: 18432 bytes/workgroup (compile time only)
; SGPRBlocks: 6
; VGPRBlocks: 8
; NumSGPRsForWavesPerEU: 50
; NumVGPRsForWavesPerEU: 67
; Occupancy: 14
; WaveLimiterHint : 1
; COMPUTE_PGM_RSRC2:SCRATCH_EN: 1
; COMPUTE_PGM_RSRC2:USER_SGPR: 15
; COMPUTE_PGM_RSRC2:TRAP_HANDLER: 0
; COMPUTE_PGM_RSRC2:TGID_X_EN: 1
; COMPUTE_PGM_RSRC2:TGID_Y_EN: 0
; COMPUTE_PGM_RSRC2:TGID_Z_EN: 0
; COMPUTE_PGM_RSRC2:TIDIG_COMP_CNT: 0
	.section	.text._ZN9rocsparseL27bsrgemm_fill_wf_per_row_2x2ILj256ELj16ELj32ELj137Ell21rocsparse_complex_numIdEEEv20rocsparse_direction_T4_S4_PKS4_S6_NS_24const_host_device_scalarIT5_EEPKT3_S6_PKS8_SC_S6_SE_S9_SC_S6_SE_SC_PS4_PS8_21rocsparse_index_base_SH_SH_SH_bbb,"axG",@progbits,_ZN9rocsparseL27bsrgemm_fill_wf_per_row_2x2ILj256ELj16ELj32ELj137Ell21rocsparse_complex_numIdEEEv20rocsparse_direction_T4_S4_PKS4_S6_NS_24const_host_device_scalarIT5_EEPKT3_S6_PKS8_SC_S6_SE_S9_SC_S6_SE_SC_PS4_PS8_21rocsparse_index_base_SH_SH_SH_bbb,comdat
	.globl	_ZN9rocsparseL27bsrgemm_fill_wf_per_row_2x2ILj256ELj16ELj32ELj137Ell21rocsparse_complex_numIdEEEv20rocsparse_direction_T4_S4_PKS4_S6_NS_24const_host_device_scalarIT5_EEPKT3_S6_PKS8_SC_S6_SE_S9_SC_S6_SE_SC_PS4_PS8_21rocsparse_index_base_SH_SH_SH_bbb ; -- Begin function _ZN9rocsparseL27bsrgemm_fill_wf_per_row_2x2ILj256ELj16ELj32ELj137Ell21rocsparse_complex_numIdEEEv20rocsparse_direction_T4_S4_PKS4_S6_NS_24const_host_device_scalarIT5_EEPKT3_S6_PKS8_SC_S6_SE_S9_SC_S6_SE_SC_PS4_PS8_21rocsparse_index_base_SH_SH_SH_bbb
	.p2align	8
	.type	_ZN9rocsparseL27bsrgemm_fill_wf_per_row_2x2ILj256ELj16ELj32ELj137Ell21rocsparse_complex_numIdEEEv20rocsparse_direction_T4_S4_PKS4_S6_NS_24const_host_device_scalarIT5_EEPKT3_S6_PKS8_SC_S6_SE_S9_SC_S6_SE_SC_PS4_PS8_21rocsparse_index_base_SH_SH_SH_bbb,@function
_ZN9rocsparseL27bsrgemm_fill_wf_per_row_2x2ILj256ELj16ELj32ELj137Ell21rocsparse_complex_numIdEEEv20rocsparse_direction_T4_S4_PKS4_S6_NS_24const_host_device_scalarIT5_EEPKT3_S6_PKS8_SC_S6_SE_S9_SC_S6_SE_SC_PS4_PS8_21rocsparse_index_base_SH_SH_SH_bbb: ; @_ZN9rocsparseL27bsrgemm_fill_wf_per_row_2x2ILj256ELj16ELj32ELj137Ell21rocsparse_complex_numIdEEEv20rocsparse_direction_T4_S4_PKS4_S6_NS_24const_host_device_scalarIT5_EEPKT3_S6_PKS8_SC_S6_SE_S9_SC_S6_SE_SC_PS4_PS8_21rocsparse_index_base_SH_SH_SH_bbb
; %bb.0:
	s_load_b32 s13, s[2:3], 0xb8
	s_load_b64 s[8:9], s[0:1], 0x4
	s_clause 0x1
	s_load_b128 s[4:7], s[2:3], 0x28
	s_load_b128 s[36:39], s[2:3], 0x68
	v_dual_mov_b32 v16, 0 :: v_dual_and_b32 v1, 0x3ff, v0
	s_load_b128 s[24:27], s[2:3], 0xa8
	v_bfe_u32 v3, v0, 10, 10
	v_mov_b32_e32 v17, 0
	v_bfe_u32 v0, v0, 20, 10
	s_waitcnt lgkmcnt(0)
	s_bitcmp1_b32 s13, 0
	s_cselect_b32 s12, -1, 0
	s_bitcmp1_b32 s13, 16
	v_mov_b32_e32 v4, s36
	s_cselect_b32 s0, -1, 0
	s_lshr_b32 s1, s8, 16
	s_xor_b32 s14, s0, -1
	s_mul_i32 s1, s1, s9
	v_cndmask_b32_e64 v6, 0, 1, s14
	v_mul_lo_u32 v2, s1, v1
	s_bitcmp0_b32 s13, 0
	s_delay_alu instid0(VALU_DEP_2) | instskip(NEXT) | instid1(VALU_DEP_2)
	v_cmp_ne_u32_e32 vcc_lo, 1, v6
	v_mad_u32_u24 v7, v3, s9, v2
	v_dual_mov_b32 v2, s4 :: v_dual_mov_b32 v3, s5
	v_mov_b32_e32 v23, v17
	v_dual_mov_b32 v25, v17 :: v_dual_mov_b32 v24, v16
	v_dual_mov_b32 v5, s37 :: v_dual_mov_b32 v22, v16
	v_add_lshl_u32 v0, v7, v0, 3
	ds_store_2addr_stride64_b64 v0, v[4:5], v[2:3] offset0:72 offset1:76
	s_cbranch_scc1 .LBB149_3
; %bb.1:
	s_mov_b64 s[8:9], src_shared_base
	s_and_b32 s1, s0, exec_lo
	s_cselect_b32 s1, s9, s5
	s_delay_alu instid0(SALU_CYCLE_1) | instskip(SKIP_2) | instid1(VALU_DEP_2)
	v_dual_mov_b32 v3, s1 :: v_dual_add_nc_u32 v2, 0x9800, v0
	v_dual_mov_b32 v25, s7 :: v_dual_mov_b32 v24, s6
	s_and_b32 vcc_lo, exec_lo, vcc_lo
	v_cndmask_b32_e64 v2, s4, v2, s0
	flat_load_b64 v[22:23], v[2:3]
	s_cbranch_vccnz .LBB149_3
; %bb.2:
	v_dual_mov_b32 v2, s4 :: v_dual_mov_b32 v3, s5
	flat_load_b64 v[24:25], v[2:3] offset:8
.LBB149_3:
	s_clause 0x4
	s_load_b128 s[28:31], s[2:3], 0x98
	s_load_b256 s[4:11], s[2:3], 0x78
	s_load_b128 s[40:43], s[2:3], 0x58
	s_load_b128 s[44:47], s[2:3], 0x18
	s_load_b256 s[16:23], s[2:3], 0x38
	s_bitcmp1_b32 s13, 8
	v_dual_mov_b32 v19, v17 :: v_dual_mov_b32 v18, v16
	s_cselect_b32 s1, -1, 0
	s_bfe_u32 s13, s13, 0x10008
	s_delay_alu instid0(SALU_CYCLE_1)
	s_cmp_eq_u32 s13, 0
	s_cbranch_scc1 .LBB149_6
; %bb.4:
	s_mov_b64 s[34:35], src_shared_base
	s_and_b32 s13, s0, exec_lo
	s_cselect_b32 s13, s35, s37
	s_delay_alu instid0(SALU_CYCLE_1) | instskip(SKIP_2) | instid1(VALU_DEP_2)
	v_dual_mov_b32 v3, s13 :: v_dual_add_nc_u32 v0, 0x9000, v0
	v_dual_mov_b32 v16, s38 :: v_dual_mov_b32 v17, s39
	s_and_not1_b32 vcc_lo, exec_lo, s14
	v_cndmask_b32_e64 v2, s36, v0, s0
	flat_load_b64 v[18:19], v[2:3]
	s_cbranch_vccnz .LBB149_6
; %bb.5:
	v_dual_mov_b32 v2, s36 :: v_dual_mov_b32 v3, s37
	flat_load_b64 v[16:17], v[2:3] offset:8
.LBB149_6:
	s_load_b128 s[36:39], s[2:3], 0x8
	v_lshrrev_b32_e32 v4, 4, v1
	v_and_b32_e32 v63, 15, v1
	s_mov_b32 s0, 0
	s_delay_alu instid0(VALU_DEP_2) | instskip(NEXT) | instid1(VALU_DEP_2)
	v_lshlrev_b32_e32 v0, 8, v4
	v_lshlrev_b32_e32 v1, 3, v63
	s_delay_alu instid0(VALU_DEP_1) | instskip(NEXT) | instid1(VALU_DEP_1)
	v_or3_b32 v60, v0, v1, 0x8000
	v_mov_b32_e32 v2, v60
	v_or_b32_e32 v61, -16, v63
	s_waitcnt lgkmcnt(0)
	v_dual_mov_b32 v0, s38 :: v_dual_mov_b32 v1, s39
	s_delay_alu instid0(VALU_DEP_2)
	v_mov_b32_e32 v3, v61
.LBB149_7:                              ; =>This Inner Loop Header: Depth=1
	s_delay_alu instid0(VALU_DEP_1) | instskip(NEXT) | instid1(VALU_DEP_1)
	v_add_co_u32 v3, s13, v3, 16
	s_xor_b32 s13, s13, -1
	ds_store_b64 v2, v[0:1]
	v_add_nc_u32_e32 v2, 0x80, v2
	s_and_b32 s13, exec_lo, s13
	s_delay_alu instid0(SALU_CYCLE_1) | instskip(NEXT) | instid1(SALU_CYCLE_1)
	s_or_b32 s0, s13, s0
	s_and_not1_b32 exec_lo, exec_lo, s0
	s_cbranch_execnz .LBB149_7
; %bb.8:
	s_or_b32 exec_lo, exec_lo, s0
	v_mov_b32_e32 v0, 0
	v_lshlrev_b32_e32 v64, 11, v4
	s_mov_b32 s0, 0
	s_delay_alu instid0(VALU_DEP_2) | instskip(NEXT) | instid1(VALU_DEP_2)
	v_dual_mov_b32 v6, v61 :: v_dual_mov_b32 v1, v0
	v_lshl_or_b32 v5, v63, 4, v64
	v_mov_b32_e32 v2, v0
	v_mov_b32_e32 v3, v0
.LBB149_9:                              ; =>This Inner Loop Header: Depth=1
	s_delay_alu instid0(VALU_DEP_4) | instskip(SKIP_4) | instid1(SALU_CYCLE_1)
	v_add_nc_u32_e32 v6, 16, v6
	ds_store_b128 v5, v[0:3]
	v_add_nc_u32_e32 v5, 0x100, v5
	v_cmp_lt_u32_e32 vcc_lo, 0x6f, v6
	s_or_b32 s0, vcc_lo, s0
	s_and_not1_b32 exec_lo, exec_lo, s0
	s_cbranch_execnz .LBB149_9
; %bb.10:
	s_or_b32 exec_lo, exec_lo, s0
	v_lshl_or_b32 v0, s15, 4, v4
	v_mov_b32_e32 v1, 0
	s_waitcnt vmcnt(0) lgkmcnt(0)
	s_barrier
	buffer_gl0_inv
	s_mov_b32 s0, exec_lo
	v_cmpx_gt_i64_e64 s[36:37], v[0:1]
	s_cbranch_execz .LBB149_190
; %bb.11:
	s_cmp_eq_u64 s[46:47], 0
	s_cbranch_scc1 .LBB149_13
; %bb.12:
	s_load_b64 s[14:15], s[44:45], 0x0
	v_lshlrev_b64 v[0:1], 3, v[0:1]
	s_waitcnt lgkmcnt(0)
	s_lshl_b64 s[14:15], s[14:15], 3
	s_delay_alu instid0(SALU_CYCLE_1) | instskip(SKIP_1) | instid1(VALU_DEP_1)
	s_add_u32 s0, s46, s14
	s_addc_u32 s13, s47, s15
	v_add_co_u32 v0, vcc_lo, s0, v0
	v_add_co_ci_u32_e32 v1, vcc_lo, s13, v1, vcc_lo
	global_load_b64 v[0:1], v[0:1], off
.LBB149_13:
	s_load_b32 s0, s[2:3], 0x0
	s_waitcnt vmcnt(0)
	v_lshlrev_b64 v[20:21], 3, v[0:1]
	v_lshl_or_b32 v62, v4, 8, 0x8000
	s_and_not1_b32 vcc_lo, exec_lo, s12
	s_cbranch_vccnz .LBB149_101
; %bb.14:
	s_delay_alu instid0(VALU_DEP_2) | instskip(NEXT) | instid1(VALU_DEP_3)
	v_add_co_u32 v0, vcc_lo, s16, v20
	v_add_co_ci_u32_e32 v1, vcc_lo, s17, v21, vcc_lo
	v_sub_co_u32 v4, s2, v63, s24
	s_delay_alu instid0(VALU_DEP_1)
	v_sub_co_ci_u32_e64 v5, null, 0, 0, s2
	global_load_b128 v[0:3], v[0:1], off
	s_mov_b32 s3, 0
	s_mov_b32 s2, exec_lo
	s_waitcnt vmcnt(0)
	v_sub_co_u32 v26, vcc_lo, v2, s24
	v_subrev_co_ci_u32_e32 v27, vcc_lo, 0, v3, vcc_lo
	v_add_co_u32 v28, vcc_lo, v0, v4
	v_add_co_ci_u32_e32 v29, vcc_lo, v1, v5, vcc_lo
	s_delay_alu instid0(VALU_DEP_1)
	v_cmpx_lt_i64_e64 v[28:29], v[26:27]
	s_cbranch_execz .LBB149_100
; %bb.15:
	s_waitcnt lgkmcnt(0)
	s_cmp_eq_u32 s0, 0
	s_mov_b32 s12, s25
	s_cselect_b32 s13, 1, 2
	s_cselect_b32 s14, 2, 1
	s_branch .LBB149_17
.LBB149_16:                             ;   in Loop: Header=BB149_17 Depth=1
	s_or_b32 exec_lo, exec_lo, s15
	v_add_co_u32 v28, vcc_lo, v28, 16
	v_add_co_ci_u32_e32 v29, vcc_lo, 0, v29, vcc_lo
	s_delay_alu instid0(VALU_DEP_1) | instskip(SKIP_1) | instid1(SALU_CYCLE_1)
	v_cmp_ge_i64_e32 vcc_lo, v[28:29], v[26:27]
	s_or_b32 s3, vcc_lo, s3
	s_and_not1_b32 exec_lo, exec_lo, s3
	s_cbranch_execz .LBB149_100
.LBB149_17:                             ; =>This Loop Header: Depth=1
                                        ;     Child Loop BB149_20 Depth 2
                                        ;       Child Loop BB149_22 Depth 3
                                        ;         Child Loop BB149_28 Depth 4
                                        ;         Child Loop BB149_30 Depth 4
                                        ;         Child Loop BB149_36 Depth 4
                                        ;         Child Loop BB149_38 Depth 4
                                        ;       Child Loop BB149_42 Depth 3
                                        ;         Child Loop BB149_48 Depth 4
                                        ;         Child Loop BB149_50 Depth 4
                                        ;         Child Loop BB149_56 Depth 4
                                        ;         Child Loop BB149_58 Depth 4
	;; [unrolled: 5-line block ×4, first 2 shown]
	v_lshlrev_b64 v[0:1], 3, v[28:29]
	s_mov_b32 s15, exec_lo
	s_delay_alu instid0(VALU_DEP_1) | instskip(NEXT) | instid1(VALU_DEP_2)
	v_add_co_u32 v0, vcc_lo, s18, v0
	v_add_co_ci_u32_e32 v1, vcc_lo, s19, v1, vcc_lo
	global_load_b64 v[0:1], v[0:1], off
	s_waitcnt vmcnt(0)
	v_sub_co_u32 v0, vcc_lo, v0, s24
	v_subrev_co_ci_u32_e32 v1, vcc_lo, 0, v1, vcc_lo
	s_delay_alu instid0(VALU_DEP_1) | instskip(NEXT) | instid1(VALU_DEP_1)
	v_lshlrev_b64 v[0:1], 3, v[0:1]
	v_add_co_u32 v0, vcc_lo, s22, v0
	s_delay_alu instid0(VALU_DEP_2)
	v_add_co_ci_u32_e32 v1, vcc_lo, s23, v1, vcc_lo
	global_load_b128 v[0:3], v[0:1], off
	s_waitcnt vmcnt(0)
	v_cmpx_lt_i64_e64 v[0:1], v[2:3]
	s_cbranch_execz .LBB149_16
; %bb.18:                               ;   in Loop: Header=BB149_17 Depth=1
	v_lshlrev_b64 v[4:5], 2, v[28:29]
	v_lshlrev_b64 v[6:7], 6, v[28:29]
	s_mov_b32 s16, 0
	s_delay_alu instid0(VALU_DEP_2) | instskip(NEXT) | instid1(VALU_DEP_3)
	v_or_b32_e32 v9, 0, v5
	v_or_b32_e32 v8, s13, v4
	;; [unrolled: 1-line block ×4, first 2 shown]
	v_add_co_u32 v10, vcc_lo, s20, v6
	s_delay_alu instid0(VALU_DEP_4) | instskip(SKIP_1) | instid1(VALU_DEP_4)
	v_lshlrev_b64 v[8:9], 4, v[8:9]
	v_add_co_ci_u32_e32 v11, vcc_lo, s21, v7, vcc_lo
	v_lshlrev_b64 v[12:13], 4, v[12:13]
	global_load_b128 v[4:7], v[10:11], off
	v_add_co_u32 v14, vcc_lo, s20, v8
	v_add_co_ci_u32_e32 v15, vcc_lo, s21, v9, vcc_lo
	v_add_co_u32 v30, vcc_lo, s20, v12
	v_add_co_ci_u32_e32 v31, vcc_lo, s21, v13, vcc_lo
	s_clause 0x2
	global_load_b128 v[8:11], v[10:11], off offset:48
	global_load_b128 v[12:15], v[14:15], off
	global_load_b128 v[44:47], v[30:31], off
	s_waitcnt vmcnt(3)
	v_mul_f64 v[30:31], v[6:7], -v[24:25]
	v_mul_f64 v[6:7], v[22:23], v[6:7]
	s_waitcnt vmcnt(2)
	v_mul_f64 v[34:35], v[10:11], -v[24:25]
	v_mul_f64 v[10:11], v[22:23], v[10:11]
	;; [unrolled: 3-line block ×4, first 2 shown]
	v_fma_f64 v[30:31], v[22:23], v[4:5], v[30:31]
	v_fma_f64 v[32:33], v[24:25], v[4:5], v[6:7]
	;; [unrolled: 1-line block ×8, first 2 shown]
	v_sub_co_u32 v46, vcc_lo, v2, s12
	v_subrev_co_ci_u32_e32 v47, vcc_lo, 0, v3, vcc_lo
	v_sub_co_u32 v48, vcc_lo, v0, s12
	v_subrev_co_ci_u32_e32 v49, vcc_lo, 0, v1, vcc_lo
	s_branch .LBB149_20
.LBB149_19:                             ;   in Loop: Header=BB149_20 Depth=2
	s_or_b32 exec_lo, exec_lo, s17
	v_add_co_u32 v48, vcc_lo, v48, 1
	v_add_co_ci_u32_e32 v49, vcc_lo, 0, v49, vcc_lo
	s_delay_alu instid0(VALU_DEP_1) | instskip(SKIP_1) | instid1(SALU_CYCLE_1)
	v_cmp_ge_i64_e32 vcc_lo, v[48:49], v[46:47]
	s_or_b32 s16, vcc_lo, s16
	s_and_not1_b32 exec_lo, exec_lo, s16
	s_cbranch_execz .LBB149_16
.LBB149_20:                             ;   Parent Loop BB149_17 Depth=1
                                        ; =>  This Loop Header: Depth=2
                                        ;       Child Loop BB149_22 Depth 3
                                        ;         Child Loop BB149_28 Depth 4
                                        ;         Child Loop BB149_30 Depth 4
                                        ;         Child Loop BB149_36 Depth 4
                                        ;         Child Loop BB149_38 Depth 4
                                        ;       Child Loop BB149_42 Depth 3
                                        ;         Child Loop BB149_48 Depth 4
                                        ;         Child Loop BB149_50 Depth 4
                                        ;         Child Loop BB149_56 Depth 4
                                        ;         Child Loop BB149_58 Depth 4
	;; [unrolled: 5-line block ×4, first 2 shown]
	s_delay_alu instid0(VALU_DEP_1) | instskip(SKIP_1) | instid1(VALU_DEP_1)
	v_lshlrev_b64 v[0:1], 2, v[48:49]
	s_mov_b32 s17, 0
	v_or_b32_e32 v3, 0, v1
	s_delay_alu instid0(VALU_DEP_2) | instskip(SKIP_2) | instid1(VALU_DEP_3)
	v_or_b32_e32 v2, s14, v0
	v_or_b32_e32 v1, 0, v1
	;; [unrolled: 1-line block ×3, first 2 shown]
	v_lshlrev_b64 v[2:3], 4, v[2:3]
	s_delay_alu instid0(VALU_DEP_2) | instskip(NEXT) | instid1(VALU_DEP_2)
	v_lshlrev_b64 v[0:1], 4, v[0:1]
	v_add_co_u32 v2, vcc_lo, s42, v2
	s_delay_alu instid0(VALU_DEP_3) | instskip(SKIP_2) | instid1(VALU_DEP_1)
	v_add_co_ci_u32_e32 v3, vcc_lo, s43, v3, vcc_lo
	global_load_b128 v[12:15], v[2:3], off
	v_lshlrev_b64 v[2:3], 6, v[48:49]
	v_add_co_u32 v4, vcc_lo, s42, v2
	s_delay_alu instid0(VALU_DEP_2)
	v_add_co_ci_u32_e32 v5, vcc_lo, s43, v3, vcc_lo
	v_lshlrev_b64 v[2:3], 3, v[48:49]
	global_load_b128 v[8:11], v[4:5], off
	v_add_co_u32 v2, vcc_lo, s40, v2
	v_add_co_ci_u32_e32 v3, vcc_lo, s41, v3, vcc_lo
	v_add_co_u32 v0, vcc_lo, s42, v0
	v_add_co_ci_u32_e32 v1, vcc_lo, s43, v1, vcc_lo
	global_load_b64 v[50:51], v[2:3], off
	s_clause 0x1
	global_load_b128 v[0:3], v[0:1], off
	global_load_b128 v[4:7], v[4:5], off offset:48
	s_waitcnt vmcnt(4)
	v_mul_f64 v[52:53], v[14:15], -v[40:41]
	v_mul_f64 v[54:55], v[38:39], v[14:15]
	s_waitcnt vmcnt(2)
	v_sub_co_u32 v50, vcc_lo, v50, s12
	v_subrev_co_ci_u32_e32 v51, vcc_lo, 0, v51, vcc_lo
	s_delay_alu instid0(VALU_DEP_4) | instskip(NEXT) | instid1(VALU_DEP_4)
	v_fma_f64 v[52:53], v[38:39], v[12:13], v[52:53]
	v_fma_f64 v[54:55], v[40:41], v[12:13], v[54:55]
	s_delay_alu instid0(VALU_DEP_2) | instskip(NEXT) | instid1(VALU_DEP_2)
	v_fma_f64 v[52:53], v[30:31], v[8:9], v[52:53]
	v_fma_f64 v[55:56], v[32:33], v[8:9], v[54:55]
	s_delay_alu instid0(VALU_DEP_2) | instskip(NEXT) | instid1(VALU_DEP_2)
	v_fma_f64 v[53:54], -v[32:33], v[10:11], v[52:53]
	v_fma_f64 v[55:56], v[30:31], v[10:11], v[55:56]
	v_lshl_add_u32 v52, v50, 3, v50
	s_delay_alu instid0(VALU_DEP_1) | instskip(NEXT) | instid1(VALU_DEP_1)
	v_and_b32_e32 v52, 31, v52
	v_dual_mov_b32 v58, v53 :: v_dual_mov_b32 v57, v52
	s_branch .LBB149_22
.LBB149_21:                             ;   in Loop: Header=BB149_22 Depth=3
	s_or_b32 exec_lo, exec_lo, s25
	s_xor_b32 s25, s33, -1
	s_delay_alu instid0(SALU_CYCLE_1) | instskip(NEXT) | instid1(SALU_CYCLE_1)
	s_and_b32 s25, exec_lo, s25
	s_or_b32 s17, s25, s17
	s_delay_alu instid0(SALU_CYCLE_1)
	s_and_not1_b32 exec_lo, exec_lo, s17
	s_cbranch_execz .LBB149_40
.LBB149_22:                             ;   Parent Loop BB149_17 Depth=1
                                        ;     Parent Loop BB149_20 Depth=2
                                        ; =>    This Loop Header: Depth=3
                                        ;         Child Loop BB149_28 Depth 4
                                        ;         Child Loop BB149_30 Depth 4
                                        ;         Child Loop BB149_36 Depth 4
                                        ;         Child Loop BB149_38 Depth 4
	s_delay_alu instid0(VALU_DEP_1)
	v_lshl_add_u32 v65, v57, 3, v62
	s_mov_b32 s25, exec_lo
                                        ; implicit-def: $sgpr33
	ds_load_b64 v[58:59], v65
	s_waitcnt lgkmcnt(0)
	v_cmpx_ne_u64_e64 v[58:59], v[50:51]
	s_xor_b32 s25, exec_lo, s25
	s_cbranch_execz .LBB149_34
; %bb.23:                               ;   in Loop: Header=BB149_22 Depth=3
	s_mov_b32 s34, exec_lo
                                        ; implicit-def: $sgpr33
	v_cmpx_ne_u64_e64 s[38:39], v[58:59]
	s_xor_b32 s34, exec_lo, s34
; %bb.24:                               ;   in Loop: Header=BB149_22 Depth=3
	v_add_nc_u32_e32 v57, 1, v57
	s_mov_b32 s33, -1
                                        ; implicit-def: $vgpr65
	s_delay_alu instid0(VALU_DEP_1)
	v_and_b32_e32 v57, 31, v57
; %bb.25:                               ;   in Loop: Header=BB149_22 Depth=3
	s_and_not1_saveexec_b32 s34, s34
	s_cbranch_execz .LBB149_33
; %bb.26:                               ;   in Loop: Header=BB149_22 Depth=3
	v_dual_mov_b32 v59, s39 :: v_dual_mov_b32 v58, s38
	s_mov_b32 s36, -1
	s_mov_b32 s35, exec_lo
	ds_cmpstore_rtn_b64 v[58:59], v65, v[50:51], v[58:59]
	s_waitcnt lgkmcnt(0)
	v_cmpx_eq_u64_e64 s[38:39], v[58:59]
	s_cbranch_execz .LBB149_32
; %bb.27:                               ;   in Loop: Header=BB149_22 Depth=3
	v_lshlrev_b32_e32 v58, 6, v57
	s_mov_b32 s36, 0
	s_delay_alu instid0(VALU_DEP_1)
	v_add_nc_u32_e32 v65, v64, v58
	ds_load_b64 v[58:59], v65
.LBB149_28:                             ;   Parent Loop BB149_17 Depth=1
                                        ;     Parent Loop BB149_20 Depth=2
                                        ;       Parent Loop BB149_22 Depth=3
                                        ; =>      This Inner Loop Header: Depth=4
	s_waitcnt lgkmcnt(0)
	v_add_f64 v[66:67], v[58:59], v[53:54]
	ds_cmpstore_rtn_b64 v[66:67], v65, v[66:67], v[58:59]
	s_waitcnt lgkmcnt(0)
	v_cmp_eq_u64_e32 vcc_lo, v[66:67], v[58:59]
	v_dual_mov_b32 v58, v66 :: v_dual_mov_b32 v59, v67
	s_or_b32 s36, vcc_lo, s36
	s_delay_alu instid0(SALU_CYCLE_1)
	s_and_not1_b32 exec_lo, exec_lo, s36
	s_cbranch_execnz .LBB149_28
; %bb.29:                               ;   in Loop: Header=BB149_22 Depth=3
	s_or_b32 exec_lo, exec_lo, s36
	ds_load_b64 v[58:59], v65 offset:8
	s_mov_b32 s36, 0
.LBB149_30:                             ;   Parent Loop BB149_17 Depth=1
                                        ;     Parent Loop BB149_20 Depth=2
                                        ;       Parent Loop BB149_22 Depth=3
                                        ; =>      This Inner Loop Header: Depth=4
	s_waitcnt lgkmcnt(0)
	v_add_f64 v[66:67], v[58:59], v[55:56]
	ds_cmpstore_rtn_b64 v[66:67], v65, v[66:67], v[58:59] offset:8
	s_waitcnt lgkmcnt(0)
	v_cmp_eq_u64_e32 vcc_lo, v[66:67], v[58:59]
	v_dual_mov_b32 v58, v66 :: v_dual_mov_b32 v59, v67
	s_or_b32 s36, vcc_lo, s36
	s_delay_alu instid0(SALU_CYCLE_1)
	s_and_not1_b32 exec_lo, exec_lo, s36
	s_cbranch_execnz .LBB149_30
; %bb.31:                               ;   in Loop: Header=BB149_22 Depth=3
	s_or_b32 exec_lo, exec_lo, s36
	s_delay_alu instid0(SALU_CYCLE_1)
	s_xor_b32 s36, exec_lo, -1
.LBB149_32:                             ;   in Loop: Header=BB149_22 Depth=3
	s_or_b32 exec_lo, exec_lo, s35
	s_delay_alu instid0(SALU_CYCLE_1) | instskip(SKIP_1) | instid1(SALU_CYCLE_1)
	s_and_not1_b32 s33, s33, exec_lo
	s_and_b32 s35, s36, exec_lo
	s_or_b32 s33, s33, s35
.LBB149_33:                             ;   in Loop: Header=BB149_22 Depth=3
	s_or_b32 exec_lo, exec_lo, s34
	s_delay_alu instid0(SALU_CYCLE_1)
	s_and_b32 s33, s33, exec_lo
.LBB149_34:                             ;   in Loop: Header=BB149_22 Depth=3
	s_and_not1_saveexec_b32 s25, s25
	s_cbranch_execz .LBB149_21
; %bb.35:                               ;   in Loop: Header=BB149_22 Depth=3
	v_lshlrev_b32_e32 v58, 6, v57
	s_mov_b32 s34, 0
	s_delay_alu instid0(VALU_DEP_1)
	v_add_nc_u32_e32 v65, v64, v58
	ds_load_b64 v[58:59], v65
.LBB149_36:                             ;   Parent Loop BB149_17 Depth=1
                                        ;     Parent Loop BB149_20 Depth=2
                                        ;       Parent Loop BB149_22 Depth=3
                                        ; =>      This Inner Loop Header: Depth=4
	s_waitcnt lgkmcnt(0)
	v_add_f64 v[66:67], v[58:59], v[53:54]
	ds_cmpstore_rtn_b64 v[66:67], v65, v[66:67], v[58:59]
	s_waitcnt lgkmcnt(0)
	v_cmp_eq_u64_e32 vcc_lo, v[66:67], v[58:59]
	v_dual_mov_b32 v58, v66 :: v_dual_mov_b32 v59, v67
	s_or_b32 s34, vcc_lo, s34
	s_delay_alu instid0(SALU_CYCLE_1)
	s_and_not1_b32 exec_lo, exec_lo, s34
	s_cbranch_execnz .LBB149_36
; %bb.37:                               ;   in Loop: Header=BB149_22 Depth=3
	s_or_b32 exec_lo, exec_lo, s34
	ds_load_b64 v[58:59], v65 offset:8
	s_mov_b32 s34, 0
.LBB149_38:                             ;   Parent Loop BB149_17 Depth=1
                                        ;     Parent Loop BB149_20 Depth=2
                                        ;       Parent Loop BB149_22 Depth=3
                                        ; =>      This Inner Loop Header: Depth=4
	s_waitcnt lgkmcnt(0)
	v_add_f64 v[66:67], v[58:59], v[55:56]
	ds_cmpstore_rtn_b64 v[66:67], v65, v[66:67], v[58:59] offset:8
	s_waitcnt lgkmcnt(0)
	v_cmp_eq_u64_e32 vcc_lo, v[66:67], v[58:59]
	v_dual_mov_b32 v58, v66 :: v_dual_mov_b32 v59, v67
	s_or_b32 s34, vcc_lo, s34
	s_delay_alu instid0(SALU_CYCLE_1)
	s_and_not1_b32 exec_lo, exec_lo, s34
	s_cbranch_execnz .LBB149_38
; %bb.39:                               ;   in Loop: Header=BB149_22 Depth=3
	s_or_b32 exec_lo, exec_lo, s34
	s_delay_alu instid0(SALU_CYCLE_1)
	s_and_not1_b32 s33, s33, exec_lo
	s_branch .LBB149_21
.LBB149_40:                             ;   in Loop: Header=BB149_20 Depth=2
	s_or_b32 exec_lo, exec_lo, s17
	s_waitcnt vmcnt(0)
	v_mul_f64 v[53:54], v[6:7], -v[40:41]
	v_mul_f64 v[55:56], v[38:39], v[6:7]
	s_mov_b32 s17, 0
	s_delay_alu instid0(VALU_DEP_2) | instskip(NEXT) | instid1(VALU_DEP_2)
	v_fma_f64 v[53:54], v[38:39], v[4:5], v[53:54]
	v_fma_f64 v[55:56], v[40:41], v[4:5], v[55:56]
	s_delay_alu instid0(VALU_DEP_2) | instskip(NEXT) | instid1(VALU_DEP_2)
	v_fma_f64 v[53:54], v[30:31], v[0:1], v[53:54]
	v_fma_f64 v[55:56], v[32:33], v[0:1], v[55:56]
	s_delay_alu instid0(VALU_DEP_2) | instskip(NEXT) | instid1(VALU_DEP_2)
	v_fma_f64 v[53:54], -v[32:33], v[2:3], v[53:54]
	v_fma_f64 v[55:56], v[30:31], v[2:3], v[55:56]
	s_delay_alu instid0(VALU_DEP_2)
	v_dual_mov_b32 v58, v53 :: v_dual_mov_b32 v57, v52
	s_branch .LBB149_42
.LBB149_41:                             ;   in Loop: Header=BB149_42 Depth=3
	s_or_b32 exec_lo, exec_lo, s25
	s_xor_b32 s25, s33, -1
	s_delay_alu instid0(SALU_CYCLE_1) | instskip(NEXT) | instid1(SALU_CYCLE_1)
	s_and_b32 s25, exec_lo, s25
	s_or_b32 s17, s25, s17
	s_delay_alu instid0(SALU_CYCLE_1)
	s_and_not1_b32 exec_lo, exec_lo, s17
	s_cbranch_execz .LBB149_60
.LBB149_42:                             ;   Parent Loop BB149_17 Depth=1
                                        ;     Parent Loop BB149_20 Depth=2
                                        ; =>    This Loop Header: Depth=3
                                        ;         Child Loop BB149_48 Depth 4
                                        ;         Child Loop BB149_50 Depth 4
                                        ;         Child Loop BB149_56 Depth 4
                                        ;         Child Loop BB149_58 Depth 4
	s_delay_alu instid0(VALU_DEP_1)
	v_lshl_add_u32 v65, v57, 3, v62
	s_mov_b32 s25, exec_lo
                                        ; implicit-def: $sgpr33
	ds_load_b64 v[58:59], v65
	s_waitcnt lgkmcnt(0)
	v_cmpx_ne_u64_e64 v[58:59], v[50:51]
	s_xor_b32 s25, exec_lo, s25
	s_cbranch_execz .LBB149_54
; %bb.43:                               ;   in Loop: Header=BB149_42 Depth=3
	s_mov_b32 s34, exec_lo
                                        ; implicit-def: $sgpr33
	v_cmpx_ne_u64_e64 s[38:39], v[58:59]
	s_xor_b32 s34, exec_lo, s34
; %bb.44:                               ;   in Loop: Header=BB149_42 Depth=3
	v_add_nc_u32_e32 v57, 1, v57
	s_mov_b32 s33, -1
                                        ; implicit-def: $vgpr65
	s_delay_alu instid0(VALU_DEP_1)
	v_and_b32_e32 v57, 31, v57
; %bb.45:                               ;   in Loop: Header=BB149_42 Depth=3
	s_and_not1_saveexec_b32 s34, s34
	s_cbranch_execz .LBB149_53
; %bb.46:                               ;   in Loop: Header=BB149_42 Depth=3
	v_dual_mov_b32 v59, s39 :: v_dual_mov_b32 v58, s38
	s_mov_b32 s36, -1
	s_mov_b32 s35, exec_lo
	ds_cmpstore_rtn_b64 v[58:59], v65, v[50:51], v[58:59]
	s_waitcnt lgkmcnt(0)
	v_cmpx_eq_u64_e64 s[38:39], v[58:59]
	s_cbranch_execz .LBB149_52
; %bb.47:                               ;   in Loop: Header=BB149_42 Depth=3
	v_lshlrev_b32_e32 v58, 6, v57
	s_mov_b32 s36, 0
	s_delay_alu instid0(VALU_DEP_1)
	v_add_nc_u32_e32 v65, v64, v58
	ds_load_b64 v[58:59], v65 offset:16
.LBB149_48:                             ;   Parent Loop BB149_17 Depth=1
                                        ;     Parent Loop BB149_20 Depth=2
                                        ;       Parent Loop BB149_42 Depth=3
                                        ; =>      This Inner Loop Header: Depth=4
	s_waitcnt lgkmcnt(0)
	v_add_f64 v[66:67], v[58:59], v[53:54]
	ds_cmpstore_rtn_b64 v[66:67], v65, v[66:67], v[58:59] offset:16
	s_waitcnt lgkmcnt(0)
	v_cmp_eq_u64_e32 vcc_lo, v[66:67], v[58:59]
	v_dual_mov_b32 v58, v66 :: v_dual_mov_b32 v59, v67
	s_or_b32 s36, vcc_lo, s36
	s_delay_alu instid0(SALU_CYCLE_1)
	s_and_not1_b32 exec_lo, exec_lo, s36
	s_cbranch_execnz .LBB149_48
; %bb.49:                               ;   in Loop: Header=BB149_42 Depth=3
	s_or_b32 exec_lo, exec_lo, s36
	ds_load_b64 v[58:59], v65 offset:24
	s_mov_b32 s36, 0
.LBB149_50:                             ;   Parent Loop BB149_17 Depth=1
                                        ;     Parent Loop BB149_20 Depth=2
                                        ;       Parent Loop BB149_42 Depth=3
                                        ; =>      This Inner Loop Header: Depth=4
	s_waitcnt lgkmcnt(0)
	v_add_f64 v[66:67], v[58:59], v[55:56]
	ds_cmpstore_rtn_b64 v[66:67], v65, v[66:67], v[58:59] offset:24
	s_waitcnt lgkmcnt(0)
	v_cmp_eq_u64_e32 vcc_lo, v[66:67], v[58:59]
	v_dual_mov_b32 v58, v66 :: v_dual_mov_b32 v59, v67
	s_or_b32 s36, vcc_lo, s36
	s_delay_alu instid0(SALU_CYCLE_1)
	s_and_not1_b32 exec_lo, exec_lo, s36
	s_cbranch_execnz .LBB149_50
; %bb.51:                               ;   in Loop: Header=BB149_42 Depth=3
	s_or_b32 exec_lo, exec_lo, s36
	s_delay_alu instid0(SALU_CYCLE_1)
	s_xor_b32 s36, exec_lo, -1
.LBB149_52:                             ;   in Loop: Header=BB149_42 Depth=3
	s_or_b32 exec_lo, exec_lo, s35
	s_delay_alu instid0(SALU_CYCLE_1) | instskip(SKIP_1) | instid1(SALU_CYCLE_1)
	s_and_not1_b32 s33, s33, exec_lo
	s_and_b32 s35, s36, exec_lo
	s_or_b32 s33, s33, s35
.LBB149_53:                             ;   in Loop: Header=BB149_42 Depth=3
	s_or_b32 exec_lo, exec_lo, s34
	s_delay_alu instid0(SALU_CYCLE_1)
	s_and_b32 s33, s33, exec_lo
.LBB149_54:                             ;   in Loop: Header=BB149_42 Depth=3
	s_and_not1_saveexec_b32 s25, s25
	s_cbranch_execz .LBB149_41
; %bb.55:                               ;   in Loop: Header=BB149_42 Depth=3
	v_lshlrev_b32_e32 v58, 6, v57
	s_mov_b32 s34, 0
	s_delay_alu instid0(VALU_DEP_1)
	v_add_nc_u32_e32 v65, v64, v58
	ds_load_b64 v[58:59], v65 offset:16
.LBB149_56:                             ;   Parent Loop BB149_17 Depth=1
                                        ;     Parent Loop BB149_20 Depth=2
                                        ;       Parent Loop BB149_42 Depth=3
                                        ; =>      This Inner Loop Header: Depth=4
	s_waitcnt lgkmcnt(0)
	v_add_f64 v[66:67], v[58:59], v[53:54]
	ds_cmpstore_rtn_b64 v[66:67], v65, v[66:67], v[58:59] offset:16
	s_waitcnt lgkmcnt(0)
	v_cmp_eq_u64_e32 vcc_lo, v[66:67], v[58:59]
	v_dual_mov_b32 v58, v66 :: v_dual_mov_b32 v59, v67
	s_or_b32 s34, vcc_lo, s34
	s_delay_alu instid0(SALU_CYCLE_1)
	s_and_not1_b32 exec_lo, exec_lo, s34
	s_cbranch_execnz .LBB149_56
; %bb.57:                               ;   in Loop: Header=BB149_42 Depth=3
	s_or_b32 exec_lo, exec_lo, s34
	ds_load_b64 v[58:59], v65 offset:24
	s_mov_b32 s34, 0
.LBB149_58:                             ;   Parent Loop BB149_17 Depth=1
                                        ;     Parent Loop BB149_20 Depth=2
                                        ;       Parent Loop BB149_42 Depth=3
                                        ; =>      This Inner Loop Header: Depth=4
	s_waitcnt lgkmcnt(0)
	v_add_f64 v[66:67], v[58:59], v[55:56]
	ds_cmpstore_rtn_b64 v[66:67], v65, v[66:67], v[58:59] offset:24
	s_waitcnt lgkmcnt(0)
	v_cmp_eq_u64_e32 vcc_lo, v[66:67], v[58:59]
	v_dual_mov_b32 v58, v66 :: v_dual_mov_b32 v59, v67
	s_or_b32 s34, vcc_lo, s34
	s_delay_alu instid0(SALU_CYCLE_1)
	s_and_not1_b32 exec_lo, exec_lo, s34
	s_cbranch_execnz .LBB149_58
; %bb.59:                               ;   in Loop: Header=BB149_42 Depth=3
	s_or_b32 exec_lo, exec_lo, s34
	s_delay_alu instid0(SALU_CYCLE_1)
	s_and_not1_b32 s33, s33, exec_lo
	s_branch .LBB149_41
.LBB149_60:                             ;   in Loop: Header=BB149_20 Depth=2
	s_or_b32 exec_lo, exec_lo, s17
	v_mul_f64 v[53:54], v[14:15], -v[36:37]
	v_mul_f64 v[14:15], v[34:35], v[14:15]
	s_mov_b32 s17, 0
	s_delay_alu instid0(VALU_DEP_2) | instskip(NEXT) | instid1(VALU_DEP_2)
	v_fma_f64 v[53:54], v[34:35], v[12:13], v[53:54]
	v_fma_f64 v[12:13], v[36:37], v[12:13], v[14:15]
	s_delay_alu instid0(VALU_DEP_2) | instskip(NEXT) | instid1(VALU_DEP_2)
	v_fma_f64 v[14:15], v[42:43], v[8:9], v[53:54]
	v_fma_f64 v[12:13], v[44:45], v[8:9], v[12:13]
	s_delay_alu instid0(VALU_DEP_2) | instskip(NEXT) | instid1(VALU_DEP_2)
	v_fma_f64 v[8:9], -v[44:45], v[10:11], v[14:15]
	v_fma_f64 v[10:11], v[42:43], v[10:11], v[12:13]
	v_dual_mov_b32 v12, v52 :: v_dual_mov_b32 v13, v53
	s_branch .LBB149_62
.LBB149_61:                             ;   in Loop: Header=BB149_62 Depth=3
	s_or_b32 exec_lo, exec_lo, s25
	s_xor_b32 s25, s33, -1
	s_delay_alu instid0(SALU_CYCLE_1) | instskip(NEXT) | instid1(SALU_CYCLE_1)
	s_and_b32 s25, exec_lo, s25
	s_or_b32 s17, s25, s17
	s_delay_alu instid0(SALU_CYCLE_1)
	s_and_not1_b32 exec_lo, exec_lo, s17
	s_cbranch_execz .LBB149_80
.LBB149_62:                             ;   Parent Loop BB149_17 Depth=1
                                        ;     Parent Loop BB149_20 Depth=2
                                        ; =>    This Loop Header: Depth=3
                                        ;         Child Loop BB149_68 Depth 4
                                        ;         Child Loop BB149_70 Depth 4
	;; [unrolled: 1-line block ×4, first 2 shown]
	s_delay_alu instid0(VALU_DEP_1)
	v_lshl_add_u32 v15, v12, 3, v62
	s_mov_b32 s25, exec_lo
                                        ; implicit-def: $sgpr33
	ds_load_b64 v[13:14], v15
	s_waitcnt lgkmcnt(0)
	v_cmpx_ne_u64_e64 v[13:14], v[50:51]
	s_xor_b32 s25, exec_lo, s25
	s_cbranch_execz .LBB149_74
; %bb.63:                               ;   in Loop: Header=BB149_62 Depth=3
	s_mov_b32 s34, exec_lo
                                        ; implicit-def: $sgpr33
	v_cmpx_ne_u64_e64 s[38:39], v[13:14]
	s_xor_b32 s34, exec_lo, s34
; %bb.64:                               ;   in Loop: Header=BB149_62 Depth=3
	v_add_nc_u32_e32 v12, 1, v12
	s_mov_b32 s33, -1
                                        ; implicit-def: $vgpr15
	s_delay_alu instid0(VALU_DEP_1)
	v_and_b32_e32 v12, 31, v12
; %bb.65:                               ;   in Loop: Header=BB149_62 Depth=3
	s_and_not1_saveexec_b32 s34, s34
	s_cbranch_execz .LBB149_73
; %bb.66:                               ;   in Loop: Header=BB149_62 Depth=3
	v_dual_mov_b32 v13, s38 :: v_dual_mov_b32 v14, s39
	s_mov_b32 s36, -1
	s_mov_b32 s35, exec_lo
	ds_cmpstore_rtn_b64 v[13:14], v15, v[50:51], v[13:14]
	s_waitcnt lgkmcnt(0)
	v_cmpx_eq_u64_e64 s[38:39], v[13:14]
	s_cbranch_execz .LBB149_72
; %bb.67:                               ;   in Loop: Header=BB149_62 Depth=3
	v_lshlrev_b32_e32 v13, 6, v12
	s_mov_b32 s36, 0
	s_delay_alu instid0(VALU_DEP_1)
	v_add_nc_u32_e32 v15, v64, v13
	ds_load_b64 v[13:14], v15 offset:32
.LBB149_68:                             ;   Parent Loop BB149_17 Depth=1
                                        ;     Parent Loop BB149_20 Depth=2
                                        ;       Parent Loop BB149_62 Depth=3
                                        ; =>      This Inner Loop Header: Depth=4
	s_waitcnt lgkmcnt(0)
	v_add_f64 v[53:54], v[13:14], v[8:9]
	ds_cmpstore_rtn_b64 v[53:54], v15, v[53:54], v[13:14] offset:32
	s_waitcnt lgkmcnt(0)
	v_cmp_eq_u64_e32 vcc_lo, v[53:54], v[13:14]
	v_dual_mov_b32 v13, v53 :: v_dual_mov_b32 v14, v54
	s_or_b32 s36, vcc_lo, s36
	s_delay_alu instid0(SALU_CYCLE_1)
	s_and_not1_b32 exec_lo, exec_lo, s36
	s_cbranch_execnz .LBB149_68
; %bb.69:                               ;   in Loop: Header=BB149_62 Depth=3
	s_or_b32 exec_lo, exec_lo, s36
	ds_load_b64 v[13:14], v15 offset:40
	s_mov_b32 s36, 0
.LBB149_70:                             ;   Parent Loop BB149_17 Depth=1
                                        ;     Parent Loop BB149_20 Depth=2
                                        ;       Parent Loop BB149_62 Depth=3
                                        ; =>      This Inner Loop Header: Depth=4
	s_waitcnt lgkmcnt(0)
	v_add_f64 v[53:54], v[13:14], v[10:11]
	ds_cmpstore_rtn_b64 v[53:54], v15, v[53:54], v[13:14] offset:40
	s_waitcnt lgkmcnt(0)
	v_cmp_eq_u64_e32 vcc_lo, v[53:54], v[13:14]
	v_dual_mov_b32 v13, v53 :: v_dual_mov_b32 v14, v54
	s_or_b32 s36, vcc_lo, s36
	s_delay_alu instid0(SALU_CYCLE_1)
	s_and_not1_b32 exec_lo, exec_lo, s36
	s_cbranch_execnz .LBB149_70
; %bb.71:                               ;   in Loop: Header=BB149_62 Depth=3
	s_or_b32 exec_lo, exec_lo, s36
	s_delay_alu instid0(SALU_CYCLE_1)
	s_xor_b32 s36, exec_lo, -1
.LBB149_72:                             ;   in Loop: Header=BB149_62 Depth=3
	s_or_b32 exec_lo, exec_lo, s35
	s_delay_alu instid0(SALU_CYCLE_1) | instskip(SKIP_1) | instid1(SALU_CYCLE_1)
	s_and_not1_b32 s33, s33, exec_lo
	s_and_b32 s35, s36, exec_lo
	s_or_b32 s33, s33, s35
.LBB149_73:                             ;   in Loop: Header=BB149_62 Depth=3
	s_or_b32 exec_lo, exec_lo, s34
	s_delay_alu instid0(SALU_CYCLE_1)
	s_and_b32 s33, s33, exec_lo
.LBB149_74:                             ;   in Loop: Header=BB149_62 Depth=3
	s_and_not1_saveexec_b32 s25, s25
	s_cbranch_execz .LBB149_61
; %bb.75:                               ;   in Loop: Header=BB149_62 Depth=3
	v_lshlrev_b32_e32 v13, 6, v12
	s_mov_b32 s34, 0
	s_delay_alu instid0(VALU_DEP_1)
	v_add_nc_u32_e32 v15, v64, v13
	ds_load_b64 v[13:14], v15 offset:32
.LBB149_76:                             ;   Parent Loop BB149_17 Depth=1
                                        ;     Parent Loop BB149_20 Depth=2
                                        ;       Parent Loop BB149_62 Depth=3
                                        ; =>      This Inner Loop Header: Depth=4
	s_waitcnt lgkmcnt(0)
	v_add_f64 v[53:54], v[13:14], v[8:9]
	ds_cmpstore_rtn_b64 v[53:54], v15, v[53:54], v[13:14] offset:32
	s_waitcnt lgkmcnt(0)
	v_cmp_eq_u64_e32 vcc_lo, v[53:54], v[13:14]
	v_dual_mov_b32 v13, v53 :: v_dual_mov_b32 v14, v54
	s_or_b32 s34, vcc_lo, s34
	s_delay_alu instid0(SALU_CYCLE_1)
	s_and_not1_b32 exec_lo, exec_lo, s34
	s_cbranch_execnz .LBB149_76
; %bb.77:                               ;   in Loop: Header=BB149_62 Depth=3
	s_or_b32 exec_lo, exec_lo, s34
	ds_load_b64 v[13:14], v15 offset:40
	s_mov_b32 s34, 0
.LBB149_78:                             ;   Parent Loop BB149_17 Depth=1
                                        ;     Parent Loop BB149_20 Depth=2
                                        ;       Parent Loop BB149_62 Depth=3
                                        ; =>      This Inner Loop Header: Depth=4
	s_waitcnt lgkmcnt(0)
	v_add_f64 v[53:54], v[13:14], v[10:11]
	ds_cmpstore_rtn_b64 v[53:54], v15, v[53:54], v[13:14] offset:40
	s_waitcnt lgkmcnt(0)
	v_cmp_eq_u64_e32 vcc_lo, v[53:54], v[13:14]
	v_dual_mov_b32 v13, v53 :: v_dual_mov_b32 v14, v54
	s_or_b32 s34, vcc_lo, s34
	s_delay_alu instid0(SALU_CYCLE_1)
	s_and_not1_b32 exec_lo, exec_lo, s34
	s_cbranch_execnz .LBB149_78
; %bb.79:                               ;   in Loop: Header=BB149_62 Depth=3
	s_or_b32 exec_lo, exec_lo, s34
	s_delay_alu instid0(SALU_CYCLE_1)
	s_and_not1_b32 s33, s33, exec_lo
	s_branch .LBB149_61
.LBB149_80:                             ;   in Loop: Header=BB149_20 Depth=2
	s_or_b32 exec_lo, exec_lo, s17
	v_mul_f64 v[8:9], v[6:7], -v[36:37]
	v_mul_f64 v[6:7], v[34:35], v[6:7]
	s_mov_b32 s17, 0
	s_delay_alu instid0(VALU_DEP_2) | instskip(NEXT) | instid1(VALU_DEP_2)
	v_fma_f64 v[8:9], v[34:35], v[4:5], v[8:9]
	v_fma_f64 v[4:5], v[36:37], v[4:5], v[6:7]
	s_delay_alu instid0(VALU_DEP_2) | instskip(NEXT) | instid1(VALU_DEP_2)
	v_fma_f64 v[6:7], v[42:43], v[0:1], v[8:9]
	v_fma_f64 v[4:5], v[44:45], v[0:1], v[4:5]
	s_delay_alu instid0(VALU_DEP_2) | instskip(NEXT) | instid1(VALU_DEP_2)
	v_fma_f64 v[0:1], -v[44:45], v[2:3], v[6:7]
	v_fma_f64 v[2:3], v[42:43], v[2:3], v[4:5]
	s_branch .LBB149_82
.LBB149_81:                             ;   in Loop: Header=BB149_82 Depth=3
	s_or_b32 exec_lo, exec_lo, s25
	s_xor_b32 s25, s33, -1
	s_delay_alu instid0(SALU_CYCLE_1) | instskip(NEXT) | instid1(SALU_CYCLE_1)
	s_and_b32 s25, exec_lo, s25
	s_or_b32 s17, s25, s17
	s_delay_alu instid0(SALU_CYCLE_1)
	s_and_not1_b32 exec_lo, exec_lo, s17
	s_cbranch_execz .LBB149_19
.LBB149_82:                             ;   Parent Loop BB149_17 Depth=1
                                        ;     Parent Loop BB149_20 Depth=2
                                        ; =>    This Loop Header: Depth=3
                                        ;         Child Loop BB149_88 Depth 4
                                        ;         Child Loop BB149_90 Depth 4
	;; [unrolled: 1-line block ×4, first 2 shown]
	v_lshl_add_u32 v6, v52, 3, v62
	s_mov_b32 s25, exec_lo
                                        ; implicit-def: $sgpr33
	ds_load_b64 v[4:5], v6
	s_waitcnt lgkmcnt(0)
	v_cmpx_ne_u64_e64 v[4:5], v[50:51]
	s_xor_b32 s25, exec_lo, s25
	s_cbranch_execz .LBB149_94
; %bb.83:                               ;   in Loop: Header=BB149_82 Depth=3
	s_mov_b32 s34, exec_lo
                                        ; implicit-def: $sgpr33
	v_cmpx_ne_u64_e64 s[38:39], v[4:5]
	s_xor_b32 s34, exec_lo, s34
; %bb.84:                               ;   in Loop: Header=BB149_82 Depth=3
	v_add_nc_u32_e32 v4, 1, v52
	s_mov_b32 s33, -1
                                        ; implicit-def: $vgpr6
	s_delay_alu instid0(VALU_DEP_1)
	v_and_b32_e32 v52, 31, v4
; %bb.85:                               ;   in Loop: Header=BB149_82 Depth=3
	s_and_not1_saveexec_b32 s34, s34
	s_cbranch_execz .LBB149_93
; %bb.86:                               ;   in Loop: Header=BB149_82 Depth=3
	v_dual_mov_b32 v4, s38 :: v_dual_mov_b32 v5, s39
	s_mov_b32 s36, -1
	s_mov_b32 s35, exec_lo
	ds_cmpstore_rtn_b64 v[4:5], v6, v[50:51], v[4:5]
	s_waitcnt lgkmcnt(0)
	v_cmpx_eq_u64_e64 s[38:39], v[4:5]
	s_cbranch_execz .LBB149_92
; %bb.87:                               ;   in Loop: Header=BB149_82 Depth=3
	v_lshlrev_b32_e32 v4, 6, v52
	s_mov_b32 s36, 0
	s_delay_alu instid0(VALU_DEP_1)
	v_add_nc_u32_e32 v6, v64, v4
	ds_load_b64 v[4:5], v6 offset:48
.LBB149_88:                             ;   Parent Loop BB149_17 Depth=1
                                        ;     Parent Loop BB149_20 Depth=2
                                        ;       Parent Loop BB149_82 Depth=3
                                        ; =>      This Inner Loop Header: Depth=4
	s_waitcnt lgkmcnt(0)
	v_add_f64 v[7:8], v[4:5], v[0:1]
	ds_cmpstore_rtn_b64 v[7:8], v6, v[7:8], v[4:5] offset:48
	s_waitcnt lgkmcnt(0)
	v_cmp_eq_u64_e32 vcc_lo, v[7:8], v[4:5]
	v_dual_mov_b32 v4, v7 :: v_dual_mov_b32 v5, v8
	s_or_b32 s36, vcc_lo, s36
	s_delay_alu instid0(SALU_CYCLE_1)
	s_and_not1_b32 exec_lo, exec_lo, s36
	s_cbranch_execnz .LBB149_88
; %bb.89:                               ;   in Loop: Header=BB149_82 Depth=3
	s_or_b32 exec_lo, exec_lo, s36
	ds_load_b64 v[4:5], v6 offset:56
	s_mov_b32 s36, 0
.LBB149_90:                             ;   Parent Loop BB149_17 Depth=1
                                        ;     Parent Loop BB149_20 Depth=2
                                        ;       Parent Loop BB149_82 Depth=3
                                        ; =>      This Inner Loop Header: Depth=4
	s_waitcnt lgkmcnt(0)
	v_add_f64 v[7:8], v[4:5], v[2:3]
	ds_cmpstore_rtn_b64 v[7:8], v6, v[7:8], v[4:5] offset:56
	s_waitcnt lgkmcnt(0)
	v_cmp_eq_u64_e32 vcc_lo, v[7:8], v[4:5]
	v_dual_mov_b32 v4, v7 :: v_dual_mov_b32 v5, v8
	s_or_b32 s36, vcc_lo, s36
	s_delay_alu instid0(SALU_CYCLE_1)
	s_and_not1_b32 exec_lo, exec_lo, s36
	s_cbranch_execnz .LBB149_90
; %bb.91:                               ;   in Loop: Header=BB149_82 Depth=3
	s_or_b32 exec_lo, exec_lo, s36
	s_delay_alu instid0(SALU_CYCLE_1)
	s_xor_b32 s36, exec_lo, -1
.LBB149_92:                             ;   in Loop: Header=BB149_82 Depth=3
	s_or_b32 exec_lo, exec_lo, s35
	s_delay_alu instid0(SALU_CYCLE_1) | instskip(SKIP_1) | instid1(SALU_CYCLE_1)
	s_and_not1_b32 s33, s33, exec_lo
	s_and_b32 s35, s36, exec_lo
	s_or_b32 s33, s33, s35
.LBB149_93:                             ;   in Loop: Header=BB149_82 Depth=3
	s_or_b32 exec_lo, exec_lo, s34
	s_delay_alu instid0(SALU_CYCLE_1)
	s_and_b32 s33, s33, exec_lo
.LBB149_94:                             ;   in Loop: Header=BB149_82 Depth=3
	s_and_not1_saveexec_b32 s25, s25
	s_cbranch_execz .LBB149_81
; %bb.95:                               ;   in Loop: Header=BB149_82 Depth=3
	v_lshlrev_b32_e32 v4, 6, v52
	s_mov_b32 s34, 0
	s_delay_alu instid0(VALU_DEP_1)
	v_add_nc_u32_e32 v6, v64, v4
	ds_load_b64 v[4:5], v6 offset:48
.LBB149_96:                             ;   Parent Loop BB149_17 Depth=1
                                        ;     Parent Loop BB149_20 Depth=2
                                        ;       Parent Loop BB149_82 Depth=3
                                        ; =>      This Inner Loop Header: Depth=4
	s_waitcnt lgkmcnt(0)
	v_add_f64 v[7:8], v[4:5], v[0:1]
	ds_cmpstore_rtn_b64 v[7:8], v6, v[7:8], v[4:5] offset:48
	s_waitcnt lgkmcnt(0)
	v_cmp_eq_u64_e32 vcc_lo, v[7:8], v[4:5]
	v_dual_mov_b32 v4, v7 :: v_dual_mov_b32 v5, v8
	s_or_b32 s34, vcc_lo, s34
	s_delay_alu instid0(SALU_CYCLE_1)
	s_and_not1_b32 exec_lo, exec_lo, s34
	s_cbranch_execnz .LBB149_96
; %bb.97:                               ;   in Loop: Header=BB149_82 Depth=3
	s_or_b32 exec_lo, exec_lo, s34
	ds_load_b64 v[4:5], v6 offset:56
	s_mov_b32 s34, 0
.LBB149_98:                             ;   Parent Loop BB149_17 Depth=1
                                        ;     Parent Loop BB149_20 Depth=2
                                        ;       Parent Loop BB149_82 Depth=3
                                        ; =>      This Inner Loop Header: Depth=4
	s_waitcnt lgkmcnt(0)
	v_add_f64 v[7:8], v[4:5], v[2:3]
	ds_cmpstore_rtn_b64 v[7:8], v6, v[7:8], v[4:5] offset:56
	s_waitcnt lgkmcnt(0)
	v_cmp_eq_u64_e32 vcc_lo, v[7:8], v[4:5]
	v_dual_mov_b32 v4, v7 :: v_dual_mov_b32 v5, v8
	s_or_b32 s34, vcc_lo, s34
	s_delay_alu instid0(SALU_CYCLE_1)
	s_and_not1_b32 exec_lo, exec_lo, s34
	s_cbranch_execnz .LBB149_98
; %bb.99:                               ;   in Loop: Header=BB149_82 Depth=3
	s_or_b32 exec_lo, exec_lo, s34
	s_delay_alu instid0(SALU_CYCLE_1)
	s_and_not1_b32 s33, s33, exec_lo
	s_branch .LBB149_81
.LBB149_100:
	s_or_b32 exec_lo, exec_lo, s2
.LBB149_101:
	s_delay_alu instid0(SALU_CYCLE_1)
	s_and_not1_b32 vcc_lo, exec_lo, s1
	s_waitcnt lgkmcnt(0)
	buffer_gl0_inv
	s_cbranch_vccnz .LBB149_186
; %bb.102:
	v_add_co_u32 v0, vcc_lo, s4, v20
	v_add_co_ci_u32_e32 v1, vcc_lo, s5, v21, vcc_lo
	v_sub_co_u32 v4, s1, v63, s27
	s_delay_alu instid0(VALU_DEP_1)
	v_sub_co_ci_u32_e64 v5, null, 0, 0, s1
	global_load_b128 v[0:3], v[0:1], off
	s_mov_b32 s1, 0
	s_mov_b32 s2, exec_lo
	s_waitcnt vmcnt(0)
	v_sub_co_u32 v12, vcc_lo, v2, s27
	v_subrev_co_ci_u32_e32 v13, vcc_lo, 0, v3, vcc_lo
	v_add_co_u32 v14, vcc_lo, v0, v4
	v_add_co_ci_u32_e32 v15, vcc_lo, v1, v5, vcc_lo
	s_delay_alu instid0(VALU_DEP_1)
	v_cmpx_lt_i64_e64 v[14:15], v[12:13]
	s_cbranch_execz .LBB149_185
; %bb.103:
	s_cmp_eq_u32 s0, 0
	s_mov_b32 s3, s27
	s_cselect_b32 s4, 1, 2
	s_cselect_b32 s5, 2, 1
	s_branch .LBB149_105
.LBB149_104:                            ;   in Loop: Header=BB149_105 Depth=1
	s_or_b32 exec_lo, exec_lo, s12
	v_add_co_u32 v14, vcc_lo, v14, 16
	v_add_co_ci_u32_e32 v15, vcc_lo, 0, v15, vcc_lo
	s_delay_alu instid0(VALU_DEP_1) | instskip(SKIP_1) | instid1(SALU_CYCLE_1)
	v_cmp_ge_i64_e32 vcc_lo, v[14:15], v[12:13]
	s_or_b32 s1, vcc_lo, s1
	s_and_not1_b32 exec_lo, exec_lo, s1
	s_cbranch_execz .LBB149_185
.LBB149_105:                            ; =>This Loop Header: Depth=1
                                        ;     Child Loop BB149_107 Depth 2
                                        ;       Child Loop BB149_113 Depth 3
                                        ;       Child Loop BB149_115 Depth 3
                                        ;       Child Loop BB149_121 Depth 3
                                        ;       Child Loop BB149_123 Depth 3
                                        ;     Child Loop BB149_127 Depth 2
                                        ;       Child Loop BB149_133 Depth 3
                                        ;       Child Loop BB149_135 Depth 3
                                        ;       Child Loop BB149_141 Depth 3
                                        ;       Child Loop BB149_143 Depth 3
	;; [unrolled: 5-line block ×4, first 2 shown]
	v_lshlrev_b64 v[0:1], 6, v[14:15]
	v_lshlrev_b64 v[2:3], 3, v[14:15]
	;; [unrolled: 1-line block ×3, first 2 shown]
	s_mov_b32 s12, 0
	s_delay_alu instid0(VALU_DEP_3) | instskip(NEXT) | instid1(VALU_DEP_4)
	v_add_co_u32 v0, vcc_lo, s8, v0
	v_add_co_ci_u32_e32 v1, vcc_lo, s9, v1, vcc_lo
	s_delay_alu instid0(VALU_DEP_4)
	v_add_co_u32 v2, vcc_lo, s6, v2
	v_add_co_ci_u32_e32 v3, vcc_lo, s7, v3, vcc_lo
	global_load_b128 v[22:25], v[0:1], off
	v_or_b32_e32 v7, 0, v5
	v_or_b32_e32 v6, s4, v4
	global_load_b64 v[29:30], v[2:3], off
	v_or_b32_e32 v3, 0, v5
	v_or_b32_e32 v2, s5, v4
	v_lshlrev_b64 v[4:5], 4, v[6:7]
	s_delay_alu instid0(VALU_DEP_2) | instskip(NEXT) | instid1(VALU_DEP_2)
	v_lshlrev_b64 v[2:3], 4, v[2:3]
	v_add_co_u32 v4, vcc_lo, s8, v4
	s_delay_alu instid0(VALU_DEP_3) | instskip(NEXT) | instid1(VALU_DEP_3)
	v_add_co_ci_u32_e32 v5, vcc_lo, s9, v5, vcc_lo
	v_add_co_u32 v6, vcc_lo, s8, v2
	s_delay_alu instid0(VALU_DEP_4)
	v_add_co_ci_u32_e32 v7, vcc_lo, s9, v3, vcc_lo
	s_clause 0x2
	global_load_b128 v[0:3], v[0:1], off offset:48
	global_load_b128 v[8:11], v[4:5], off
	global_load_b128 v[4:7], v[6:7], off
	s_waitcnt vmcnt(4)
	v_mul_f64 v[26:27], v[24:25], -v[16:17]
	v_mul_f64 v[31:32], v[18:19], v[24:25]
	s_delay_alu instid0(VALU_DEP_2) | instskip(NEXT) | instid1(VALU_DEP_2)
	v_fma_f64 v[25:26], v[18:19], v[22:23], v[26:27]
	v_fma_f64 v[27:28], v[16:17], v[22:23], v[31:32]
	s_waitcnt vmcnt(3)
	v_sub_co_u32 v22, vcc_lo, v29, s3
	v_subrev_co_ci_u32_e32 v23, vcc_lo, 0, v30, vcc_lo
	s_delay_alu instid0(VALU_DEP_2) | instskip(NEXT) | instid1(VALU_DEP_1)
	v_lshl_add_u32 v24, v22, 3, v22
	v_and_b32_e32 v24, 31, v24
	s_delay_alu instid0(VALU_DEP_1)
	v_dual_mov_b32 v30, v25 :: v_dual_mov_b32 v29, v24
	s_branch .LBB149_107
.LBB149_106:                            ;   in Loop: Header=BB149_107 Depth=2
	s_or_b32 exec_lo, exec_lo, s13
	s_xor_b32 s13, s14, -1
	s_delay_alu instid0(SALU_CYCLE_1) | instskip(NEXT) | instid1(SALU_CYCLE_1)
	s_and_b32 s13, exec_lo, s13
	s_or_b32 s12, s13, s12
	s_delay_alu instid0(SALU_CYCLE_1)
	s_and_not1_b32 exec_lo, exec_lo, s12
	s_cbranch_execz .LBB149_125
.LBB149_107:                            ;   Parent Loop BB149_105 Depth=1
                                        ; =>  This Loop Header: Depth=2
                                        ;       Child Loop BB149_113 Depth 3
                                        ;       Child Loop BB149_115 Depth 3
                                        ;       Child Loop BB149_121 Depth 3
                                        ;       Child Loop BB149_123 Depth 3
	s_delay_alu instid0(VALU_DEP_1)
	v_lshl_add_u32 v32, v29, 3, v62
	s_mov_b32 s13, exec_lo
                                        ; implicit-def: $sgpr14
	ds_load_b64 v[30:31], v32
	s_waitcnt lgkmcnt(0)
	v_cmpx_ne_u64_e64 v[30:31], v[22:23]
	s_xor_b32 s13, exec_lo, s13
	s_cbranch_execz .LBB149_119
; %bb.108:                              ;   in Loop: Header=BB149_107 Depth=2
	s_mov_b32 s15, exec_lo
                                        ; implicit-def: $sgpr14
	v_cmpx_ne_u64_e64 s[38:39], v[30:31]
	s_xor_b32 s15, exec_lo, s15
; %bb.109:                              ;   in Loop: Header=BB149_107 Depth=2
	v_add_nc_u32_e32 v29, 1, v29
	s_mov_b32 s14, -1
                                        ; implicit-def: $vgpr32
	s_delay_alu instid0(VALU_DEP_1)
	v_and_b32_e32 v29, 31, v29
; %bb.110:                              ;   in Loop: Header=BB149_107 Depth=2
	s_and_not1_saveexec_b32 s15, s15
	s_cbranch_execz .LBB149_118
; %bb.111:                              ;   in Loop: Header=BB149_107 Depth=2
	v_dual_mov_b32 v30, s38 :: v_dual_mov_b32 v31, s39
	s_mov_b32 s17, -1
	s_mov_b32 s16, exec_lo
	ds_cmpstore_rtn_b64 v[30:31], v32, v[22:23], v[30:31]
	s_waitcnt lgkmcnt(0)
	v_cmpx_eq_u64_e64 s[38:39], v[30:31]
	s_cbranch_execz .LBB149_117
; %bb.112:                              ;   in Loop: Header=BB149_107 Depth=2
	v_lshlrev_b32_e32 v30, 6, v29
	s_mov_b32 s17, 0
	s_delay_alu instid0(VALU_DEP_1)
	v_add_nc_u32_e32 v32, v64, v30
	ds_load_b64 v[30:31], v32
.LBB149_113:                            ;   Parent Loop BB149_105 Depth=1
                                        ;     Parent Loop BB149_107 Depth=2
                                        ; =>    This Inner Loop Header: Depth=3
	s_waitcnt lgkmcnt(0)
	v_add_f64 v[33:34], v[30:31], v[25:26]
	ds_cmpstore_rtn_b64 v[33:34], v32, v[33:34], v[30:31]
	s_waitcnt lgkmcnt(0)
	v_cmp_eq_u64_e32 vcc_lo, v[33:34], v[30:31]
	v_dual_mov_b32 v30, v33 :: v_dual_mov_b32 v31, v34
	s_or_b32 s17, vcc_lo, s17
	s_delay_alu instid0(SALU_CYCLE_1)
	s_and_not1_b32 exec_lo, exec_lo, s17
	s_cbranch_execnz .LBB149_113
; %bb.114:                              ;   in Loop: Header=BB149_107 Depth=2
	s_or_b32 exec_lo, exec_lo, s17
	ds_load_b64 v[30:31], v32 offset:8
	s_mov_b32 s17, 0
.LBB149_115:                            ;   Parent Loop BB149_105 Depth=1
                                        ;     Parent Loop BB149_107 Depth=2
                                        ; =>    This Inner Loop Header: Depth=3
	s_waitcnt lgkmcnt(0)
	v_add_f64 v[33:34], v[30:31], v[27:28]
	ds_cmpstore_rtn_b64 v[33:34], v32, v[33:34], v[30:31] offset:8
	s_waitcnt lgkmcnt(0)
	v_cmp_eq_u64_e32 vcc_lo, v[33:34], v[30:31]
	v_dual_mov_b32 v30, v33 :: v_dual_mov_b32 v31, v34
	s_or_b32 s17, vcc_lo, s17
	s_delay_alu instid0(SALU_CYCLE_1)
	s_and_not1_b32 exec_lo, exec_lo, s17
	s_cbranch_execnz .LBB149_115
; %bb.116:                              ;   in Loop: Header=BB149_107 Depth=2
	s_or_b32 exec_lo, exec_lo, s17
	s_delay_alu instid0(SALU_CYCLE_1)
	s_xor_b32 s17, exec_lo, -1
.LBB149_117:                            ;   in Loop: Header=BB149_107 Depth=2
	s_or_b32 exec_lo, exec_lo, s16
	s_delay_alu instid0(SALU_CYCLE_1) | instskip(SKIP_1) | instid1(SALU_CYCLE_1)
	s_and_not1_b32 s14, s14, exec_lo
	s_and_b32 s16, s17, exec_lo
	s_or_b32 s14, s14, s16
.LBB149_118:                            ;   in Loop: Header=BB149_107 Depth=2
	s_or_b32 exec_lo, exec_lo, s15
	s_delay_alu instid0(SALU_CYCLE_1)
	s_and_b32 s14, s14, exec_lo
.LBB149_119:                            ;   in Loop: Header=BB149_107 Depth=2
	s_and_not1_saveexec_b32 s13, s13
	s_cbranch_execz .LBB149_106
; %bb.120:                              ;   in Loop: Header=BB149_107 Depth=2
	v_lshlrev_b32_e32 v30, 6, v29
	s_mov_b32 s15, 0
	s_delay_alu instid0(VALU_DEP_1)
	v_add_nc_u32_e32 v32, v64, v30
	ds_load_b64 v[30:31], v32
.LBB149_121:                            ;   Parent Loop BB149_105 Depth=1
                                        ;     Parent Loop BB149_107 Depth=2
                                        ; =>    This Inner Loop Header: Depth=3
	s_waitcnt lgkmcnt(0)
	v_add_f64 v[33:34], v[30:31], v[25:26]
	ds_cmpstore_rtn_b64 v[33:34], v32, v[33:34], v[30:31]
	s_waitcnt lgkmcnt(0)
	v_cmp_eq_u64_e32 vcc_lo, v[33:34], v[30:31]
	v_dual_mov_b32 v30, v33 :: v_dual_mov_b32 v31, v34
	s_or_b32 s15, vcc_lo, s15
	s_delay_alu instid0(SALU_CYCLE_1)
	s_and_not1_b32 exec_lo, exec_lo, s15
	s_cbranch_execnz .LBB149_121
; %bb.122:                              ;   in Loop: Header=BB149_107 Depth=2
	s_or_b32 exec_lo, exec_lo, s15
	ds_load_b64 v[30:31], v32 offset:8
	s_mov_b32 s15, 0
.LBB149_123:                            ;   Parent Loop BB149_105 Depth=1
                                        ;     Parent Loop BB149_107 Depth=2
                                        ; =>    This Inner Loop Header: Depth=3
	s_waitcnt lgkmcnt(0)
	v_add_f64 v[33:34], v[30:31], v[27:28]
	ds_cmpstore_rtn_b64 v[33:34], v32, v[33:34], v[30:31] offset:8
	s_waitcnt lgkmcnt(0)
	v_cmp_eq_u64_e32 vcc_lo, v[33:34], v[30:31]
	v_dual_mov_b32 v30, v33 :: v_dual_mov_b32 v31, v34
	s_or_b32 s15, vcc_lo, s15
	s_delay_alu instid0(SALU_CYCLE_1)
	s_and_not1_b32 exec_lo, exec_lo, s15
	s_cbranch_execnz .LBB149_123
; %bb.124:                              ;   in Loop: Header=BB149_107 Depth=2
	s_or_b32 exec_lo, exec_lo, s15
	s_delay_alu instid0(SALU_CYCLE_1)
	s_and_not1_b32 s14, s14, exec_lo
	s_branch .LBB149_106
.LBB149_125:                            ;   in Loop: Header=BB149_105 Depth=1
	s_or_b32 exec_lo, exec_lo, s12
	s_waitcnt vmcnt(1)
	v_mul_f64 v[25:26], v[10:11], -v[16:17]
	v_mul_f64 v[27:28], v[18:19], v[10:11]
	s_mov_b32 s12, 0
	s_delay_alu instid0(VALU_DEP_2) | instskip(NEXT) | instid1(VALU_DEP_2)
	v_fma_f64 v[10:11], v[18:19], v[8:9], v[25:26]
	v_fma_f64 v[8:9], v[16:17], v[8:9], v[27:28]
	v_mov_b32_e32 v26, v25
	v_mov_b32_e32 v25, v24
	s_branch .LBB149_127
.LBB149_126:                            ;   in Loop: Header=BB149_127 Depth=2
	s_or_b32 exec_lo, exec_lo, s13
	s_xor_b32 s13, s14, -1
	s_delay_alu instid0(SALU_CYCLE_1) | instskip(NEXT) | instid1(SALU_CYCLE_1)
	s_and_b32 s13, exec_lo, s13
	s_or_b32 s12, s13, s12
	s_delay_alu instid0(SALU_CYCLE_1)
	s_and_not1_b32 exec_lo, exec_lo, s12
	s_cbranch_execz .LBB149_145
.LBB149_127:                            ;   Parent Loop BB149_105 Depth=1
                                        ; =>  This Loop Header: Depth=2
                                        ;       Child Loop BB149_133 Depth 3
                                        ;       Child Loop BB149_135 Depth 3
	;; [unrolled: 1-line block ×4, first 2 shown]
	s_delay_alu instid0(VALU_DEP_1)
	v_lshl_add_u32 v28, v25, 3, v62
	s_mov_b32 s13, exec_lo
                                        ; implicit-def: $sgpr14
	ds_load_b64 v[26:27], v28
	s_waitcnt lgkmcnt(0)
	v_cmpx_ne_u64_e64 v[26:27], v[22:23]
	s_xor_b32 s13, exec_lo, s13
	s_cbranch_execz .LBB149_139
; %bb.128:                              ;   in Loop: Header=BB149_127 Depth=2
	s_mov_b32 s15, exec_lo
                                        ; implicit-def: $sgpr14
	v_cmpx_ne_u64_e64 s[38:39], v[26:27]
	s_xor_b32 s15, exec_lo, s15
; %bb.129:                              ;   in Loop: Header=BB149_127 Depth=2
	v_add_nc_u32_e32 v25, 1, v25
	s_mov_b32 s14, -1
                                        ; implicit-def: $vgpr28
	s_delay_alu instid0(VALU_DEP_1)
	v_and_b32_e32 v25, 31, v25
; %bb.130:                              ;   in Loop: Header=BB149_127 Depth=2
	s_and_not1_saveexec_b32 s15, s15
	s_cbranch_execz .LBB149_138
; %bb.131:                              ;   in Loop: Header=BB149_127 Depth=2
	v_dual_mov_b32 v26, s38 :: v_dual_mov_b32 v27, s39
	s_mov_b32 s17, -1
	s_mov_b32 s16, exec_lo
	ds_cmpstore_rtn_b64 v[26:27], v28, v[22:23], v[26:27]
	s_waitcnt lgkmcnt(0)
	v_cmpx_eq_u64_e64 s[38:39], v[26:27]
	s_cbranch_execz .LBB149_137
; %bb.132:                              ;   in Loop: Header=BB149_127 Depth=2
	v_lshlrev_b32_e32 v26, 6, v25
	s_mov_b32 s17, 0
	s_delay_alu instid0(VALU_DEP_1)
	v_add_nc_u32_e32 v28, v64, v26
	ds_load_b64 v[26:27], v28 offset:16
.LBB149_133:                            ;   Parent Loop BB149_105 Depth=1
                                        ;     Parent Loop BB149_127 Depth=2
                                        ; =>    This Inner Loop Header: Depth=3
	s_waitcnt lgkmcnt(0)
	v_add_f64 v[29:30], v[26:27], v[10:11]
	ds_cmpstore_rtn_b64 v[29:30], v28, v[29:30], v[26:27] offset:16
	s_waitcnt lgkmcnt(0)
	v_cmp_eq_u64_e32 vcc_lo, v[29:30], v[26:27]
	v_dual_mov_b32 v26, v29 :: v_dual_mov_b32 v27, v30
	s_or_b32 s17, vcc_lo, s17
	s_delay_alu instid0(SALU_CYCLE_1)
	s_and_not1_b32 exec_lo, exec_lo, s17
	s_cbranch_execnz .LBB149_133
; %bb.134:                              ;   in Loop: Header=BB149_127 Depth=2
	s_or_b32 exec_lo, exec_lo, s17
	ds_load_b64 v[26:27], v28 offset:24
	s_mov_b32 s17, 0
.LBB149_135:                            ;   Parent Loop BB149_105 Depth=1
                                        ;     Parent Loop BB149_127 Depth=2
                                        ; =>    This Inner Loop Header: Depth=3
	s_waitcnt lgkmcnt(0)
	v_add_f64 v[29:30], v[26:27], v[8:9]
	ds_cmpstore_rtn_b64 v[29:30], v28, v[29:30], v[26:27] offset:24
	s_waitcnt lgkmcnt(0)
	v_cmp_eq_u64_e32 vcc_lo, v[29:30], v[26:27]
	v_dual_mov_b32 v26, v29 :: v_dual_mov_b32 v27, v30
	s_or_b32 s17, vcc_lo, s17
	s_delay_alu instid0(SALU_CYCLE_1)
	s_and_not1_b32 exec_lo, exec_lo, s17
	s_cbranch_execnz .LBB149_135
; %bb.136:                              ;   in Loop: Header=BB149_127 Depth=2
	s_or_b32 exec_lo, exec_lo, s17
	s_delay_alu instid0(SALU_CYCLE_1)
	s_xor_b32 s17, exec_lo, -1
.LBB149_137:                            ;   in Loop: Header=BB149_127 Depth=2
	s_or_b32 exec_lo, exec_lo, s16
	s_delay_alu instid0(SALU_CYCLE_1) | instskip(SKIP_1) | instid1(SALU_CYCLE_1)
	s_and_not1_b32 s14, s14, exec_lo
	s_and_b32 s16, s17, exec_lo
	s_or_b32 s14, s14, s16
.LBB149_138:                            ;   in Loop: Header=BB149_127 Depth=2
	s_or_b32 exec_lo, exec_lo, s15
	s_delay_alu instid0(SALU_CYCLE_1)
	s_and_b32 s14, s14, exec_lo
.LBB149_139:                            ;   in Loop: Header=BB149_127 Depth=2
	s_and_not1_saveexec_b32 s13, s13
	s_cbranch_execz .LBB149_126
; %bb.140:                              ;   in Loop: Header=BB149_127 Depth=2
	v_lshlrev_b32_e32 v26, 6, v25
	s_mov_b32 s15, 0
	s_delay_alu instid0(VALU_DEP_1)
	v_add_nc_u32_e32 v28, v64, v26
	ds_load_b64 v[26:27], v28 offset:16
.LBB149_141:                            ;   Parent Loop BB149_105 Depth=1
                                        ;     Parent Loop BB149_127 Depth=2
                                        ; =>    This Inner Loop Header: Depth=3
	s_waitcnt lgkmcnt(0)
	v_add_f64 v[29:30], v[26:27], v[10:11]
	ds_cmpstore_rtn_b64 v[29:30], v28, v[29:30], v[26:27] offset:16
	s_waitcnt lgkmcnt(0)
	v_cmp_eq_u64_e32 vcc_lo, v[29:30], v[26:27]
	v_dual_mov_b32 v26, v29 :: v_dual_mov_b32 v27, v30
	s_or_b32 s15, vcc_lo, s15
	s_delay_alu instid0(SALU_CYCLE_1)
	s_and_not1_b32 exec_lo, exec_lo, s15
	s_cbranch_execnz .LBB149_141
; %bb.142:                              ;   in Loop: Header=BB149_127 Depth=2
	s_or_b32 exec_lo, exec_lo, s15
	ds_load_b64 v[26:27], v28 offset:24
	s_mov_b32 s15, 0
.LBB149_143:                            ;   Parent Loop BB149_105 Depth=1
                                        ;     Parent Loop BB149_127 Depth=2
                                        ; =>    This Inner Loop Header: Depth=3
	s_waitcnt lgkmcnt(0)
	v_add_f64 v[29:30], v[26:27], v[8:9]
	ds_cmpstore_rtn_b64 v[29:30], v28, v[29:30], v[26:27] offset:24
	s_waitcnt lgkmcnt(0)
	v_cmp_eq_u64_e32 vcc_lo, v[29:30], v[26:27]
	v_dual_mov_b32 v26, v29 :: v_dual_mov_b32 v27, v30
	s_or_b32 s15, vcc_lo, s15
	s_delay_alu instid0(SALU_CYCLE_1)
	s_and_not1_b32 exec_lo, exec_lo, s15
	s_cbranch_execnz .LBB149_143
; %bb.144:                              ;   in Loop: Header=BB149_127 Depth=2
	s_or_b32 exec_lo, exec_lo, s15
	s_delay_alu instid0(SALU_CYCLE_1)
	s_and_not1_b32 s14, s14, exec_lo
	s_branch .LBB149_126
.LBB149_145:                            ;   in Loop: Header=BB149_105 Depth=1
	s_or_b32 exec_lo, exec_lo, s12
	s_waitcnt vmcnt(0)
	v_mul_f64 v[8:9], v[6:7], -v[16:17]
	v_mul_f64 v[10:11], v[18:19], v[6:7]
	s_mov_b32 s12, 0
	s_delay_alu instid0(VALU_DEP_2) | instskip(NEXT) | instid1(VALU_DEP_2)
	v_fma_f64 v[6:7], v[18:19], v[4:5], v[8:9]
	v_fma_f64 v[4:5], v[16:17], v[4:5], v[10:11]
	v_dual_mov_b32 v8, v24 :: v_dual_mov_b32 v9, v25
	s_branch .LBB149_147
.LBB149_146:                            ;   in Loop: Header=BB149_147 Depth=2
	s_or_b32 exec_lo, exec_lo, s13
	s_xor_b32 s13, s14, -1
	s_delay_alu instid0(SALU_CYCLE_1) | instskip(NEXT) | instid1(SALU_CYCLE_1)
	s_and_b32 s13, exec_lo, s13
	s_or_b32 s12, s13, s12
	s_delay_alu instid0(SALU_CYCLE_1)
	s_and_not1_b32 exec_lo, exec_lo, s12
	s_cbranch_execz .LBB149_165
.LBB149_147:                            ;   Parent Loop BB149_105 Depth=1
                                        ; =>  This Loop Header: Depth=2
                                        ;       Child Loop BB149_153 Depth 3
                                        ;       Child Loop BB149_155 Depth 3
	;; [unrolled: 1-line block ×4, first 2 shown]
	s_delay_alu instid0(VALU_DEP_1)
	v_lshl_add_u32 v11, v8, 3, v62
	s_mov_b32 s13, exec_lo
                                        ; implicit-def: $sgpr14
	ds_load_b64 v[9:10], v11
	s_waitcnt lgkmcnt(0)
	v_cmpx_ne_u64_e64 v[9:10], v[22:23]
	s_xor_b32 s13, exec_lo, s13
	s_cbranch_execz .LBB149_159
; %bb.148:                              ;   in Loop: Header=BB149_147 Depth=2
	s_mov_b32 s15, exec_lo
                                        ; implicit-def: $sgpr14
	v_cmpx_ne_u64_e64 s[38:39], v[9:10]
	s_xor_b32 s15, exec_lo, s15
; %bb.149:                              ;   in Loop: Header=BB149_147 Depth=2
	v_add_nc_u32_e32 v8, 1, v8
	s_mov_b32 s14, -1
                                        ; implicit-def: $vgpr11
	s_delay_alu instid0(VALU_DEP_1)
	v_and_b32_e32 v8, 31, v8
; %bb.150:                              ;   in Loop: Header=BB149_147 Depth=2
	s_and_not1_saveexec_b32 s15, s15
	s_cbranch_execz .LBB149_158
; %bb.151:                              ;   in Loop: Header=BB149_147 Depth=2
	v_dual_mov_b32 v9, s38 :: v_dual_mov_b32 v10, s39
	s_mov_b32 s17, -1
	s_mov_b32 s16, exec_lo
	ds_cmpstore_rtn_b64 v[9:10], v11, v[22:23], v[9:10]
	s_waitcnt lgkmcnt(0)
	v_cmpx_eq_u64_e64 s[38:39], v[9:10]
	s_cbranch_execz .LBB149_157
; %bb.152:                              ;   in Loop: Header=BB149_147 Depth=2
	v_lshlrev_b32_e32 v9, 6, v8
	s_mov_b32 s17, 0
	s_delay_alu instid0(VALU_DEP_1)
	v_add_nc_u32_e32 v11, v64, v9
	ds_load_b64 v[9:10], v11 offset:32
.LBB149_153:                            ;   Parent Loop BB149_105 Depth=1
                                        ;     Parent Loop BB149_147 Depth=2
                                        ; =>    This Inner Loop Header: Depth=3
	s_waitcnt lgkmcnt(0)
	v_add_f64 v[25:26], v[9:10], v[6:7]
	ds_cmpstore_rtn_b64 v[25:26], v11, v[25:26], v[9:10] offset:32
	s_waitcnt lgkmcnt(0)
	v_cmp_eq_u64_e32 vcc_lo, v[25:26], v[9:10]
	v_dual_mov_b32 v9, v25 :: v_dual_mov_b32 v10, v26
	s_or_b32 s17, vcc_lo, s17
	s_delay_alu instid0(SALU_CYCLE_1)
	s_and_not1_b32 exec_lo, exec_lo, s17
	s_cbranch_execnz .LBB149_153
; %bb.154:                              ;   in Loop: Header=BB149_147 Depth=2
	s_or_b32 exec_lo, exec_lo, s17
	ds_load_b64 v[9:10], v11 offset:40
	s_mov_b32 s17, 0
.LBB149_155:                            ;   Parent Loop BB149_105 Depth=1
                                        ;     Parent Loop BB149_147 Depth=2
                                        ; =>    This Inner Loop Header: Depth=3
	s_waitcnt lgkmcnt(0)
	v_add_f64 v[25:26], v[9:10], v[4:5]
	ds_cmpstore_rtn_b64 v[25:26], v11, v[25:26], v[9:10] offset:40
	s_waitcnt lgkmcnt(0)
	v_cmp_eq_u64_e32 vcc_lo, v[25:26], v[9:10]
	v_dual_mov_b32 v9, v25 :: v_dual_mov_b32 v10, v26
	s_or_b32 s17, vcc_lo, s17
	s_delay_alu instid0(SALU_CYCLE_1)
	s_and_not1_b32 exec_lo, exec_lo, s17
	s_cbranch_execnz .LBB149_155
; %bb.156:                              ;   in Loop: Header=BB149_147 Depth=2
	s_or_b32 exec_lo, exec_lo, s17
	s_delay_alu instid0(SALU_CYCLE_1)
	s_xor_b32 s17, exec_lo, -1
.LBB149_157:                            ;   in Loop: Header=BB149_147 Depth=2
	s_or_b32 exec_lo, exec_lo, s16
	s_delay_alu instid0(SALU_CYCLE_1) | instskip(SKIP_1) | instid1(SALU_CYCLE_1)
	s_and_not1_b32 s14, s14, exec_lo
	s_and_b32 s16, s17, exec_lo
	s_or_b32 s14, s14, s16
.LBB149_158:                            ;   in Loop: Header=BB149_147 Depth=2
	s_or_b32 exec_lo, exec_lo, s15
	s_delay_alu instid0(SALU_CYCLE_1)
	s_and_b32 s14, s14, exec_lo
.LBB149_159:                            ;   in Loop: Header=BB149_147 Depth=2
	s_and_not1_saveexec_b32 s13, s13
	s_cbranch_execz .LBB149_146
; %bb.160:                              ;   in Loop: Header=BB149_147 Depth=2
	v_lshlrev_b32_e32 v9, 6, v8
	s_mov_b32 s15, 0
	s_delay_alu instid0(VALU_DEP_1)
	v_add_nc_u32_e32 v11, v64, v9
	ds_load_b64 v[9:10], v11 offset:32
.LBB149_161:                            ;   Parent Loop BB149_105 Depth=1
                                        ;     Parent Loop BB149_147 Depth=2
                                        ; =>    This Inner Loop Header: Depth=3
	s_waitcnt lgkmcnt(0)
	v_add_f64 v[25:26], v[9:10], v[6:7]
	ds_cmpstore_rtn_b64 v[25:26], v11, v[25:26], v[9:10] offset:32
	s_waitcnt lgkmcnt(0)
	v_cmp_eq_u64_e32 vcc_lo, v[25:26], v[9:10]
	v_dual_mov_b32 v9, v25 :: v_dual_mov_b32 v10, v26
	s_or_b32 s15, vcc_lo, s15
	s_delay_alu instid0(SALU_CYCLE_1)
	s_and_not1_b32 exec_lo, exec_lo, s15
	s_cbranch_execnz .LBB149_161
; %bb.162:                              ;   in Loop: Header=BB149_147 Depth=2
	s_or_b32 exec_lo, exec_lo, s15
	ds_load_b64 v[9:10], v11 offset:40
	s_mov_b32 s15, 0
.LBB149_163:                            ;   Parent Loop BB149_105 Depth=1
                                        ;     Parent Loop BB149_147 Depth=2
                                        ; =>    This Inner Loop Header: Depth=3
	s_waitcnt lgkmcnt(0)
	v_add_f64 v[25:26], v[9:10], v[4:5]
	ds_cmpstore_rtn_b64 v[25:26], v11, v[25:26], v[9:10] offset:40
	s_waitcnt lgkmcnt(0)
	v_cmp_eq_u64_e32 vcc_lo, v[25:26], v[9:10]
	v_dual_mov_b32 v9, v25 :: v_dual_mov_b32 v10, v26
	s_or_b32 s15, vcc_lo, s15
	s_delay_alu instid0(SALU_CYCLE_1)
	s_and_not1_b32 exec_lo, exec_lo, s15
	s_cbranch_execnz .LBB149_163
; %bb.164:                              ;   in Loop: Header=BB149_147 Depth=2
	s_or_b32 exec_lo, exec_lo, s15
	s_delay_alu instid0(SALU_CYCLE_1)
	s_and_not1_b32 s14, s14, exec_lo
	s_branch .LBB149_146
.LBB149_165:                            ;   in Loop: Header=BB149_105 Depth=1
	s_or_b32 exec_lo, exec_lo, s12
	v_mul_f64 v[4:5], v[2:3], -v[16:17]
	v_mul_f64 v[6:7], v[18:19], v[2:3]
	s_mov_b32 s12, 0
	s_delay_alu instid0(VALU_DEP_2) | instskip(NEXT) | instid1(VALU_DEP_2)
	v_fma_f64 v[2:3], v[18:19], v[0:1], v[4:5]
	v_fma_f64 v[0:1], v[16:17], v[0:1], v[6:7]
	s_branch .LBB149_167
.LBB149_166:                            ;   in Loop: Header=BB149_167 Depth=2
	s_or_b32 exec_lo, exec_lo, s13
	s_xor_b32 s13, s14, -1
	s_delay_alu instid0(SALU_CYCLE_1) | instskip(NEXT) | instid1(SALU_CYCLE_1)
	s_and_b32 s13, exec_lo, s13
	s_or_b32 s12, s13, s12
	s_delay_alu instid0(SALU_CYCLE_1)
	s_and_not1_b32 exec_lo, exec_lo, s12
	s_cbranch_execz .LBB149_104
.LBB149_167:                            ;   Parent Loop BB149_105 Depth=1
                                        ; =>  This Loop Header: Depth=2
                                        ;       Child Loop BB149_173 Depth 3
                                        ;       Child Loop BB149_175 Depth 3
	;; [unrolled: 1-line block ×4, first 2 shown]
	v_lshl_add_u32 v6, v24, 3, v62
	s_mov_b32 s13, exec_lo
                                        ; implicit-def: $sgpr14
	ds_load_b64 v[4:5], v6
	s_waitcnt lgkmcnt(0)
	v_cmpx_ne_u64_e64 v[4:5], v[22:23]
	s_xor_b32 s13, exec_lo, s13
	s_cbranch_execz .LBB149_179
; %bb.168:                              ;   in Loop: Header=BB149_167 Depth=2
	s_mov_b32 s15, exec_lo
                                        ; implicit-def: $sgpr14
	v_cmpx_ne_u64_e64 s[38:39], v[4:5]
	s_xor_b32 s15, exec_lo, s15
; %bb.169:                              ;   in Loop: Header=BB149_167 Depth=2
	v_add_nc_u32_e32 v4, 1, v24
	s_mov_b32 s14, -1
                                        ; implicit-def: $vgpr6
	s_delay_alu instid0(VALU_DEP_1)
	v_and_b32_e32 v24, 31, v4
; %bb.170:                              ;   in Loop: Header=BB149_167 Depth=2
	s_and_not1_saveexec_b32 s15, s15
	s_cbranch_execz .LBB149_178
; %bb.171:                              ;   in Loop: Header=BB149_167 Depth=2
	v_dual_mov_b32 v4, s38 :: v_dual_mov_b32 v5, s39
	s_mov_b32 s17, -1
	s_mov_b32 s16, exec_lo
	ds_cmpstore_rtn_b64 v[4:5], v6, v[22:23], v[4:5]
	s_waitcnt lgkmcnt(0)
	v_cmpx_eq_u64_e64 s[38:39], v[4:5]
	s_cbranch_execz .LBB149_177
; %bb.172:                              ;   in Loop: Header=BB149_167 Depth=2
	v_lshlrev_b32_e32 v4, 6, v24
	s_mov_b32 s17, 0
	s_delay_alu instid0(VALU_DEP_1)
	v_add_nc_u32_e32 v6, v64, v4
	ds_load_b64 v[4:5], v6 offset:48
.LBB149_173:                            ;   Parent Loop BB149_105 Depth=1
                                        ;     Parent Loop BB149_167 Depth=2
                                        ; =>    This Inner Loop Header: Depth=3
	s_waitcnt lgkmcnt(0)
	v_add_f64 v[7:8], v[4:5], v[2:3]
	ds_cmpstore_rtn_b64 v[7:8], v6, v[7:8], v[4:5] offset:48
	s_waitcnt lgkmcnt(0)
	v_cmp_eq_u64_e32 vcc_lo, v[7:8], v[4:5]
	v_dual_mov_b32 v4, v7 :: v_dual_mov_b32 v5, v8
	s_or_b32 s17, vcc_lo, s17
	s_delay_alu instid0(SALU_CYCLE_1)
	s_and_not1_b32 exec_lo, exec_lo, s17
	s_cbranch_execnz .LBB149_173
; %bb.174:                              ;   in Loop: Header=BB149_167 Depth=2
	s_or_b32 exec_lo, exec_lo, s17
	ds_load_b64 v[4:5], v6 offset:56
	s_mov_b32 s17, 0
.LBB149_175:                            ;   Parent Loop BB149_105 Depth=1
                                        ;     Parent Loop BB149_167 Depth=2
                                        ; =>    This Inner Loop Header: Depth=3
	s_waitcnt lgkmcnt(0)
	v_add_f64 v[7:8], v[4:5], v[0:1]
	ds_cmpstore_rtn_b64 v[7:8], v6, v[7:8], v[4:5] offset:56
	s_waitcnt lgkmcnt(0)
	v_cmp_eq_u64_e32 vcc_lo, v[7:8], v[4:5]
	v_dual_mov_b32 v4, v7 :: v_dual_mov_b32 v5, v8
	s_or_b32 s17, vcc_lo, s17
	s_delay_alu instid0(SALU_CYCLE_1)
	s_and_not1_b32 exec_lo, exec_lo, s17
	s_cbranch_execnz .LBB149_175
; %bb.176:                              ;   in Loop: Header=BB149_167 Depth=2
	s_or_b32 exec_lo, exec_lo, s17
	s_delay_alu instid0(SALU_CYCLE_1)
	s_xor_b32 s17, exec_lo, -1
.LBB149_177:                            ;   in Loop: Header=BB149_167 Depth=2
	s_or_b32 exec_lo, exec_lo, s16
	s_delay_alu instid0(SALU_CYCLE_1) | instskip(SKIP_1) | instid1(SALU_CYCLE_1)
	s_and_not1_b32 s14, s14, exec_lo
	s_and_b32 s16, s17, exec_lo
	s_or_b32 s14, s14, s16
.LBB149_178:                            ;   in Loop: Header=BB149_167 Depth=2
	s_or_b32 exec_lo, exec_lo, s15
	s_delay_alu instid0(SALU_CYCLE_1)
	s_and_b32 s14, s14, exec_lo
.LBB149_179:                            ;   in Loop: Header=BB149_167 Depth=2
	s_and_not1_saveexec_b32 s13, s13
	s_cbranch_execz .LBB149_166
; %bb.180:                              ;   in Loop: Header=BB149_167 Depth=2
	v_lshlrev_b32_e32 v4, 6, v24
	s_mov_b32 s15, 0
	s_delay_alu instid0(VALU_DEP_1)
	v_add_nc_u32_e32 v6, v64, v4
	ds_load_b64 v[4:5], v6 offset:48
.LBB149_181:                            ;   Parent Loop BB149_105 Depth=1
                                        ;     Parent Loop BB149_167 Depth=2
                                        ; =>    This Inner Loop Header: Depth=3
	s_waitcnt lgkmcnt(0)
	v_add_f64 v[7:8], v[4:5], v[2:3]
	ds_cmpstore_rtn_b64 v[7:8], v6, v[7:8], v[4:5] offset:48
	s_waitcnt lgkmcnt(0)
	v_cmp_eq_u64_e32 vcc_lo, v[7:8], v[4:5]
	v_dual_mov_b32 v4, v7 :: v_dual_mov_b32 v5, v8
	s_or_b32 s15, vcc_lo, s15
	s_delay_alu instid0(SALU_CYCLE_1)
	s_and_not1_b32 exec_lo, exec_lo, s15
	s_cbranch_execnz .LBB149_181
; %bb.182:                              ;   in Loop: Header=BB149_167 Depth=2
	s_or_b32 exec_lo, exec_lo, s15
	ds_load_b64 v[4:5], v6 offset:56
	s_mov_b32 s15, 0
.LBB149_183:                            ;   Parent Loop BB149_105 Depth=1
                                        ;     Parent Loop BB149_167 Depth=2
                                        ; =>    This Inner Loop Header: Depth=3
	s_waitcnt lgkmcnt(0)
	v_add_f64 v[7:8], v[4:5], v[0:1]
	ds_cmpstore_rtn_b64 v[7:8], v6, v[7:8], v[4:5] offset:56
	s_waitcnt lgkmcnt(0)
	v_cmp_eq_u64_e32 vcc_lo, v[7:8], v[4:5]
	v_dual_mov_b32 v4, v7 :: v_dual_mov_b32 v5, v8
	s_or_b32 s15, vcc_lo, s15
	s_delay_alu instid0(SALU_CYCLE_1)
	s_and_not1_b32 exec_lo, exec_lo, s15
	s_cbranch_execnz .LBB149_183
; %bb.184:                              ;   in Loop: Header=BB149_167 Depth=2
	s_or_b32 exec_lo, exec_lo, s15
	s_delay_alu instid0(SALU_CYCLE_1)
	s_and_not1_b32 s14, s14, exec_lo
	s_branch .LBB149_166
.LBB149_185:
	s_or_b32 exec_lo, exec_lo, s2
.LBB149_186:
	v_add_co_u32 v0, vcc_lo, s10, v20
	v_add_co_ci_u32_e32 v1, vcc_lo, s11, v21, vcc_lo
	buffer_gl0_inv
	v_lshl_add_u32 v4, v63, 6, v64
	s_cmp_eq_u32 s0, 0
	global_load_b64 v[0:1], v[0:1], off
	s_mov_b32 s0, 0
	s_cselect_b32 s1, 16, 32
	s_cselect_b32 s2, 32, 16
	s_waitcnt vmcnt(0)
	v_sub_co_u32 v2, vcc_lo, v0, s26
	v_subrev_co_ci_u32_e32 v3, vcc_lo, 0, v1, vcc_lo
	s_branch .LBB149_188
.LBB149_187:                            ;   in Loop: Header=BB149_188 Depth=1
	s_or_b32 exec_lo, exec_lo, s3
	v_add_co_u32 v61, s3, v61, 16
	s_delay_alu instid0(VALU_DEP_1) | instskip(SKIP_3) | instid1(SALU_CYCLE_1)
	s_xor_b32 s3, s3, -1
	v_add_nc_u32_e32 v4, 0x400, v4
	v_add_nc_u32_e32 v60, 0x80, v60
	s_and_b32 s3, exec_lo, s3
	s_or_b32 s0, s3, s0
	s_delay_alu instid0(SALU_CYCLE_1)
	s_and_not1_b32 exec_lo, exec_lo, s0
	s_cbranch_execz .LBB149_190
.LBB149_188:                            ; =>This Inner Loop Header: Depth=1
	ds_load_b64 v[0:1], v60
	s_mov_b32 s3, exec_lo
	s_waitcnt lgkmcnt(0)
	v_cmpx_gt_i64_e64 s[38:39], v[0:1]
	s_cbranch_execz .LBB149_187
; %bb.189:                              ;   in Loop: Header=BB149_188 Depth=1
	ds_load_b128 v[5:8], v62
	ds_load_b128 v[9:12], v62 offset:16
	ds_load_b128 v[13:16], v62 offset:32
	;; [unrolled: 1-line block ×7, first 2 shown]
	s_waitcnt lgkmcnt(7)
	v_cmp_gt_i64_e32 vcc_lo, v[0:1], v[5:6]
	v_cndmask_b32_e64 v5, 0, 1, vcc_lo
	v_cmp_gt_i64_e32 vcc_lo, v[0:1], v[7:8]
	v_cndmask_b32_e64 v6, 0, 1, vcc_lo
	s_delay_alu instid0(VALU_DEP_3)
	v_add_co_u32 v5, vcc_lo, v2, v5
	v_add_co_ci_u32_e32 v7, vcc_lo, 0, v3, vcc_lo
	s_waitcnt lgkmcnt(6)
	v_cmp_gt_i64_e32 vcc_lo, v[0:1], v[9:10]
	v_cndmask_b32_e64 v8, 0, 1, vcc_lo
	v_add_co_u32 v5, vcc_lo, v5, v6
	v_add_co_ci_u32_e32 v6, vcc_lo, 0, v7, vcc_lo
	v_cmp_gt_i64_e32 vcc_lo, v[0:1], v[11:12]
	v_cndmask_b32_e64 v7, 0, 1, vcc_lo
	s_delay_alu instid0(VALU_DEP_4) | instskip(NEXT) | instid1(VALU_DEP_4)
	v_add_co_u32 v5, vcc_lo, v5, v8
	v_add_co_ci_u32_e32 v6, vcc_lo, 0, v6, vcc_lo
	s_waitcnt lgkmcnt(5)
	v_cmp_gt_i64_e32 vcc_lo, v[0:1], v[13:14]
	v_cndmask_b32_e64 v8, 0, 1, vcc_lo
	v_add_co_u32 v5, vcc_lo, v5, v7
	v_add_co_ci_u32_e32 v6, vcc_lo, 0, v6, vcc_lo
	v_cmp_gt_i64_e32 vcc_lo, v[0:1], v[15:16]
	v_cndmask_b32_e64 v7, 0, 1, vcc_lo
	s_delay_alu instid0(VALU_DEP_4) | instskip(NEXT) | instid1(VALU_DEP_4)
	;; [unrolled: 10-line block ×5, first 2 shown]
	v_add_co_u32 v5, vcc_lo, v5, v8
	v_add_co_ci_u32_e32 v6, vcc_lo, 0, v6, vcc_lo
	s_delay_alu instid0(VALU_DEP_2) | instskip(NEXT) | instid1(VALU_DEP_2)
	v_add_co_u32 v9, vcc_lo, v5, v7
	v_add_co_ci_u32_e32 v10, vcc_lo, 0, v6, vcc_lo
	s_waitcnt lgkmcnt(1)
	v_cmp_gt_i64_e32 vcc_lo, v[0:1], v[29:30]
	ds_load_b128 v[5:8], v62 offset:128
	v_cndmask_b32_e64 v11, 0, 1, vcc_lo
	v_cmp_gt_i64_e32 vcc_lo, v[0:1], v[31:32]
	v_cndmask_b32_e64 v12, 0, 1, vcc_lo
	s_delay_alu instid0(VALU_DEP_3) | instskip(SKIP_1) | instid1(VALU_DEP_2)
	v_add_co_u32 v9, vcc_lo, v9, v11
	v_add_co_ci_u32_e32 v10, vcc_lo, 0, v10, vcc_lo
	v_add_co_u32 v13, vcc_lo, v9, v12
	s_delay_alu instid0(VALU_DEP_2)
	v_add_co_ci_u32_e32 v14, vcc_lo, 0, v10, vcc_lo
	ds_load_b128 v[9:12], v62 offset:144
	s_waitcnt lgkmcnt(2)
	v_cmp_gt_i64_e32 vcc_lo, v[0:1], v[33:34]
	v_cndmask_b32_e64 v15, 0, 1, vcc_lo
	v_cmp_gt_i64_e32 vcc_lo, v[0:1], v[35:36]
	v_cndmask_b32_e64 v16, 0, 1, vcc_lo
	s_delay_alu instid0(VALU_DEP_3) | instskip(SKIP_1) | instid1(VALU_DEP_2)
	v_add_co_u32 v13, vcc_lo, v13, v15
	v_add_co_ci_u32_e32 v14, vcc_lo, 0, v14, vcc_lo
	v_add_co_u32 v13, vcc_lo, v13, v16
	s_delay_alu instid0(VALU_DEP_2)
	v_add_co_ci_u32_e32 v14, vcc_lo, 0, v14, vcc_lo
	s_waitcnt lgkmcnt(1)
	v_cmp_gt_i64_e32 vcc_lo, v[0:1], v[5:6]
	v_cndmask_b32_e64 v15, 0, 1, vcc_lo
	v_cmp_gt_i64_e32 vcc_lo, v[0:1], v[7:8]
	ds_load_b128 v[5:8], v62 offset:160
	v_cndmask_b32_e64 v16, 0, 1, vcc_lo
	v_add_co_u32 v13, vcc_lo, v13, v15
	v_add_co_ci_u32_e32 v14, vcc_lo, 0, v14, vcc_lo
	s_waitcnt lgkmcnt(1)
	v_cmp_gt_i64_e32 vcc_lo, v[0:1], v[9:10]
	v_cndmask_b32_e64 v9, 0, 1, vcc_lo
	v_add_co_u32 v10, vcc_lo, v13, v16
	v_add_co_ci_u32_e32 v13, vcc_lo, 0, v14, vcc_lo
	v_cmp_gt_i64_e32 vcc_lo, v[0:1], v[11:12]
	v_cndmask_b32_e64 v14, 0, 1, vcc_lo
	s_delay_alu instid0(VALU_DEP_4) | instskip(SKIP_3) | instid1(VALU_DEP_2)
	v_add_co_u32 v15, vcc_lo, v10, v9
	ds_load_b128 v[9:12], v62 offset:176
	v_add_co_ci_u32_e32 v13, vcc_lo, 0, v13, vcc_lo
	v_add_co_u32 v17, vcc_lo, v15, v14
	v_add_co_ci_u32_e32 v18, vcc_lo, 0, v13, vcc_lo
	s_waitcnt lgkmcnt(1)
	v_cmp_gt_i64_e32 vcc_lo, v[0:1], v[5:6]
	ds_load_b128 v[13:16], v62 offset:192
	v_cndmask_b32_e64 v5, 0, 1, vcc_lo
	v_cmp_gt_i64_e32 vcc_lo, v[0:1], v[7:8]
	v_cndmask_b32_e64 v6, 0, 1, vcc_lo
	s_delay_alu instid0(VALU_DEP_3) | instskip(SKIP_1) | instid1(VALU_DEP_2)
	v_add_co_u32 v5, vcc_lo, v17, v5
	v_add_co_ci_u32_e32 v7, vcc_lo, 0, v18, vcc_lo
	v_add_co_u32 v17, vcc_lo, v5, v6
	s_delay_alu instid0(VALU_DEP_2)
	v_add_co_ci_u32_e32 v18, vcc_lo, 0, v7, vcc_lo
	ds_load_b128 v[5:8], v62 offset:208
	s_waitcnt lgkmcnt(2)
	v_cmp_gt_i64_e32 vcc_lo, v[0:1], v[9:10]
	v_cndmask_b32_e64 v9, 0, 1, vcc_lo
	v_cmp_gt_i64_e32 vcc_lo, v[0:1], v[11:12]
	v_cndmask_b32_e64 v10, 0, 1, vcc_lo
	s_delay_alu instid0(VALU_DEP_3)
	v_add_co_u32 v9, vcc_lo, v17, v9
	v_add_co_ci_u32_e32 v11, vcc_lo, 0, v18, vcc_lo
	s_waitcnt lgkmcnt(1)
	v_cmp_gt_i64_e32 vcc_lo, v[0:1], v[13:14]
	v_cndmask_b32_e64 v13, 0, 1, vcc_lo
	v_add_co_u32 v14, vcc_lo, v9, v10
	v_add_co_ci_u32_e32 v17, vcc_lo, 0, v11, vcc_lo
	ds_load_b128 v[9:12], v62 offset:224
	v_add_co_u32 v18, vcc_lo, v14, v13
	v_add_co_ci_u32_e32 v17, vcc_lo, 0, v17, vcc_lo
	v_cmp_gt_i64_e32 vcc_lo, v[0:1], v[15:16]
	ds_load_b128 v[13:16], v62 offset:240
	v_cndmask_b32_e64 v19, 0, 1, vcc_lo
	s_waitcnt lgkmcnt(2)
	v_cmp_gt_i64_e32 vcc_lo, v[0:1], v[5:6]
	v_cndmask_b32_e64 v5, 0, 1, vcc_lo
	s_delay_alu instid0(VALU_DEP_3) | instskip(SKIP_3) | instid1(VALU_DEP_4)
	v_add_co_u32 v6, vcc_lo, v18, v19
	v_add_co_ci_u32_e32 v17, vcc_lo, 0, v17, vcc_lo
	v_cmp_gt_i64_e32 vcc_lo, v[0:1], v[7:8]
	v_cndmask_b32_e64 v7, 0, 1, vcc_lo
	v_add_co_u32 v5, vcc_lo, v6, v5
	s_delay_alu instid0(VALU_DEP_4)
	v_add_co_ci_u32_e32 v6, vcc_lo, 0, v17, vcc_lo
	s_waitcnt lgkmcnt(1)
	v_cmp_gt_i64_e32 vcc_lo, v[0:1], v[9:10]
	v_add_nc_u32_e32 v9, s1, v4
	v_cndmask_b32_e64 v8, 0, 1, vcc_lo
	v_add_co_u32 v5, vcc_lo, v5, v7
	v_add_co_ci_u32_e32 v6, vcc_lo, 0, v6, vcc_lo
	v_cmp_gt_i64_e32 vcc_lo, v[0:1], v[11:12]
	v_cndmask_b32_e64 v7, 0, 1, vcc_lo
	s_delay_alu instid0(VALU_DEP_4) | instskip(NEXT) | instid1(VALU_DEP_4)
	v_add_co_u32 v5, vcc_lo, v5, v8
	v_add_co_ci_u32_e32 v6, vcc_lo, 0, v6, vcc_lo
	s_waitcnt lgkmcnt(0)
	v_cmp_gt_i64_e32 vcc_lo, v[0:1], v[13:14]
	v_add_nc_u32_e32 v13, s2, v4
	v_cndmask_b32_e64 v8, 0, 1, vcc_lo
	v_add_co_u32 v5, vcc_lo, v5, v7
	v_add_co_ci_u32_e32 v6, vcc_lo, 0, v6, vcc_lo
	v_cmp_gt_i64_e32 vcc_lo, v[0:1], v[15:16]
	v_cndmask_b32_e64 v7, 0, 1, vcc_lo
	s_delay_alu instid0(VALU_DEP_4) | instskip(NEXT) | instid1(VALU_DEP_4)
	v_add_co_u32 v5, vcc_lo, v5, v8
	v_add_co_ci_u32_e32 v6, vcc_lo, 0, v6, vcc_lo
	s_delay_alu instid0(VALU_DEP_2) | instskip(NEXT) | instid1(VALU_DEP_2)
	v_add_co_u32 v21, vcc_lo, v5, v7
	v_add_co_ci_u32_e32 v22, vcc_lo, 0, v6, vcc_lo
	ds_load_2addr_b64 v[5:8], v4 offset1:1
	ds_load_2addr_b64 v[9:12], v9 offset1:1
	;; [unrolled: 1-line block ×3, first 2 shown]
	ds_load_2addr_b64 v[17:20], v4 offset0:6 offset1:7
	v_add_co_u32 v0, vcc_lo, v0, s26
	v_lshlrev_b64 v[23:24], 3, v[21:22]
	v_lshlrev_b64 v[21:22], 6, v[21:22]
	v_add_co_ci_u32_e32 v1, vcc_lo, 0, v1, vcc_lo
	s_delay_alu instid0(VALU_DEP_3) | instskip(NEXT) | instid1(VALU_DEP_4)
	v_add_co_u32 v23, vcc_lo, s28, v23
	v_add_co_ci_u32_e32 v24, vcc_lo, s29, v24, vcc_lo
	s_delay_alu instid0(VALU_DEP_4)
	v_add_co_u32 v21, vcc_lo, s30, v21
	v_add_co_ci_u32_e32 v22, vcc_lo, s31, v22, vcc_lo
	global_store_b64 v[23:24], v[0:1], off
	s_waitcnt lgkmcnt(3)
	global_store_b128 v[21:22], v[5:8], off
	s_waitcnt lgkmcnt(2)
	global_store_b128 v[21:22], v[9:12], off offset:16
	s_waitcnt lgkmcnt(1)
	global_store_b128 v[21:22], v[13:16], off offset:32
	;; [unrolled: 2-line block ×3, first 2 shown]
	s_branch .LBB149_187
.LBB149_190:
	s_nop 0
	s_sendmsg sendmsg(MSG_DEALLOC_VGPRS)
	s_endpgm
	.section	.rodata,"a",@progbits
	.p2align	6, 0x0
	.amdhsa_kernel _ZN9rocsparseL27bsrgemm_fill_wf_per_row_2x2ILj256ELj16ELj32ELj137Ell21rocsparse_complex_numIdEEEv20rocsparse_direction_T4_S4_PKS4_S6_NS_24const_host_device_scalarIT5_EEPKT3_S6_PKS8_SC_S6_SE_S9_SC_S6_SE_SC_PS4_PS8_21rocsparse_index_base_SH_SH_SH_bbb
		.amdhsa_group_segment_fixed_size 40960
		.amdhsa_private_segment_fixed_size 0
		.amdhsa_kernarg_size 188
		.amdhsa_user_sgpr_count 15
		.amdhsa_user_sgpr_dispatch_ptr 1
		.amdhsa_user_sgpr_queue_ptr 0
		.amdhsa_user_sgpr_kernarg_segment_ptr 1
		.amdhsa_user_sgpr_dispatch_id 0
		.amdhsa_user_sgpr_private_segment_size 0
		.amdhsa_wavefront_size32 1
		.amdhsa_uses_dynamic_stack 0
		.amdhsa_enable_private_segment 0
		.amdhsa_system_sgpr_workgroup_id_x 1
		.amdhsa_system_sgpr_workgroup_id_y 0
		.amdhsa_system_sgpr_workgroup_id_z 0
		.amdhsa_system_sgpr_workgroup_info 0
		.amdhsa_system_vgpr_workitem_id 2
		.amdhsa_next_free_vgpr 68
		.amdhsa_next_free_sgpr 48
		.amdhsa_reserve_vcc 1
		.amdhsa_float_round_mode_32 0
		.amdhsa_float_round_mode_16_64 0
		.amdhsa_float_denorm_mode_32 3
		.amdhsa_float_denorm_mode_16_64 3
		.amdhsa_dx10_clamp 1
		.amdhsa_ieee_mode 1
		.amdhsa_fp16_overflow 0
		.amdhsa_workgroup_processor_mode 1
		.amdhsa_memory_ordered 1
		.amdhsa_forward_progress 0
		.amdhsa_shared_vgpr_count 0
		.amdhsa_exception_fp_ieee_invalid_op 0
		.amdhsa_exception_fp_denorm_src 0
		.amdhsa_exception_fp_ieee_div_zero 0
		.amdhsa_exception_fp_ieee_overflow 0
		.amdhsa_exception_fp_ieee_underflow 0
		.amdhsa_exception_fp_ieee_inexact 0
		.amdhsa_exception_int_div_zero 0
	.end_amdhsa_kernel
	.section	.text._ZN9rocsparseL27bsrgemm_fill_wf_per_row_2x2ILj256ELj16ELj32ELj137Ell21rocsparse_complex_numIdEEEv20rocsparse_direction_T4_S4_PKS4_S6_NS_24const_host_device_scalarIT5_EEPKT3_S6_PKS8_SC_S6_SE_S9_SC_S6_SE_SC_PS4_PS8_21rocsparse_index_base_SH_SH_SH_bbb,"axG",@progbits,_ZN9rocsparseL27bsrgemm_fill_wf_per_row_2x2ILj256ELj16ELj32ELj137Ell21rocsparse_complex_numIdEEEv20rocsparse_direction_T4_S4_PKS4_S6_NS_24const_host_device_scalarIT5_EEPKT3_S6_PKS8_SC_S6_SE_S9_SC_S6_SE_SC_PS4_PS8_21rocsparse_index_base_SH_SH_SH_bbb,comdat
.Lfunc_end149:
	.size	_ZN9rocsparseL27bsrgemm_fill_wf_per_row_2x2ILj256ELj16ELj32ELj137Ell21rocsparse_complex_numIdEEEv20rocsparse_direction_T4_S4_PKS4_S6_NS_24const_host_device_scalarIT5_EEPKT3_S6_PKS8_SC_S6_SE_S9_SC_S6_SE_SC_PS4_PS8_21rocsparse_index_base_SH_SH_SH_bbb, .Lfunc_end149-_ZN9rocsparseL27bsrgemm_fill_wf_per_row_2x2ILj256ELj16ELj32ELj137Ell21rocsparse_complex_numIdEEEv20rocsparse_direction_T4_S4_PKS4_S6_NS_24const_host_device_scalarIT5_EEPKT3_S6_PKS8_SC_S6_SE_S9_SC_S6_SE_SC_PS4_PS8_21rocsparse_index_base_SH_SH_SH_bbb
                                        ; -- End function
	.section	.AMDGPU.csdata,"",@progbits
; Kernel info:
; codeLenInByte = 8044
; NumSgprs: 50
; NumVgprs: 68
; ScratchSize: 0
; MemoryBound: 0
; FloatMode: 240
; IeeeMode: 1
; LDSByteSize: 40960 bytes/workgroup (compile time only)
; SGPRBlocks: 6
; VGPRBlocks: 8
; NumSGPRsForWavesPerEU: 50
; NumVGPRsForWavesPerEU: 68
; Occupancy: 6
; WaveLimiterHint : 1
; COMPUTE_PGM_RSRC2:SCRATCH_EN: 0
; COMPUTE_PGM_RSRC2:USER_SGPR: 15
; COMPUTE_PGM_RSRC2:TRAP_HANDLER: 0
; COMPUTE_PGM_RSRC2:TGID_X_EN: 1
; COMPUTE_PGM_RSRC2:TGID_Y_EN: 0
; COMPUTE_PGM_RSRC2:TGID_Z_EN: 0
; COMPUTE_PGM_RSRC2:TIDIG_COMP_CNT: 2
	.section	.text._ZN9rocsparseL30bsrgemm_fill_block_per_row_2x2ILj256ELj16ELj64ELj137Ell21rocsparse_complex_numIdEEEv20rocsparse_direction_T4_S4_PKS4_S6_NS_24const_host_device_scalarIT5_EEPKT3_S6_PKS8_SC_S6_SE_S9_SC_S6_SE_SC_PS4_PS8_21rocsparse_index_base_SH_SH_SH_bbb,"axG",@progbits,_ZN9rocsparseL30bsrgemm_fill_block_per_row_2x2ILj256ELj16ELj64ELj137Ell21rocsparse_complex_numIdEEEv20rocsparse_direction_T4_S4_PKS4_S6_NS_24const_host_device_scalarIT5_EEPKT3_S6_PKS8_SC_S6_SE_S9_SC_S6_SE_SC_PS4_PS8_21rocsparse_index_base_SH_SH_SH_bbb,comdat
	.globl	_ZN9rocsparseL30bsrgemm_fill_block_per_row_2x2ILj256ELj16ELj64ELj137Ell21rocsparse_complex_numIdEEEv20rocsparse_direction_T4_S4_PKS4_S6_NS_24const_host_device_scalarIT5_EEPKT3_S6_PKS8_SC_S6_SE_S9_SC_S6_SE_SC_PS4_PS8_21rocsparse_index_base_SH_SH_SH_bbb ; -- Begin function _ZN9rocsparseL30bsrgemm_fill_block_per_row_2x2ILj256ELj16ELj64ELj137Ell21rocsparse_complex_numIdEEEv20rocsparse_direction_T4_S4_PKS4_S6_NS_24const_host_device_scalarIT5_EEPKT3_S6_PKS8_SC_S6_SE_S9_SC_S6_SE_SC_PS4_PS8_21rocsparse_index_base_SH_SH_SH_bbb
	.p2align	8
	.type	_ZN9rocsparseL30bsrgemm_fill_block_per_row_2x2ILj256ELj16ELj64ELj137Ell21rocsparse_complex_numIdEEEv20rocsparse_direction_T4_S4_PKS4_S6_NS_24const_host_device_scalarIT5_EEPKT3_S6_PKS8_SC_S6_SE_S9_SC_S6_SE_SC_PS4_PS8_21rocsparse_index_base_SH_SH_SH_bbb,@function
_ZN9rocsparseL30bsrgemm_fill_block_per_row_2x2ILj256ELj16ELj64ELj137Ell21rocsparse_complex_numIdEEEv20rocsparse_direction_T4_S4_PKS4_S6_NS_24const_host_device_scalarIT5_EEPKT3_S6_PKS8_SC_S6_SE_S9_SC_S6_SE_SC_PS4_PS8_21rocsparse_index_base_SH_SH_SH_bbb: ; @_ZN9rocsparseL30bsrgemm_fill_block_per_row_2x2ILj256ELj16ELj64ELj137Ell21rocsparse_complex_numIdEEEv20rocsparse_direction_T4_S4_PKS4_S6_NS_24const_host_device_scalarIT5_EEPKT3_S6_PKS8_SC_S6_SE_S9_SC_S6_SE_SC_PS4_PS8_21rocsparse_index_base_SH_SH_SH_bbb
; %bb.0:
	s_clause 0x2
	s_load_b32 s13, s[0:1], 0xb8
	s_load_b128 s[8:11], s[0:1], 0x28
	s_load_b128 s[4:7], s[0:1], 0x68
	v_mov_b32_e32 v17, 0
	v_mov_b32_e32 v18, 0
	s_mov_b32 s16, s15
	s_waitcnt lgkmcnt(0)
	s_bitcmp1_b32 s13, 0
	v_mov_b32_e32 v1, s8
	s_cselect_b32 s20, -1, 0
	s_bitcmp1_b32 s13, 16
	v_dual_mov_b32 v22, v18 :: v_dual_mov_b32 v21, v17
	s_cselect_b32 s2, -1, 0
	v_mov_b32_e32 v2, s9
	s_xor_b32 s12, s2, -1
	v_dual_mov_b32 v24, v18 :: v_dual_mov_b32 v23, v17
	v_cndmask_b32_e64 v5, 0, 1, s12
	v_dual_mov_b32 v3, s4 :: v_dual_mov_b32 v4, s5
	s_bitcmp0_b32 s13, 0
	s_clause 0x1
	scratch_store_b64 off, v[1:2], off
	scratch_store_b64 off, v[3:4], off offset:8
	v_cmp_ne_u32_e32 vcc_lo, 1, v5
	s_cbranch_scc1 .LBB150_3
; %bb.1:
	s_mov_b64 s[14:15], src_private_base
	s_and_b32 s3, s2, exec_lo
	s_cselect_b32 s3, s15, s9
	s_delay_alu instid0(SALU_CYCLE_1) | instskip(SKIP_2) | instid1(VALU_DEP_2)
	v_dual_mov_b32 v1, 0 :: v_dual_mov_b32 v2, s3
	v_dual_mov_b32 v24, s11 :: v_dual_mov_b32 v23, s10
	s_and_b32 vcc_lo, exec_lo, vcc_lo
	v_cndmask_b32_e64 v1, s8, v1, s2
	flat_load_b64 v[21:22], v[1:2]
	s_cbranch_vccnz .LBB150_3
; %bb.2:
	v_dual_mov_b32 v1, s8 :: v_dual_mov_b32 v2, s9
	flat_load_b64 v[23:24], v[1:2] offset:8
.LBB150_3:
	s_bitcmp1_b32 s13, 8
	v_dual_mov_b32 v20, v18 :: v_dual_mov_b32 v19, v17
	s_cselect_b32 s3, -1, 0
	s_bfe_u32 s8, s13, 0x10008
	s_delay_alu instid0(SALU_CYCLE_1)
	s_cmp_eq_u32 s8, 0
	s_cbranch_scc1 .LBB150_6
; %bb.4:
	s_mov_b64 s[8:9], src_private_base
	s_and_b32 s8, s2, exec_lo
	s_cselect_b32 s8, s9, s5
	s_delay_alu instid0(SALU_CYCLE_1) | instskip(SKIP_2) | instid1(VALU_DEP_2)
	v_dual_mov_b32 v1, 8 :: v_dual_mov_b32 v2, s8
	v_dual_mov_b32 v18, s7 :: v_dual_mov_b32 v17, s6
	s_and_not1_b32 vcc_lo, exec_lo, s12
	v_cndmask_b32_e64 v1, s4, v1, s2
	flat_load_b64 v[19:20], v[1:2]
	s_cbranch_vccnz .LBB150_6
; %bb.5:
	v_dual_mov_b32 v1, s4 :: v_dual_mov_b32 v2, s5
	flat_load_b64 v[17:18], v[1:2] offset:8
.LBB150_6:
	s_load_b64 s[18:19], s[0:1], 0x10
	v_cmp_gt_u32_e64 s2, 64, v0
	v_lshl_add_u32 v57, v0, 3, 0
	s_delay_alu instid0(VALU_DEP_2)
	s_and_saveexec_b32 s4, s2
	s_cbranch_execz .LBB150_8
; %bb.7:
	s_waitcnt lgkmcnt(0)
	v_dual_mov_b32 v1, s18 :: v_dual_mov_b32 v2, s19
	ds_store_b64 v57, v[1:2]
.LBB150_8:
	s_or_b32 exec_lo, exec_lo, s4
	s_clause 0x1
	s_load_b128 s[12:15], s[0:1], 0xa8
	s_load_b64 s[4:5], s[0:1], 0x20
	s_mov_b32 s6, exec_lo
	v_cmpx_gt_u32_e32 0x100, v0
	s_cbranch_execz .LBB150_10
; %bb.9:
	s_mov_b32 s8, 0
	v_lshl_add_u32 v5, v0, 4, 0
	s_mov_b32 s9, s8
	s_mov_b32 s10, s8
	;; [unrolled: 1-line block ×3, first 2 shown]
	v_dual_mov_b32 v1, s8 :: v_dual_mov_b32 v2, s9
	v_dual_mov_b32 v3, s10 :: v_dual_mov_b32 v4, s11
	ds_store_2addr_b64 v5, v[1:2], v[3:4] offset0:64 offset1:65
.LBB150_10:
	s_or_b32 exec_lo, exec_lo, s6
	s_waitcnt lgkmcnt(0)
	s_cmp_eq_u64 s[4:5], 0
	s_mov_b32 s17, 0
	s_waitcnt vmcnt(0)
	s_waitcnt_vscnt null, 0x0
	s_barrier
	buffer_gl0_inv
	s_cbranch_scc1 .LBB150_12
; %bb.11:
	s_load_b64 s[6:7], s[0:1], 0x18
	s_waitcnt lgkmcnt(0)
	s_load_b64 s[6:7], s[6:7], 0x0
	s_waitcnt lgkmcnt(0)
	s_lshl_b64 s[6:7], s[6:7], 3
	s_delay_alu instid0(SALU_CYCLE_1) | instskip(SKIP_2) | instid1(SALU_CYCLE_1)
	s_add_u32 s6, s4, s6
	s_addc_u32 s7, s5, s7
	s_lshl_b64 s[4:5], s[16:17], 3
	s_add_u32 s4, s6, s4
	s_addc_u32 s5, s7, s5
	s_load_b64 s[16:17], s[4:5], 0x0
.LBB150_12:
	s_load_b32 s24, s[0:1], 0x0
	s_and_not1_b32 vcc_lo, exec_lo, s20
	s_cbranch_vccnz .LBB150_100
; %bb.13:
	s_load_b64 s[4:5], s[0:1], 0x38
	s_waitcnt lgkmcnt(0)
	s_lshl_b64 s[6:7], s[16:17], 3
	v_lshrrev_b32_e32 v1, 4, v0
	s_mov_b32 s26, 0
	s_mov_b32 s25, exec_lo
	s_delay_alu instid0(VALU_DEP_1) | instskip(NEXT) | instid1(VALU_DEP_1)
	v_sub_co_u32 v1, s8, v1, s12
	v_sub_co_ci_u32_e64 v2, null, 0, 0, s8
	s_add_u32 s4, s4, s6
	s_addc_u32 s5, s5, s7
	s_load_b128 s[4:7], s[4:5], 0x0
	s_waitcnt lgkmcnt(0)
	v_add_co_u32 v25, vcc_lo, s4, v1
	v_add_co_ci_u32_e32 v26, vcc_lo, s5, v2, vcc_lo
	s_sub_u32 s20, s6, s12
	s_subb_u32 s21, s7, 0
	s_delay_alu instid0(VALU_DEP_1) | instid1(SALU_CYCLE_1)
	v_cmpx_gt_i64_e64 s[20:21], v[25:26]
	s_cbranch_execz .LBB150_99
; %bb.14:
	s_clause 0x1
	s_load_b64 s[22:23], s[0:1], 0x60
	s_load_b256 s[4:11], s[0:1], 0x40
	v_and_b32_e32 v1, 15, v0
	s_cmp_eq_u32 s24, 0
	s_cselect_b32 s28, 2, 1
	s_delay_alu instid0(VALU_DEP_1) | instskip(NEXT) | instid1(VALU_DEP_1)
	v_sub_co_u32 v58, s27, v1, s13
	v_sub_co_ci_u32_e64 v59, null, 0, 0, s27
	s_cselect_b32 s27, 1, 2
	s_branch .LBB150_16
.LBB150_15:                             ;   in Loop: Header=BB150_16 Depth=1
	s_or_b32 exec_lo, exec_lo, s29
	v_add_co_u32 v25, vcc_lo, v25, 16
	v_add_co_ci_u32_e32 v26, vcc_lo, 0, v26, vcc_lo
	s_delay_alu instid0(VALU_DEP_1) | instskip(SKIP_1) | instid1(SALU_CYCLE_1)
	v_cmp_le_i64_e32 vcc_lo, s[20:21], v[25:26]
	s_or_b32 s26, vcc_lo, s26
	s_and_not1_b32 exec_lo, exec_lo, s26
	s_cbranch_execz .LBB150_99
.LBB150_16:                             ; =>This Loop Header: Depth=1
                                        ;     Child Loop BB150_19 Depth 2
                                        ;       Child Loop BB150_21 Depth 3
                                        ;         Child Loop BB150_27 Depth 4
                                        ;         Child Loop BB150_29 Depth 4
                                        ;         Child Loop BB150_35 Depth 4
                                        ;         Child Loop BB150_37 Depth 4
                                        ;       Child Loop BB150_41 Depth 3
                                        ;         Child Loop BB150_47 Depth 4
                                        ;         Child Loop BB150_49 Depth 4
                                        ;         Child Loop BB150_55 Depth 4
                                        ;         Child Loop BB150_57 Depth 4
	;; [unrolled: 5-line block ×4, first 2 shown]
	v_lshlrev_b64 v[1:2], 3, v[25:26]
	s_mov_b32 s29, exec_lo
	s_waitcnt lgkmcnt(0)
	s_delay_alu instid0(VALU_DEP_1) | instskip(NEXT) | instid1(VALU_DEP_2)
	v_add_co_u32 v1, vcc_lo, s4, v1
	v_add_co_ci_u32_e32 v2, vcc_lo, s5, v2, vcc_lo
	global_load_b64 v[1:2], v[1:2], off
	s_waitcnt vmcnt(0)
	v_sub_co_u32 v1, vcc_lo, v1, s12
	v_subrev_co_ci_u32_e32 v2, vcc_lo, 0, v2, vcc_lo
	s_delay_alu instid0(VALU_DEP_1) | instskip(NEXT) | instid1(VALU_DEP_1)
	v_lshlrev_b64 v[1:2], 3, v[1:2]
	v_add_co_u32 v1, vcc_lo, s8, v1
	s_delay_alu instid0(VALU_DEP_2)
	v_add_co_ci_u32_e32 v2, vcc_lo, s9, v2, vcc_lo
	global_load_b128 v[1:4], v[1:2], off
	s_waitcnt vmcnt(0)
	v_sub_co_u32 v27, vcc_lo, v3, s13
	v_subrev_co_ci_u32_e32 v28, vcc_lo, 0, v4, vcc_lo
	v_add_co_u32 v29, vcc_lo, v1, v58
	v_add_co_ci_u32_e32 v30, vcc_lo, v2, v59, vcc_lo
	s_delay_alu instid0(VALU_DEP_1)
	v_cmpx_lt_i64_e64 v[29:30], v[27:28]
	s_cbranch_execz .LBB150_15
; %bb.17:                               ;   in Loop: Header=BB150_16 Depth=1
	v_lshlrev_b64 v[1:2], 2, v[25:26]
	v_lshlrev_b64 v[3:4], 6, v[25:26]
	s_mov_b32 s30, 0
	s_delay_alu instid0(VALU_DEP_2) | instskip(NEXT) | instid1(VALU_DEP_3)
	v_or_b32_e32 v6, 0, v2
	v_or_b32_e32 v5, s27, v1
	;; [unrolled: 1-line block ×4, first 2 shown]
	v_add_co_u32 v7, vcc_lo, s6, v3
	s_delay_alu instid0(VALU_DEP_4) | instskip(SKIP_1) | instid1(VALU_DEP_4)
	v_lshlrev_b64 v[5:6], 4, v[5:6]
	v_add_co_ci_u32_e32 v8, vcc_lo, s7, v4, vcc_lo
	v_lshlrev_b64 v[9:10], 4, v[9:10]
	global_load_b128 v[1:4], v[7:8], off
	v_add_co_u32 v11, vcc_lo, s6, v5
	v_add_co_ci_u32_e32 v12, vcc_lo, s7, v6, vcc_lo
	v_add_co_u32 v13, vcc_lo, s6, v9
	v_add_co_ci_u32_e32 v14, vcc_lo, s7, v10, vcc_lo
	s_clause 0x2
	global_load_b128 v[5:8], v[7:8], off offset:48
	global_load_b128 v[9:12], v[11:12], off
	global_load_b128 v[13:16], v[13:14], off
	s_waitcnt vmcnt(3)
	v_mul_f64 v[31:32], v[3:4], -v[23:24]
	v_mul_f64 v[3:4], v[21:22], v[3:4]
	s_waitcnt vmcnt(2)
	v_mul_f64 v[35:36], v[7:8], -v[23:24]
	v_mul_f64 v[7:8], v[21:22], v[7:8]
	;; [unrolled: 3-line block ×4, first 2 shown]
	v_fma_f64 v[31:32], v[21:22], v[1:2], v[31:32]
	v_fma_f64 v[33:34], v[23:24], v[1:2], v[3:4]
	;; [unrolled: 1-line block ×8, first 2 shown]
	s_branch .LBB150_19
.LBB150_18:                             ;   in Loop: Header=BB150_19 Depth=2
	s_or_b32 exec_lo, exec_lo, s31
	v_add_co_u32 v29, vcc_lo, v29, 16
	v_add_co_ci_u32_e32 v30, vcc_lo, 0, v30, vcc_lo
	s_delay_alu instid0(VALU_DEP_1) | instskip(SKIP_1) | instid1(SALU_CYCLE_1)
	v_cmp_ge_i64_e32 vcc_lo, v[29:30], v[27:28]
	s_or_b32 s30, vcc_lo, s30
	s_and_not1_b32 exec_lo, exec_lo, s30
	s_cbranch_execz .LBB150_15
.LBB150_19:                             ;   Parent Loop BB150_16 Depth=1
                                        ; =>  This Loop Header: Depth=2
                                        ;       Child Loop BB150_21 Depth 3
                                        ;         Child Loop BB150_27 Depth 4
                                        ;         Child Loop BB150_29 Depth 4
                                        ;         Child Loop BB150_35 Depth 4
                                        ;         Child Loop BB150_37 Depth 4
                                        ;       Child Loop BB150_41 Depth 3
                                        ;         Child Loop BB150_47 Depth 4
                                        ;         Child Loop BB150_49 Depth 4
                                        ;         Child Loop BB150_55 Depth 4
                                        ;         Child Loop BB150_57 Depth 4
                                        ;       Child Loop BB150_61 Depth 3
                                        ;         Child Loop BB150_67 Depth 4
                                        ;         Child Loop BB150_69 Depth 4
                                        ;         Child Loop BB150_75 Depth 4
                                        ;         Child Loop BB150_77 Depth 4
                                        ;       Child Loop BB150_81 Depth 3
                                        ;         Child Loop BB150_87 Depth 4
                                        ;         Child Loop BB150_89 Depth 4
                                        ;         Child Loop BB150_95 Depth 4
                                        ;         Child Loop BB150_97 Depth 4
	v_lshlrev_b64 v[1:2], 2, v[29:30]
	s_mov_b32 s31, 0
	s_delay_alu instid0(VALU_DEP_1) | instskip(NEXT) | instid1(VALU_DEP_2)
	v_or_b32_e32 v4, 0, v2
	v_or_b32_e32 v3, s28, v1
	;; [unrolled: 1-line block ×4, first 2 shown]
	s_delay_alu instid0(VALU_DEP_3) | instskip(NEXT) | instid1(VALU_DEP_2)
	v_lshlrev_b64 v[3:4], 4, v[3:4]
	v_lshlrev_b64 v[1:2], 4, v[1:2]
	s_delay_alu instid0(VALU_DEP_2) | instskip(NEXT) | instid1(VALU_DEP_3)
	v_add_co_u32 v3, vcc_lo, s22, v3
	v_add_co_ci_u32_e32 v4, vcc_lo, s23, v4, vcc_lo
	global_load_b128 v[13:16], v[3:4], off
	v_lshlrev_b64 v[3:4], 6, v[29:30]
	s_delay_alu instid0(VALU_DEP_1) | instskip(NEXT) | instid1(VALU_DEP_2)
	v_add_co_u32 v5, vcc_lo, s22, v3
	v_add_co_ci_u32_e32 v6, vcc_lo, s23, v4, vcc_lo
	v_lshlrev_b64 v[3:4], 3, v[29:30]
	global_load_b128 v[9:12], v[5:6], off
	v_add_co_u32 v3, vcc_lo, s10, v3
	v_add_co_ci_u32_e32 v4, vcc_lo, s11, v4, vcc_lo
	v_add_co_u32 v1, vcc_lo, s22, v1
	v_add_co_ci_u32_e32 v2, vcc_lo, s23, v2, vcc_lo
	global_load_b64 v[47:48], v[3:4], off
	s_clause 0x1
	global_load_b128 v[1:4], v[1:2], off
	global_load_b128 v[5:8], v[5:6], off offset:48
	s_waitcnt vmcnt(4)
	v_mul_f64 v[49:50], v[15:16], -v[41:42]
	v_mul_f64 v[51:52], v[39:40], v[15:16]
	s_waitcnt vmcnt(2)
	v_sub_co_u32 v47, vcc_lo, v47, s13
	v_subrev_co_ci_u32_e32 v48, vcc_lo, 0, v48, vcc_lo
	s_delay_alu instid0(VALU_DEP_4) | instskip(NEXT) | instid1(VALU_DEP_4)
	v_fma_f64 v[49:50], v[39:40], v[13:14], v[49:50]
	v_fma_f64 v[51:52], v[41:42], v[13:14], v[51:52]
	s_delay_alu instid0(VALU_DEP_2) | instskip(NEXT) | instid1(VALU_DEP_2)
	v_fma_f64 v[49:50], v[31:32], v[9:10], v[49:50]
	v_fma_f64 v[52:53], v[33:34], v[9:10], v[51:52]
	s_delay_alu instid0(VALU_DEP_2) | instskip(NEXT) | instid1(VALU_DEP_2)
	v_fma_f64 v[50:51], -v[33:34], v[11:12], v[49:50]
	v_fma_f64 v[52:53], v[31:32], v[11:12], v[52:53]
	v_lshl_add_u32 v49, v47, 3, v47
	s_delay_alu instid0(VALU_DEP_1) | instskip(NEXT) | instid1(VALU_DEP_1)
	v_and_b32_e32 v49, 63, v49
	v_dual_mov_b32 v55, v50 :: v_dual_mov_b32 v54, v49
	s_branch .LBB150_21
.LBB150_20:                             ;   in Loop: Header=BB150_21 Depth=3
	s_or_b32 exec_lo, exec_lo, s33
	s_xor_b32 s33, s34, -1
	s_delay_alu instid0(SALU_CYCLE_1) | instskip(NEXT) | instid1(SALU_CYCLE_1)
	s_and_b32 s33, exec_lo, s33
	s_or_b32 s31, s33, s31
	s_delay_alu instid0(SALU_CYCLE_1)
	s_and_not1_b32 exec_lo, exec_lo, s31
	s_cbranch_execz .LBB150_39
.LBB150_21:                             ;   Parent Loop BB150_16 Depth=1
                                        ;     Parent Loop BB150_19 Depth=2
                                        ; =>    This Loop Header: Depth=3
                                        ;         Child Loop BB150_27 Depth 4
                                        ;         Child Loop BB150_29 Depth 4
	;; [unrolled: 1-line block ×4, first 2 shown]
	s_delay_alu instid0(VALU_DEP_1)
	v_lshl_add_u32 v60, v54, 3, 0
	s_mov_b32 s33, exec_lo
                                        ; implicit-def: $sgpr34
	ds_load_b64 v[55:56], v60
	s_waitcnt lgkmcnt(0)
	v_cmpx_ne_u64_e64 v[55:56], v[47:48]
	s_xor_b32 s33, exec_lo, s33
	s_cbranch_execz .LBB150_33
; %bb.22:                               ;   in Loop: Header=BB150_21 Depth=3
	s_mov_b32 s35, exec_lo
                                        ; implicit-def: $sgpr34
	v_cmpx_ne_u64_e64 s[18:19], v[55:56]
	s_xor_b32 s35, exec_lo, s35
; %bb.23:                               ;   in Loop: Header=BB150_21 Depth=3
	v_add_nc_u32_e32 v54, 1, v54
	s_mov_b32 s34, -1
                                        ; implicit-def: $vgpr60
	s_delay_alu instid0(VALU_DEP_1)
	v_and_b32_e32 v54, 63, v54
; %bb.24:                               ;   in Loop: Header=BB150_21 Depth=3
	s_and_not1_saveexec_b32 s35, s35
	s_cbranch_execz .LBB150_32
; %bb.25:                               ;   in Loop: Header=BB150_21 Depth=3
	v_dual_mov_b32 v56, s19 :: v_dual_mov_b32 v55, s18
	s_mov_b32 s37, -1
	s_mov_b32 s36, exec_lo
	ds_cmpstore_rtn_b64 v[55:56], v60, v[47:48], v[55:56]
	s_waitcnt lgkmcnt(0)
	v_cmpx_eq_u64_e64 s[18:19], v[55:56]
	s_cbranch_execz .LBB150_31
; %bb.26:                               ;   in Loop: Header=BB150_21 Depth=3
	v_mul_lo_u32 v55, v54, 56
	s_mov_b32 s37, 0
	s_delay_alu instid0(VALU_DEP_1)
	v_add_nc_u32_e32 v60, v60, v55
	ds_load_b64 v[55:56], v60 offset:512
.LBB150_27:                             ;   Parent Loop BB150_16 Depth=1
                                        ;     Parent Loop BB150_19 Depth=2
                                        ;       Parent Loop BB150_21 Depth=3
                                        ; =>      This Inner Loop Header: Depth=4
	s_waitcnt lgkmcnt(0)
	v_add_f64 v[61:62], v[55:56], v[50:51]
	ds_cmpstore_rtn_b64 v[61:62], v60, v[61:62], v[55:56] offset:512
	s_waitcnt lgkmcnt(0)
	v_cmp_eq_u64_e32 vcc_lo, v[61:62], v[55:56]
	v_dual_mov_b32 v55, v61 :: v_dual_mov_b32 v56, v62
	s_or_b32 s37, vcc_lo, s37
	s_delay_alu instid0(SALU_CYCLE_1)
	s_and_not1_b32 exec_lo, exec_lo, s37
	s_cbranch_execnz .LBB150_27
; %bb.28:                               ;   in Loop: Header=BB150_21 Depth=3
	s_or_b32 exec_lo, exec_lo, s37
	ds_load_b64 v[55:56], v60 offset:520
	s_mov_b32 s37, 0
.LBB150_29:                             ;   Parent Loop BB150_16 Depth=1
                                        ;     Parent Loop BB150_19 Depth=2
                                        ;       Parent Loop BB150_21 Depth=3
                                        ; =>      This Inner Loop Header: Depth=4
	s_waitcnt lgkmcnt(0)
	v_add_f64 v[61:62], v[55:56], v[52:53]
	ds_cmpstore_rtn_b64 v[61:62], v60, v[61:62], v[55:56] offset:520
	s_waitcnt lgkmcnt(0)
	v_cmp_eq_u64_e32 vcc_lo, v[61:62], v[55:56]
	v_dual_mov_b32 v55, v61 :: v_dual_mov_b32 v56, v62
	s_or_b32 s37, vcc_lo, s37
	s_delay_alu instid0(SALU_CYCLE_1)
	s_and_not1_b32 exec_lo, exec_lo, s37
	s_cbranch_execnz .LBB150_29
; %bb.30:                               ;   in Loop: Header=BB150_21 Depth=3
	s_or_b32 exec_lo, exec_lo, s37
	s_delay_alu instid0(SALU_CYCLE_1)
	s_xor_b32 s37, exec_lo, -1
.LBB150_31:                             ;   in Loop: Header=BB150_21 Depth=3
	s_or_b32 exec_lo, exec_lo, s36
	s_delay_alu instid0(SALU_CYCLE_1) | instskip(SKIP_1) | instid1(SALU_CYCLE_1)
	s_and_not1_b32 s34, s34, exec_lo
	s_and_b32 s36, s37, exec_lo
	s_or_b32 s34, s34, s36
.LBB150_32:                             ;   in Loop: Header=BB150_21 Depth=3
	s_or_b32 exec_lo, exec_lo, s35
	s_delay_alu instid0(SALU_CYCLE_1)
	s_and_b32 s34, s34, exec_lo
                                        ; implicit-def: $vgpr60
.LBB150_33:                             ;   in Loop: Header=BB150_21 Depth=3
	s_and_not1_saveexec_b32 s33, s33
	s_cbranch_execz .LBB150_20
; %bb.34:                               ;   in Loop: Header=BB150_21 Depth=3
	v_mul_lo_u32 v55, v54, 56
	s_mov_b32 s35, 0
	s_delay_alu instid0(VALU_DEP_1)
	v_add_nc_u32_e32 v60, v60, v55
	ds_load_b64 v[55:56], v60 offset:512
.LBB150_35:                             ;   Parent Loop BB150_16 Depth=1
                                        ;     Parent Loop BB150_19 Depth=2
                                        ;       Parent Loop BB150_21 Depth=3
                                        ; =>      This Inner Loop Header: Depth=4
	s_waitcnt lgkmcnt(0)
	v_add_f64 v[61:62], v[55:56], v[50:51]
	ds_cmpstore_rtn_b64 v[61:62], v60, v[61:62], v[55:56] offset:512
	s_waitcnt lgkmcnt(0)
	v_cmp_eq_u64_e32 vcc_lo, v[61:62], v[55:56]
	v_dual_mov_b32 v55, v61 :: v_dual_mov_b32 v56, v62
	s_or_b32 s35, vcc_lo, s35
	s_delay_alu instid0(SALU_CYCLE_1)
	s_and_not1_b32 exec_lo, exec_lo, s35
	s_cbranch_execnz .LBB150_35
; %bb.36:                               ;   in Loop: Header=BB150_21 Depth=3
	s_or_b32 exec_lo, exec_lo, s35
	ds_load_b64 v[55:56], v60 offset:520
	s_mov_b32 s35, 0
.LBB150_37:                             ;   Parent Loop BB150_16 Depth=1
                                        ;     Parent Loop BB150_19 Depth=2
                                        ;       Parent Loop BB150_21 Depth=3
                                        ; =>      This Inner Loop Header: Depth=4
	s_waitcnt lgkmcnt(0)
	v_add_f64 v[61:62], v[55:56], v[52:53]
	ds_cmpstore_rtn_b64 v[61:62], v60, v[61:62], v[55:56] offset:520
	s_waitcnt lgkmcnt(0)
	v_cmp_eq_u64_e32 vcc_lo, v[61:62], v[55:56]
	v_dual_mov_b32 v55, v61 :: v_dual_mov_b32 v56, v62
	s_or_b32 s35, vcc_lo, s35
	s_delay_alu instid0(SALU_CYCLE_1)
	s_and_not1_b32 exec_lo, exec_lo, s35
	s_cbranch_execnz .LBB150_37
; %bb.38:                               ;   in Loop: Header=BB150_21 Depth=3
	s_or_b32 exec_lo, exec_lo, s35
	s_delay_alu instid0(SALU_CYCLE_1)
	s_and_not1_b32 s34, s34, exec_lo
	s_branch .LBB150_20
.LBB150_39:                             ;   in Loop: Header=BB150_19 Depth=2
	s_or_b32 exec_lo, exec_lo, s31
	s_waitcnt vmcnt(0)
	v_mul_f64 v[50:51], v[7:8], -v[41:42]
	v_mul_f64 v[52:53], v[39:40], v[7:8]
	s_mov_b32 s31, 0
	s_delay_alu instid0(VALU_DEP_2) | instskip(NEXT) | instid1(VALU_DEP_2)
	v_fma_f64 v[50:51], v[39:40], v[5:6], v[50:51]
	v_fma_f64 v[52:53], v[41:42], v[5:6], v[52:53]
	s_delay_alu instid0(VALU_DEP_2) | instskip(NEXT) | instid1(VALU_DEP_2)
	v_fma_f64 v[50:51], v[31:32], v[1:2], v[50:51]
	v_fma_f64 v[52:53], v[33:34], v[1:2], v[52:53]
	s_delay_alu instid0(VALU_DEP_2) | instskip(NEXT) | instid1(VALU_DEP_2)
	v_fma_f64 v[50:51], -v[33:34], v[3:4], v[50:51]
	v_fma_f64 v[52:53], v[31:32], v[3:4], v[52:53]
	s_delay_alu instid0(VALU_DEP_2)
	v_dual_mov_b32 v55, v50 :: v_dual_mov_b32 v54, v49
	s_branch .LBB150_41
.LBB150_40:                             ;   in Loop: Header=BB150_41 Depth=3
	s_or_b32 exec_lo, exec_lo, s33
	s_xor_b32 s33, s34, -1
	s_delay_alu instid0(SALU_CYCLE_1) | instskip(NEXT) | instid1(SALU_CYCLE_1)
	s_and_b32 s33, exec_lo, s33
	s_or_b32 s31, s33, s31
	s_delay_alu instid0(SALU_CYCLE_1)
	s_and_not1_b32 exec_lo, exec_lo, s31
	s_cbranch_execz .LBB150_59
.LBB150_41:                             ;   Parent Loop BB150_16 Depth=1
                                        ;     Parent Loop BB150_19 Depth=2
                                        ; =>    This Loop Header: Depth=3
                                        ;         Child Loop BB150_47 Depth 4
                                        ;         Child Loop BB150_49 Depth 4
	;; [unrolled: 1-line block ×4, first 2 shown]
	s_delay_alu instid0(VALU_DEP_1)
	v_lshl_add_u32 v60, v54, 3, 0
	s_mov_b32 s33, exec_lo
                                        ; implicit-def: $sgpr34
	ds_load_b64 v[55:56], v60
	s_waitcnt lgkmcnt(0)
	v_cmpx_ne_u64_e64 v[55:56], v[47:48]
	s_xor_b32 s33, exec_lo, s33
	s_cbranch_execz .LBB150_53
; %bb.42:                               ;   in Loop: Header=BB150_41 Depth=3
	s_mov_b32 s35, exec_lo
                                        ; implicit-def: $sgpr34
	v_cmpx_ne_u64_e64 s[18:19], v[55:56]
	s_xor_b32 s35, exec_lo, s35
; %bb.43:                               ;   in Loop: Header=BB150_41 Depth=3
	v_add_nc_u32_e32 v54, 1, v54
	s_mov_b32 s34, -1
                                        ; implicit-def: $vgpr60
	s_delay_alu instid0(VALU_DEP_1)
	v_and_b32_e32 v54, 63, v54
; %bb.44:                               ;   in Loop: Header=BB150_41 Depth=3
	s_and_not1_saveexec_b32 s35, s35
	s_cbranch_execz .LBB150_52
; %bb.45:                               ;   in Loop: Header=BB150_41 Depth=3
	v_dual_mov_b32 v56, s19 :: v_dual_mov_b32 v55, s18
	s_mov_b32 s37, -1
	s_mov_b32 s36, exec_lo
	ds_cmpstore_rtn_b64 v[55:56], v60, v[47:48], v[55:56]
	s_waitcnt lgkmcnt(0)
	v_cmpx_eq_u64_e64 s[18:19], v[55:56]
	s_cbranch_execz .LBB150_51
; %bb.46:                               ;   in Loop: Header=BB150_41 Depth=3
	v_mul_lo_u32 v55, v54, 56
	s_mov_b32 s37, 0
	s_delay_alu instid0(VALU_DEP_1)
	v_add_nc_u32_e32 v60, v60, v55
	ds_load_b64 v[55:56], v60 offset:528
.LBB150_47:                             ;   Parent Loop BB150_16 Depth=1
                                        ;     Parent Loop BB150_19 Depth=2
                                        ;       Parent Loop BB150_41 Depth=3
                                        ; =>      This Inner Loop Header: Depth=4
	s_waitcnt lgkmcnt(0)
	v_add_f64 v[61:62], v[55:56], v[50:51]
	ds_cmpstore_rtn_b64 v[61:62], v60, v[61:62], v[55:56] offset:528
	s_waitcnt lgkmcnt(0)
	v_cmp_eq_u64_e32 vcc_lo, v[61:62], v[55:56]
	v_dual_mov_b32 v55, v61 :: v_dual_mov_b32 v56, v62
	s_or_b32 s37, vcc_lo, s37
	s_delay_alu instid0(SALU_CYCLE_1)
	s_and_not1_b32 exec_lo, exec_lo, s37
	s_cbranch_execnz .LBB150_47
; %bb.48:                               ;   in Loop: Header=BB150_41 Depth=3
	s_or_b32 exec_lo, exec_lo, s37
	ds_load_b64 v[55:56], v60 offset:536
	s_mov_b32 s37, 0
.LBB150_49:                             ;   Parent Loop BB150_16 Depth=1
                                        ;     Parent Loop BB150_19 Depth=2
                                        ;       Parent Loop BB150_41 Depth=3
                                        ; =>      This Inner Loop Header: Depth=4
	s_waitcnt lgkmcnt(0)
	v_add_f64 v[61:62], v[55:56], v[52:53]
	ds_cmpstore_rtn_b64 v[61:62], v60, v[61:62], v[55:56] offset:536
	s_waitcnt lgkmcnt(0)
	v_cmp_eq_u64_e32 vcc_lo, v[61:62], v[55:56]
	v_dual_mov_b32 v55, v61 :: v_dual_mov_b32 v56, v62
	s_or_b32 s37, vcc_lo, s37
	s_delay_alu instid0(SALU_CYCLE_1)
	s_and_not1_b32 exec_lo, exec_lo, s37
	s_cbranch_execnz .LBB150_49
; %bb.50:                               ;   in Loop: Header=BB150_41 Depth=3
	s_or_b32 exec_lo, exec_lo, s37
	s_delay_alu instid0(SALU_CYCLE_1)
	s_xor_b32 s37, exec_lo, -1
.LBB150_51:                             ;   in Loop: Header=BB150_41 Depth=3
	s_or_b32 exec_lo, exec_lo, s36
	s_delay_alu instid0(SALU_CYCLE_1) | instskip(SKIP_1) | instid1(SALU_CYCLE_1)
	s_and_not1_b32 s34, s34, exec_lo
	s_and_b32 s36, s37, exec_lo
	s_or_b32 s34, s34, s36
.LBB150_52:                             ;   in Loop: Header=BB150_41 Depth=3
	s_or_b32 exec_lo, exec_lo, s35
	s_delay_alu instid0(SALU_CYCLE_1)
	s_and_b32 s34, s34, exec_lo
                                        ; implicit-def: $vgpr60
.LBB150_53:                             ;   in Loop: Header=BB150_41 Depth=3
	s_and_not1_saveexec_b32 s33, s33
	s_cbranch_execz .LBB150_40
; %bb.54:                               ;   in Loop: Header=BB150_41 Depth=3
	v_mul_lo_u32 v55, v54, 56
	s_mov_b32 s35, 0
	s_delay_alu instid0(VALU_DEP_1)
	v_add_nc_u32_e32 v60, v60, v55
	ds_load_b64 v[55:56], v60 offset:528
.LBB150_55:                             ;   Parent Loop BB150_16 Depth=1
                                        ;     Parent Loop BB150_19 Depth=2
                                        ;       Parent Loop BB150_41 Depth=3
                                        ; =>      This Inner Loop Header: Depth=4
	s_waitcnt lgkmcnt(0)
	v_add_f64 v[61:62], v[55:56], v[50:51]
	ds_cmpstore_rtn_b64 v[61:62], v60, v[61:62], v[55:56] offset:528
	s_waitcnt lgkmcnt(0)
	v_cmp_eq_u64_e32 vcc_lo, v[61:62], v[55:56]
	v_dual_mov_b32 v55, v61 :: v_dual_mov_b32 v56, v62
	s_or_b32 s35, vcc_lo, s35
	s_delay_alu instid0(SALU_CYCLE_1)
	s_and_not1_b32 exec_lo, exec_lo, s35
	s_cbranch_execnz .LBB150_55
; %bb.56:                               ;   in Loop: Header=BB150_41 Depth=3
	s_or_b32 exec_lo, exec_lo, s35
	ds_load_b64 v[55:56], v60 offset:536
	s_mov_b32 s35, 0
.LBB150_57:                             ;   Parent Loop BB150_16 Depth=1
                                        ;     Parent Loop BB150_19 Depth=2
                                        ;       Parent Loop BB150_41 Depth=3
                                        ; =>      This Inner Loop Header: Depth=4
	s_waitcnt lgkmcnt(0)
	v_add_f64 v[61:62], v[55:56], v[52:53]
	ds_cmpstore_rtn_b64 v[61:62], v60, v[61:62], v[55:56] offset:536
	s_waitcnt lgkmcnt(0)
	v_cmp_eq_u64_e32 vcc_lo, v[61:62], v[55:56]
	v_dual_mov_b32 v55, v61 :: v_dual_mov_b32 v56, v62
	s_or_b32 s35, vcc_lo, s35
	s_delay_alu instid0(SALU_CYCLE_1)
	s_and_not1_b32 exec_lo, exec_lo, s35
	s_cbranch_execnz .LBB150_57
; %bb.58:                               ;   in Loop: Header=BB150_41 Depth=3
	s_or_b32 exec_lo, exec_lo, s35
	s_delay_alu instid0(SALU_CYCLE_1)
	s_and_not1_b32 s34, s34, exec_lo
	s_branch .LBB150_40
.LBB150_59:                             ;   in Loop: Header=BB150_19 Depth=2
	s_or_b32 exec_lo, exec_lo, s31
	v_mul_f64 v[50:51], v[15:16], -v[37:38]
	v_mul_f64 v[15:16], v[35:36], v[15:16]
	s_mov_b32 s31, 0
	s_delay_alu instid0(VALU_DEP_2) | instskip(NEXT) | instid1(VALU_DEP_2)
	v_fma_f64 v[50:51], v[35:36], v[13:14], v[50:51]
	v_fma_f64 v[13:14], v[37:38], v[13:14], v[15:16]
	s_delay_alu instid0(VALU_DEP_2) | instskip(NEXT) | instid1(VALU_DEP_2)
	v_fma_f64 v[15:16], v[43:44], v[9:10], v[50:51]
	v_fma_f64 v[13:14], v[45:46], v[9:10], v[13:14]
	s_delay_alu instid0(VALU_DEP_2) | instskip(NEXT) | instid1(VALU_DEP_2)
	v_fma_f64 v[9:10], -v[45:46], v[11:12], v[15:16]
	v_fma_f64 v[11:12], v[43:44], v[11:12], v[13:14]
	v_dual_mov_b32 v13, v49 :: v_dual_mov_b32 v14, v50
	s_branch .LBB150_61
.LBB150_60:                             ;   in Loop: Header=BB150_61 Depth=3
	s_or_b32 exec_lo, exec_lo, s33
	s_xor_b32 s33, s34, -1
	s_delay_alu instid0(SALU_CYCLE_1) | instskip(NEXT) | instid1(SALU_CYCLE_1)
	s_and_b32 s33, exec_lo, s33
	s_or_b32 s31, s33, s31
	s_delay_alu instid0(SALU_CYCLE_1)
	s_and_not1_b32 exec_lo, exec_lo, s31
	s_cbranch_execz .LBB150_79
.LBB150_61:                             ;   Parent Loop BB150_16 Depth=1
                                        ;     Parent Loop BB150_19 Depth=2
                                        ; =>    This Loop Header: Depth=3
                                        ;         Child Loop BB150_67 Depth 4
                                        ;         Child Loop BB150_69 Depth 4
	;; [unrolled: 1-line block ×4, first 2 shown]
	s_delay_alu instid0(VALU_DEP_1)
	v_lshl_add_u32 v16, v13, 3, 0
	s_mov_b32 s33, exec_lo
                                        ; implicit-def: $sgpr34
	ds_load_b64 v[14:15], v16
	s_waitcnt lgkmcnt(0)
	v_cmpx_ne_u64_e64 v[14:15], v[47:48]
	s_xor_b32 s33, exec_lo, s33
	s_cbranch_execz .LBB150_73
; %bb.62:                               ;   in Loop: Header=BB150_61 Depth=3
	s_mov_b32 s35, exec_lo
                                        ; implicit-def: $sgpr34
	v_cmpx_ne_u64_e64 s[18:19], v[14:15]
	s_xor_b32 s35, exec_lo, s35
; %bb.63:                               ;   in Loop: Header=BB150_61 Depth=3
	v_add_nc_u32_e32 v13, 1, v13
	s_mov_b32 s34, -1
                                        ; implicit-def: $vgpr16
	s_delay_alu instid0(VALU_DEP_1)
	v_and_b32_e32 v13, 63, v13
; %bb.64:                               ;   in Loop: Header=BB150_61 Depth=3
	s_and_not1_saveexec_b32 s35, s35
	s_cbranch_execz .LBB150_72
; %bb.65:                               ;   in Loop: Header=BB150_61 Depth=3
	v_dual_mov_b32 v14, s18 :: v_dual_mov_b32 v15, s19
	s_mov_b32 s37, -1
	s_mov_b32 s36, exec_lo
	ds_cmpstore_rtn_b64 v[14:15], v16, v[47:48], v[14:15]
	s_waitcnt lgkmcnt(0)
	v_cmpx_eq_u64_e64 s[18:19], v[14:15]
	s_cbranch_execz .LBB150_71
; %bb.66:                               ;   in Loop: Header=BB150_61 Depth=3
	v_mul_lo_u32 v14, v13, 56
	s_mov_b32 s37, 0
	s_delay_alu instid0(VALU_DEP_1)
	v_add_nc_u32_e32 v16, v16, v14
	ds_load_b64 v[14:15], v16 offset:544
.LBB150_67:                             ;   Parent Loop BB150_16 Depth=1
                                        ;     Parent Loop BB150_19 Depth=2
                                        ;       Parent Loop BB150_61 Depth=3
                                        ; =>      This Inner Loop Header: Depth=4
	s_waitcnt lgkmcnt(0)
	v_add_f64 v[50:51], v[14:15], v[9:10]
	ds_cmpstore_rtn_b64 v[50:51], v16, v[50:51], v[14:15] offset:544
	s_waitcnt lgkmcnt(0)
	v_cmp_eq_u64_e32 vcc_lo, v[50:51], v[14:15]
	v_dual_mov_b32 v14, v50 :: v_dual_mov_b32 v15, v51
	s_or_b32 s37, vcc_lo, s37
	s_delay_alu instid0(SALU_CYCLE_1)
	s_and_not1_b32 exec_lo, exec_lo, s37
	s_cbranch_execnz .LBB150_67
; %bb.68:                               ;   in Loop: Header=BB150_61 Depth=3
	s_or_b32 exec_lo, exec_lo, s37
	ds_load_b64 v[14:15], v16 offset:552
	s_mov_b32 s37, 0
.LBB150_69:                             ;   Parent Loop BB150_16 Depth=1
                                        ;     Parent Loop BB150_19 Depth=2
                                        ;       Parent Loop BB150_61 Depth=3
                                        ; =>      This Inner Loop Header: Depth=4
	s_waitcnt lgkmcnt(0)
	v_add_f64 v[50:51], v[14:15], v[11:12]
	ds_cmpstore_rtn_b64 v[50:51], v16, v[50:51], v[14:15] offset:552
	s_waitcnt lgkmcnt(0)
	v_cmp_eq_u64_e32 vcc_lo, v[50:51], v[14:15]
	v_dual_mov_b32 v14, v50 :: v_dual_mov_b32 v15, v51
	s_or_b32 s37, vcc_lo, s37
	s_delay_alu instid0(SALU_CYCLE_1)
	s_and_not1_b32 exec_lo, exec_lo, s37
	s_cbranch_execnz .LBB150_69
; %bb.70:                               ;   in Loop: Header=BB150_61 Depth=3
	s_or_b32 exec_lo, exec_lo, s37
	s_delay_alu instid0(SALU_CYCLE_1)
	s_xor_b32 s37, exec_lo, -1
.LBB150_71:                             ;   in Loop: Header=BB150_61 Depth=3
	s_or_b32 exec_lo, exec_lo, s36
	s_delay_alu instid0(SALU_CYCLE_1) | instskip(SKIP_1) | instid1(SALU_CYCLE_1)
	s_and_not1_b32 s34, s34, exec_lo
	s_and_b32 s36, s37, exec_lo
	s_or_b32 s34, s34, s36
.LBB150_72:                             ;   in Loop: Header=BB150_61 Depth=3
	s_or_b32 exec_lo, exec_lo, s35
	s_delay_alu instid0(SALU_CYCLE_1)
	s_and_b32 s34, s34, exec_lo
                                        ; implicit-def: $vgpr16
.LBB150_73:                             ;   in Loop: Header=BB150_61 Depth=3
	s_and_not1_saveexec_b32 s33, s33
	s_cbranch_execz .LBB150_60
; %bb.74:                               ;   in Loop: Header=BB150_61 Depth=3
	v_mul_lo_u32 v14, v13, 56
	s_mov_b32 s35, 0
	s_delay_alu instid0(VALU_DEP_1)
	v_add_nc_u32_e32 v16, v16, v14
	ds_load_b64 v[14:15], v16 offset:544
.LBB150_75:                             ;   Parent Loop BB150_16 Depth=1
                                        ;     Parent Loop BB150_19 Depth=2
                                        ;       Parent Loop BB150_61 Depth=3
                                        ; =>      This Inner Loop Header: Depth=4
	s_waitcnt lgkmcnt(0)
	v_add_f64 v[50:51], v[14:15], v[9:10]
	ds_cmpstore_rtn_b64 v[50:51], v16, v[50:51], v[14:15] offset:544
	s_waitcnt lgkmcnt(0)
	v_cmp_eq_u64_e32 vcc_lo, v[50:51], v[14:15]
	v_dual_mov_b32 v14, v50 :: v_dual_mov_b32 v15, v51
	s_or_b32 s35, vcc_lo, s35
	s_delay_alu instid0(SALU_CYCLE_1)
	s_and_not1_b32 exec_lo, exec_lo, s35
	s_cbranch_execnz .LBB150_75
; %bb.76:                               ;   in Loop: Header=BB150_61 Depth=3
	s_or_b32 exec_lo, exec_lo, s35
	ds_load_b64 v[14:15], v16 offset:552
	s_mov_b32 s35, 0
.LBB150_77:                             ;   Parent Loop BB150_16 Depth=1
                                        ;     Parent Loop BB150_19 Depth=2
                                        ;       Parent Loop BB150_61 Depth=3
                                        ; =>      This Inner Loop Header: Depth=4
	s_waitcnt lgkmcnt(0)
	v_add_f64 v[50:51], v[14:15], v[11:12]
	ds_cmpstore_rtn_b64 v[50:51], v16, v[50:51], v[14:15] offset:552
	s_waitcnt lgkmcnt(0)
	v_cmp_eq_u64_e32 vcc_lo, v[50:51], v[14:15]
	v_dual_mov_b32 v14, v50 :: v_dual_mov_b32 v15, v51
	s_or_b32 s35, vcc_lo, s35
	s_delay_alu instid0(SALU_CYCLE_1)
	s_and_not1_b32 exec_lo, exec_lo, s35
	s_cbranch_execnz .LBB150_77
; %bb.78:                               ;   in Loop: Header=BB150_61 Depth=3
	s_or_b32 exec_lo, exec_lo, s35
	s_delay_alu instid0(SALU_CYCLE_1)
	s_and_not1_b32 s34, s34, exec_lo
	s_branch .LBB150_60
.LBB150_79:                             ;   in Loop: Header=BB150_19 Depth=2
	s_or_b32 exec_lo, exec_lo, s31
	v_mul_f64 v[9:10], v[7:8], -v[37:38]
	v_mul_f64 v[7:8], v[35:36], v[7:8]
	s_mov_b32 s31, 0
	s_delay_alu instid0(VALU_DEP_2) | instskip(NEXT) | instid1(VALU_DEP_2)
	v_fma_f64 v[9:10], v[35:36], v[5:6], v[9:10]
	v_fma_f64 v[5:6], v[37:38], v[5:6], v[7:8]
	s_delay_alu instid0(VALU_DEP_2) | instskip(NEXT) | instid1(VALU_DEP_2)
	v_fma_f64 v[7:8], v[43:44], v[1:2], v[9:10]
	v_fma_f64 v[5:6], v[45:46], v[1:2], v[5:6]
	s_delay_alu instid0(VALU_DEP_2) | instskip(NEXT) | instid1(VALU_DEP_2)
	v_fma_f64 v[1:2], -v[45:46], v[3:4], v[7:8]
	v_fma_f64 v[3:4], v[43:44], v[3:4], v[5:6]
	s_branch .LBB150_81
.LBB150_80:                             ;   in Loop: Header=BB150_81 Depth=3
	s_or_b32 exec_lo, exec_lo, s33
	s_xor_b32 s33, s34, -1
	s_delay_alu instid0(SALU_CYCLE_1) | instskip(NEXT) | instid1(SALU_CYCLE_1)
	s_and_b32 s33, exec_lo, s33
	s_or_b32 s31, s33, s31
	s_delay_alu instid0(SALU_CYCLE_1)
	s_and_not1_b32 exec_lo, exec_lo, s31
	s_cbranch_execz .LBB150_18
.LBB150_81:                             ;   Parent Loop BB150_16 Depth=1
                                        ;     Parent Loop BB150_19 Depth=2
                                        ; =>    This Loop Header: Depth=3
                                        ;         Child Loop BB150_87 Depth 4
                                        ;         Child Loop BB150_89 Depth 4
	;; [unrolled: 1-line block ×4, first 2 shown]
	v_lshl_add_u32 v7, v49, 3, 0
	s_mov_b32 s33, exec_lo
                                        ; implicit-def: $sgpr34
	ds_load_b64 v[5:6], v7
	s_waitcnt lgkmcnt(0)
	v_cmpx_ne_u64_e64 v[5:6], v[47:48]
	s_xor_b32 s33, exec_lo, s33
	s_cbranch_execz .LBB150_93
; %bb.82:                               ;   in Loop: Header=BB150_81 Depth=3
	s_mov_b32 s35, exec_lo
                                        ; implicit-def: $sgpr34
	v_cmpx_ne_u64_e64 s[18:19], v[5:6]
	s_xor_b32 s35, exec_lo, s35
; %bb.83:                               ;   in Loop: Header=BB150_81 Depth=3
	v_add_nc_u32_e32 v5, 1, v49
	s_mov_b32 s34, -1
                                        ; implicit-def: $vgpr7
	s_delay_alu instid0(VALU_DEP_1)
	v_and_b32_e32 v49, 63, v5
; %bb.84:                               ;   in Loop: Header=BB150_81 Depth=3
	s_and_not1_saveexec_b32 s35, s35
	s_cbranch_execz .LBB150_92
; %bb.85:                               ;   in Loop: Header=BB150_81 Depth=3
	v_dual_mov_b32 v5, s18 :: v_dual_mov_b32 v6, s19
	s_mov_b32 s37, -1
	s_mov_b32 s36, exec_lo
	ds_cmpstore_rtn_b64 v[5:6], v7, v[47:48], v[5:6]
	s_waitcnt lgkmcnt(0)
	v_cmpx_eq_u64_e64 s[18:19], v[5:6]
	s_cbranch_execz .LBB150_91
; %bb.86:                               ;   in Loop: Header=BB150_81 Depth=3
	v_mul_lo_u32 v5, v49, 56
	s_mov_b32 s37, 0
	s_delay_alu instid0(VALU_DEP_1)
	v_add_nc_u32_e32 v7, v7, v5
	ds_load_b64 v[5:6], v7 offset:560
.LBB150_87:                             ;   Parent Loop BB150_16 Depth=1
                                        ;     Parent Loop BB150_19 Depth=2
                                        ;       Parent Loop BB150_81 Depth=3
                                        ; =>      This Inner Loop Header: Depth=4
	s_waitcnt lgkmcnt(0)
	v_add_f64 v[8:9], v[5:6], v[1:2]
	ds_cmpstore_rtn_b64 v[8:9], v7, v[8:9], v[5:6] offset:560
	s_waitcnt lgkmcnt(0)
	v_cmp_eq_u64_e32 vcc_lo, v[8:9], v[5:6]
	v_dual_mov_b32 v5, v8 :: v_dual_mov_b32 v6, v9
	s_or_b32 s37, vcc_lo, s37
	s_delay_alu instid0(SALU_CYCLE_1)
	s_and_not1_b32 exec_lo, exec_lo, s37
	s_cbranch_execnz .LBB150_87
; %bb.88:                               ;   in Loop: Header=BB150_81 Depth=3
	s_or_b32 exec_lo, exec_lo, s37
	ds_load_b64 v[5:6], v7 offset:568
	s_mov_b32 s37, 0
.LBB150_89:                             ;   Parent Loop BB150_16 Depth=1
                                        ;     Parent Loop BB150_19 Depth=2
                                        ;       Parent Loop BB150_81 Depth=3
                                        ; =>      This Inner Loop Header: Depth=4
	s_waitcnt lgkmcnt(0)
	v_add_f64 v[8:9], v[5:6], v[3:4]
	ds_cmpstore_rtn_b64 v[8:9], v7, v[8:9], v[5:6] offset:568
	s_waitcnt lgkmcnt(0)
	v_cmp_eq_u64_e32 vcc_lo, v[8:9], v[5:6]
	v_dual_mov_b32 v5, v8 :: v_dual_mov_b32 v6, v9
	s_or_b32 s37, vcc_lo, s37
	s_delay_alu instid0(SALU_CYCLE_1)
	s_and_not1_b32 exec_lo, exec_lo, s37
	s_cbranch_execnz .LBB150_89
; %bb.90:                               ;   in Loop: Header=BB150_81 Depth=3
	s_or_b32 exec_lo, exec_lo, s37
	s_delay_alu instid0(SALU_CYCLE_1)
	s_xor_b32 s37, exec_lo, -1
.LBB150_91:                             ;   in Loop: Header=BB150_81 Depth=3
	s_or_b32 exec_lo, exec_lo, s36
	s_delay_alu instid0(SALU_CYCLE_1) | instskip(SKIP_1) | instid1(SALU_CYCLE_1)
	s_and_not1_b32 s34, s34, exec_lo
	s_and_b32 s36, s37, exec_lo
	s_or_b32 s34, s34, s36
.LBB150_92:                             ;   in Loop: Header=BB150_81 Depth=3
	s_or_b32 exec_lo, exec_lo, s35
	s_delay_alu instid0(SALU_CYCLE_1)
	s_and_b32 s34, s34, exec_lo
                                        ; implicit-def: $vgpr7
.LBB150_93:                             ;   in Loop: Header=BB150_81 Depth=3
	s_and_not1_saveexec_b32 s33, s33
	s_cbranch_execz .LBB150_80
; %bb.94:                               ;   in Loop: Header=BB150_81 Depth=3
	v_mul_lo_u32 v5, v49, 56
	s_mov_b32 s35, 0
	s_delay_alu instid0(VALU_DEP_1)
	v_add_nc_u32_e32 v7, v7, v5
	ds_load_b64 v[5:6], v7 offset:560
.LBB150_95:                             ;   Parent Loop BB150_16 Depth=1
                                        ;     Parent Loop BB150_19 Depth=2
                                        ;       Parent Loop BB150_81 Depth=3
                                        ; =>      This Inner Loop Header: Depth=4
	s_waitcnt lgkmcnt(0)
	v_add_f64 v[8:9], v[5:6], v[1:2]
	ds_cmpstore_rtn_b64 v[8:9], v7, v[8:9], v[5:6] offset:560
	s_waitcnt lgkmcnt(0)
	v_cmp_eq_u64_e32 vcc_lo, v[8:9], v[5:6]
	v_dual_mov_b32 v5, v8 :: v_dual_mov_b32 v6, v9
	s_or_b32 s35, vcc_lo, s35
	s_delay_alu instid0(SALU_CYCLE_1)
	s_and_not1_b32 exec_lo, exec_lo, s35
	s_cbranch_execnz .LBB150_95
; %bb.96:                               ;   in Loop: Header=BB150_81 Depth=3
	s_or_b32 exec_lo, exec_lo, s35
	ds_load_b64 v[5:6], v7 offset:568
	s_mov_b32 s35, 0
.LBB150_97:                             ;   Parent Loop BB150_16 Depth=1
                                        ;     Parent Loop BB150_19 Depth=2
                                        ;       Parent Loop BB150_81 Depth=3
                                        ; =>      This Inner Loop Header: Depth=4
	s_waitcnt lgkmcnt(0)
	v_add_f64 v[8:9], v[5:6], v[3:4]
	ds_cmpstore_rtn_b64 v[8:9], v7, v[8:9], v[5:6] offset:568
	s_waitcnt lgkmcnt(0)
	v_cmp_eq_u64_e32 vcc_lo, v[8:9], v[5:6]
	v_dual_mov_b32 v5, v8 :: v_dual_mov_b32 v6, v9
	s_or_b32 s35, vcc_lo, s35
	s_delay_alu instid0(SALU_CYCLE_1)
	s_and_not1_b32 exec_lo, exec_lo, s35
	s_cbranch_execnz .LBB150_97
; %bb.98:                               ;   in Loop: Header=BB150_81 Depth=3
	s_or_b32 exec_lo, exec_lo, s35
	s_delay_alu instid0(SALU_CYCLE_1)
	s_and_not1_b32 s34, s34, exec_lo
	s_branch .LBB150_80
.LBB150_99:
	s_or_b32 exec_lo, exec_lo, s25
.LBB150_100:
	s_delay_alu instid0(SALU_CYCLE_1)
	s_and_not1_b32 vcc_lo, exec_lo, s3
	s_waitcnt lgkmcnt(0)
	s_barrier
	buffer_gl0_inv
	s_cbranch_vccnz .LBB150_185
; %bb.101:
	s_load_b64 s[4:5], s[0:1], 0x78
	s_lshl_b64 s[6:7], s[16:17], 3
	v_sub_co_u32 v1, s3, v0, s15
	s_delay_alu instid0(VALU_DEP_1)
	v_sub_co_ci_u32_e64 v2, null, 0, 0, s3
	s_mov_b32 s3, 0
	s_mov_b32 s10, exec_lo
	s_waitcnt lgkmcnt(0)
	s_add_u32 s4, s4, s6
	s_addc_u32 s5, s5, s7
	s_load_b128 s[4:7], s[4:5], 0x0
	s_waitcnt lgkmcnt(0)
	v_add_co_u32 v13, vcc_lo, s4, v1
	v_add_co_ci_u32_e32 v14, vcc_lo, s5, v2, vcc_lo
	s_sub_u32 s8, s6, s15
	s_subb_u32 s9, s7, 0
	s_delay_alu instid0(VALU_DEP_1) | instid1(SALU_CYCLE_1)
	v_cmpx_gt_i64_e64 s[8:9], v[13:14]
	s_cbranch_execz .LBB150_184
; %bb.102:
	s_load_b128 s[4:7], s[0:1], 0x80
	s_cmp_eq_u32 s24, 0
	s_mov_b32 s11, s15
	s_cselect_b32 s12, 1, 2
	s_cselect_b32 s13, 2, 1
	s_branch .LBB150_104
.LBB150_103:                            ;   in Loop: Header=BB150_104 Depth=1
	s_or_b32 exec_lo, exec_lo, s15
	v_add_co_u32 v13, vcc_lo, 0x100, v13
	v_add_co_ci_u32_e32 v14, vcc_lo, 0, v14, vcc_lo
	s_delay_alu instid0(VALU_DEP_1) | instskip(SKIP_1) | instid1(SALU_CYCLE_1)
	v_cmp_le_i64_e32 vcc_lo, s[8:9], v[13:14]
	s_or_b32 s3, vcc_lo, s3
	s_and_not1_b32 exec_lo, exec_lo, s3
	s_cbranch_execz .LBB150_184
.LBB150_104:                            ; =>This Loop Header: Depth=1
                                        ;     Child Loop BB150_106 Depth 2
                                        ;       Child Loop BB150_112 Depth 3
                                        ;       Child Loop BB150_114 Depth 3
                                        ;       Child Loop BB150_120 Depth 3
                                        ;       Child Loop BB150_122 Depth 3
                                        ;     Child Loop BB150_126 Depth 2
                                        ;       Child Loop BB150_132 Depth 3
                                        ;       Child Loop BB150_134 Depth 3
                                        ;       Child Loop BB150_140 Depth 3
                                        ;       Child Loop BB150_142 Depth 3
	;; [unrolled: 5-line block ×4, first 2 shown]
	v_lshlrev_b64 v[1:2], 6, v[13:14]
	v_lshlrev_b64 v[3:4], 3, v[13:14]
	;; [unrolled: 1-line block ×3, first 2 shown]
	s_mov_b32 s15, 0
	s_waitcnt lgkmcnt(0)
	s_delay_alu instid0(VALU_DEP_3)
	v_add_co_u32 v1, vcc_lo, s6, v1
	v_add_co_ci_u32_e32 v2, vcc_lo, s7, v2, vcc_lo
	v_add_co_u32 v3, vcc_lo, s4, v3
	v_add_co_ci_u32_e32 v4, vcc_lo, s5, v4, vcc_lo
	global_load_b128 v[24:27], v[1:2], off
	v_or_b32_e32 v8, 0, v6
	v_or_b32_e32 v7, s12, v5
	global_load_b64 v[15:16], v[3:4], off
	v_or_b32_e32 v4, 0, v6
	v_or_b32_e32 v3, s13, v5
	v_lshlrev_b64 v[5:6], 4, v[7:8]
	s_delay_alu instid0(VALU_DEP_2) | instskip(NEXT) | instid1(VALU_DEP_2)
	v_lshlrev_b64 v[3:4], 4, v[3:4]
	v_add_co_u32 v5, vcc_lo, s6, v5
	s_delay_alu instid0(VALU_DEP_3) | instskip(NEXT) | instid1(VALU_DEP_3)
	v_add_co_ci_u32_e32 v6, vcc_lo, s7, v6, vcc_lo
	v_add_co_u32 v7, vcc_lo, s6, v3
	s_delay_alu instid0(VALU_DEP_4)
	v_add_co_ci_u32_e32 v8, vcc_lo, s7, v4, vcc_lo
	s_clause 0x2
	global_load_b128 v[1:4], v[1:2], off offset:48
	global_load_b128 v[9:12], v[5:6], off
	global_load_b128 v[5:8], v[7:8], off
	s_waitcnt vmcnt(4)
	v_mul_f64 v[21:22], v[26:27], -v[17:18]
	v_mul_f64 v[26:27], v[19:20], v[26:27]
	s_waitcnt vmcnt(3)
	v_sub_co_u32 v15, vcc_lo, v15, s11
	v_subrev_co_ci_u32_e32 v16, vcc_lo, 0, v16, vcc_lo
	s_delay_alu instid0(VALU_DEP_4) | instskip(NEXT) | instid1(VALU_DEP_4)
	v_fma_f64 v[22:23], v[19:20], v[24:25], v[21:22]
	v_fma_f64 v[24:25], v[17:18], v[24:25], v[26:27]
	s_delay_alu instid0(VALU_DEP_4) | instskip(NEXT) | instid1(VALU_DEP_1)
	v_lshl_add_u32 v21, v15, 3, v15
	v_and_b32_e32 v21, 63, v21
	s_delay_alu instid0(VALU_DEP_1)
	v_dual_mov_b32 v27, v22 :: v_dual_mov_b32 v26, v21
	s_branch .LBB150_106
.LBB150_105:                            ;   in Loop: Header=BB150_106 Depth=2
	s_or_b32 exec_lo, exec_lo, s20
	s_xor_b32 s20, s21, -1
	s_delay_alu instid0(SALU_CYCLE_1) | instskip(NEXT) | instid1(SALU_CYCLE_1)
	s_and_b32 s20, exec_lo, s20
	s_or_b32 s15, s20, s15
	s_delay_alu instid0(SALU_CYCLE_1)
	s_and_not1_b32 exec_lo, exec_lo, s15
	s_cbranch_execz .LBB150_124
.LBB150_106:                            ;   Parent Loop BB150_104 Depth=1
                                        ; =>  This Loop Header: Depth=2
                                        ;       Child Loop BB150_112 Depth 3
                                        ;       Child Loop BB150_114 Depth 3
	;; [unrolled: 1-line block ×4, first 2 shown]
	s_delay_alu instid0(VALU_DEP_1)
	v_lshl_add_u32 v29, v26, 3, 0
	s_mov_b32 s20, exec_lo
                                        ; implicit-def: $sgpr21
	ds_load_b64 v[27:28], v29
	s_waitcnt lgkmcnt(0)
	v_cmpx_ne_u64_e64 v[27:28], v[15:16]
	s_xor_b32 s20, exec_lo, s20
	s_cbranch_execz .LBB150_118
; %bb.107:                              ;   in Loop: Header=BB150_106 Depth=2
	s_mov_b32 s22, exec_lo
                                        ; implicit-def: $sgpr21
	v_cmpx_ne_u64_e64 s[18:19], v[27:28]
	s_xor_b32 s22, exec_lo, s22
; %bb.108:                              ;   in Loop: Header=BB150_106 Depth=2
	v_add_nc_u32_e32 v26, 1, v26
	s_mov_b32 s21, -1
                                        ; implicit-def: $vgpr29
	s_delay_alu instid0(VALU_DEP_1)
	v_and_b32_e32 v26, 63, v26
; %bb.109:                              ;   in Loop: Header=BB150_106 Depth=2
	s_and_not1_saveexec_b32 s22, s22
	s_cbranch_execz .LBB150_117
; %bb.110:                              ;   in Loop: Header=BB150_106 Depth=2
	v_dual_mov_b32 v28, s19 :: v_dual_mov_b32 v27, s18
	s_mov_b32 s25, -1
	s_mov_b32 s23, exec_lo
	ds_cmpstore_rtn_b64 v[27:28], v29, v[15:16], v[27:28]
	s_waitcnt lgkmcnt(0)
	v_cmpx_eq_u64_e64 s[18:19], v[27:28]
	s_cbranch_execz .LBB150_116
; %bb.111:                              ;   in Loop: Header=BB150_106 Depth=2
	v_mul_lo_u32 v27, v26, 56
	s_mov_b32 s25, 0
	s_delay_alu instid0(VALU_DEP_1)
	v_add_nc_u32_e32 v29, v29, v27
	ds_load_b64 v[27:28], v29 offset:512
.LBB150_112:                            ;   Parent Loop BB150_104 Depth=1
                                        ;     Parent Loop BB150_106 Depth=2
                                        ; =>    This Inner Loop Header: Depth=3
	s_waitcnt lgkmcnt(0)
	v_add_f64 v[30:31], v[27:28], v[22:23]
	ds_cmpstore_rtn_b64 v[30:31], v29, v[30:31], v[27:28] offset:512
	s_waitcnt lgkmcnt(0)
	v_cmp_eq_u64_e32 vcc_lo, v[30:31], v[27:28]
	v_dual_mov_b32 v27, v30 :: v_dual_mov_b32 v28, v31
	s_or_b32 s25, vcc_lo, s25
	s_delay_alu instid0(SALU_CYCLE_1)
	s_and_not1_b32 exec_lo, exec_lo, s25
	s_cbranch_execnz .LBB150_112
; %bb.113:                              ;   in Loop: Header=BB150_106 Depth=2
	s_or_b32 exec_lo, exec_lo, s25
	ds_load_b64 v[27:28], v29 offset:520
	s_mov_b32 s25, 0
.LBB150_114:                            ;   Parent Loop BB150_104 Depth=1
                                        ;     Parent Loop BB150_106 Depth=2
                                        ; =>    This Inner Loop Header: Depth=3
	s_waitcnt lgkmcnt(0)
	v_add_f64 v[30:31], v[27:28], v[24:25]
	ds_cmpstore_rtn_b64 v[30:31], v29, v[30:31], v[27:28] offset:520
	s_waitcnt lgkmcnt(0)
	v_cmp_eq_u64_e32 vcc_lo, v[30:31], v[27:28]
	v_dual_mov_b32 v27, v30 :: v_dual_mov_b32 v28, v31
	s_or_b32 s25, vcc_lo, s25
	s_delay_alu instid0(SALU_CYCLE_1)
	s_and_not1_b32 exec_lo, exec_lo, s25
	s_cbranch_execnz .LBB150_114
; %bb.115:                              ;   in Loop: Header=BB150_106 Depth=2
	s_or_b32 exec_lo, exec_lo, s25
	s_delay_alu instid0(SALU_CYCLE_1)
	s_xor_b32 s25, exec_lo, -1
.LBB150_116:                            ;   in Loop: Header=BB150_106 Depth=2
	s_or_b32 exec_lo, exec_lo, s23
	s_delay_alu instid0(SALU_CYCLE_1) | instskip(SKIP_1) | instid1(SALU_CYCLE_1)
	s_and_not1_b32 s21, s21, exec_lo
	s_and_b32 s23, s25, exec_lo
	s_or_b32 s21, s21, s23
.LBB150_117:                            ;   in Loop: Header=BB150_106 Depth=2
	s_or_b32 exec_lo, exec_lo, s22
	s_delay_alu instid0(SALU_CYCLE_1)
	s_and_b32 s21, s21, exec_lo
                                        ; implicit-def: $vgpr29
.LBB150_118:                            ;   in Loop: Header=BB150_106 Depth=2
	s_and_not1_saveexec_b32 s20, s20
	s_cbranch_execz .LBB150_105
; %bb.119:                              ;   in Loop: Header=BB150_106 Depth=2
	v_mul_lo_u32 v27, v26, 56
	s_mov_b32 s22, 0
	s_delay_alu instid0(VALU_DEP_1)
	v_add_nc_u32_e32 v29, v29, v27
	ds_load_b64 v[27:28], v29 offset:512
.LBB150_120:                            ;   Parent Loop BB150_104 Depth=1
                                        ;     Parent Loop BB150_106 Depth=2
                                        ; =>    This Inner Loop Header: Depth=3
	s_waitcnt lgkmcnt(0)
	v_add_f64 v[30:31], v[27:28], v[22:23]
	ds_cmpstore_rtn_b64 v[30:31], v29, v[30:31], v[27:28] offset:512
	s_waitcnt lgkmcnt(0)
	v_cmp_eq_u64_e32 vcc_lo, v[30:31], v[27:28]
	v_dual_mov_b32 v27, v30 :: v_dual_mov_b32 v28, v31
	s_or_b32 s22, vcc_lo, s22
	s_delay_alu instid0(SALU_CYCLE_1)
	s_and_not1_b32 exec_lo, exec_lo, s22
	s_cbranch_execnz .LBB150_120
; %bb.121:                              ;   in Loop: Header=BB150_106 Depth=2
	s_or_b32 exec_lo, exec_lo, s22
	ds_load_b64 v[27:28], v29 offset:520
	s_mov_b32 s22, 0
.LBB150_122:                            ;   Parent Loop BB150_104 Depth=1
                                        ;     Parent Loop BB150_106 Depth=2
                                        ; =>    This Inner Loop Header: Depth=3
	s_waitcnt lgkmcnt(0)
	v_add_f64 v[30:31], v[27:28], v[24:25]
	ds_cmpstore_rtn_b64 v[30:31], v29, v[30:31], v[27:28] offset:520
	s_waitcnt lgkmcnt(0)
	v_cmp_eq_u64_e32 vcc_lo, v[30:31], v[27:28]
	v_dual_mov_b32 v27, v30 :: v_dual_mov_b32 v28, v31
	s_or_b32 s22, vcc_lo, s22
	s_delay_alu instid0(SALU_CYCLE_1)
	s_and_not1_b32 exec_lo, exec_lo, s22
	s_cbranch_execnz .LBB150_122
; %bb.123:                              ;   in Loop: Header=BB150_106 Depth=2
	s_or_b32 exec_lo, exec_lo, s22
	s_delay_alu instid0(SALU_CYCLE_1)
	s_and_not1_b32 s21, s21, exec_lo
	s_branch .LBB150_105
.LBB150_124:                            ;   in Loop: Header=BB150_104 Depth=1
	s_or_b32 exec_lo, exec_lo, s15
	s_waitcnt vmcnt(1)
	v_mul_f64 v[22:23], v[11:12], -v[17:18]
	v_mul_f64 v[24:25], v[19:20], v[11:12]
	s_mov_b32 s15, 0
	s_delay_alu instid0(VALU_DEP_2) | instskip(NEXT) | instid1(VALU_DEP_2)
	v_fma_f64 v[11:12], v[19:20], v[9:10], v[22:23]
	v_fma_f64 v[9:10], v[17:18], v[9:10], v[24:25]
	v_mov_b32_e32 v23, v22
	v_mov_b32_e32 v22, v21
	s_branch .LBB150_126
.LBB150_125:                            ;   in Loop: Header=BB150_126 Depth=2
	s_or_b32 exec_lo, exec_lo, s20
	s_xor_b32 s20, s21, -1
	s_delay_alu instid0(SALU_CYCLE_1) | instskip(NEXT) | instid1(SALU_CYCLE_1)
	s_and_b32 s20, exec_lo, s20
	s_or_b32 s15, s20, s15
	s_delay_alu instid0(SALU_CYCLE_1)
	s_and_not1_b32 exec_lo, exec_lo, s15
	s_cbranch_execz .LBB150_144
.LBB150_126:                            ;   Parent Loop BB150_104 Depth=1
                                        ; =>  This Loop Header: Depth=2
                                        ;       Child Loop BB150_132 Depth 3
                                        ;       Child Loop BB150_134 Depth 3
	;; [unrolled: 1-line block ×4, first 2 shown]
	s_delay_alu instid0(VALU_DEP_1)
	v_lshl_add_u32 v25, v22, 3, 0
	s_mov_b32 s20, exec_lo
                                        ; implicit-def: $sgpr21
	ds_load_b64 v[23:24], v25
	s_waitcnt lgkmcnt(0)
	v_cmpx_ne_u64_e64 v[23:24], v[15:16]
	s_xor_b32 s20, exec_lo, s20
	s_cbranch_execz .LBB150_138
; %bb.127:                              ;   in Loop: Header=BB150_126 Depth=2
	s_mov_b32 s22, exec_lo
                                        ; implicit-def: $sgpr21
	v_cmpx_ne_u64_e64 s[18:19], v[23:24]
	s_xor_b32 s22, exec_lo, s22
; %bb.128:                              ;   in Loop: Header=BB150_126 Depth=2
	v_add_nc_u32_e32 v22, 1, v22
	s_mov_b32 s21, -1
                                        ; implicit-def: $vgpr25
	s_delay_alu instid0(VALU_DEP_1)
	v_and_b32_e32 v22, 63, v22
; %bb.129:                              ;   in Loop: Header=BB150_126 Depth=2
	s_and_not1_saveexec_b32 s22, s22
	s_cbranch_execz .LBB150_137
; %bb.130:                              ;   in Loop: Header=BB150_126 Depth=2
	v_dual_mov_b32 v24, s19 :: v_dual_mov_b32 v23, s18
	s_mov_b32 s25, -1
	s_mov_b32 s23, exec_lo
	ds_cmpstore_rtn_b64 v[23:24], v25, v[15:16], v[23:24]
	s_waitcnt lgkmcnt(0)
	v_cmpx_eq_u64_e64 s[18:19], v[23:24]
	s_cbranch_execz .LBB150_136
; %bb.131:                              ;   in Loop: Header=BB150_126 Depth=2
	v_mul_lo_u32 v23, v22, 56
	s_mov_b32 s25, 0
	s_delay_alu instid0(VALU_DEP_1)
	v_add_nc_u32_e32 v25, v25, v23
	ds_load_b64 v[23:24], v25 offset:528
.LBB150_132:                            ;   Parent Loop BB150_104 Depth=1
                                        ;     Parent Loop BB150_126 Depth=2
                                        ; =>    This Inner Loop Header: Depth=3
	s_waitcnt lgkmcnt(0)
	v_add_f64 v[26:27], v[23:24], v[11:12]
	ds_cmpstore_rtn_b64 v[26:27], v25, v[26:27], v[23:24] offset:528
	s_waitcnt lgkmcnt(0)
	v_cmp_eq_u64_e32 vcc_lo, v[26:27], v[23:24]
	v_dual_mov_b32 v23, v26 :: v_dual_mov_b32 v24, v27
	s_or_b32 s25, vcc_lo, s25
	s_delay_alu instid0(SALU_CYCLE_1)
	s_and_not1_b32 exec_lo, exec_lo, s25
	s_cbranch_execnz .LBB150_132
; %bb.133:                              ;   in Loop: Header=BB150_126 Depth=2
	s_or_b32 exec_lo, exec_lo, s25
	ds_load_b64 v[23:24], v25 offset:536
	s_mov_b32 s25, 0
.LBB150_134:                            ;   Parent Loop BB150_104 Depth=1
                                        ;     Parent Loop BB150_126 Depth=2
                                        ; =>    This Inner Loop Header: Depth=3
	s_waitcnt lgkmcnt(0)
	v_add_f64 v[26:27], v[23:24], v[9:10]
	ds_cmpstore_rtn_b64 v[26:27], v25, v[26:27], v[23:24] offset:536
	s_waitcnt lgkmcnt(0)
	v_cmp_eq_u64_e32 vcc_lo, v[26:27], v[23:24]
	v_dual_mov_b32 v23, v26 :: v_dual_mov_b32 v24, v27
	s_or_b32 s25, vcc_lo, s25
	s_delay_alu instid0(SALU_CYCLE_1)
	s_and_not1_b32 exec_lo, exec_lo, s25
	s_cbranch_execnz .LBB150_134
; %bb.135:                              ;   in Loop: Header=BB150_126 Depth=2
	s_or_b32 exec_lo, exec_lo, s25
	s_delay_alu instid0(SALU_CYCLE_1)
	s_xor_b32 s25, exec_lo, -1
.LBB150_136:                            ;   in Loop: Header=BB150_126 Depth=2
	s_or_b32 exec_lo, exec_lo, s23
	s_delay_alu instid0(SALU_CYCLE_1) | instskip(SKIP_1) | instid1(SALU_CYCLE_1)
	s_and_not1_b32 s21, s21, exec_lo
	s_and_b32 s23, s25, exec_lo
	s_or_b32 s21, s21, s23
.LBB150_137:                            ;   in Loop: Header=BB150_126 Depth=2
	s_or_b32 exec_lo, exec_lo, s22
	s_delay_alu instid0(SALU_CYCLE_1)
	s_and_b32 s21, s21, exec_lo
                                        ; implicit-def: $vgpr25
.LBB150_138:                            ;   in Loop: Header=BB150_126 Depth=2
	s_and_not1_saveexec_b32 s20, s20
	s_cbranch_execz .LBB150_125
; %bb.139:                              ;   in Loop: Header=BB150_126 Depth=2
	v_mul_lo_u32 v23, v22, 56
	s_mov_b32 s22, 0
	s_delay_alu instid0(VALU_DEP_1)
	v_add_nc_u32_e32 v25, v25, v23
	ds_load_b64 v[23:24], v25 offset:528
.LBB150_140:                            ;   Parent Loop BB150_104 Depth=1
                                        ;     Parent Loop BB150_126 Depth=2
                                        ; =>    This Inner Loop Header: Depth=3
	s_waitcnt lgkmcnt(0)
	v_add_f64 v[26:27], v[23:24], v[11:12]
	ds_cmpstore_rtn_b64 v[26:27], v25, v[26:27], v[23:24] offset:528
	s_waitcnt lgkmcnt(0)
	v_cmp_eq_u64_e32 vcc_lo, v[26:27], v[23:24]
	v_dual_mov_b32 v23, v26 :: v_dual_mov_b32 v24, v27
	s_or_b32 s22, vcc_lo, s22
	s_delay_alu instid0(SALU_CYCLE_1)
	s_and_not1_b32 exec_lo, exec_lo, s22
	s_cbranch_execnz .LBB150_140
; %bb.141:                              ;   in Loop: Header=BB150_126 Depth=2
	s_or_b32 exec_lo, exec_lo, s22
	ds_load_b64 v[23:24], v25 offset:536
	s_mov_b32 s22, 0
.LBB150_142:                            ;   Parent Loop BB150_104 Depth=1
                                        ;     Parent Loop BB150_126 Depth=2
                                        ; =>    This Inner Loop Header: Depth=3
	s_waitcnt lgkmcnt(0)
	v_add_f64 v[26:27], v[23:24], v[9:10]
	ds_cmpstore_rtn_b64 v[26:27], v25, v[26:27], v[23:24] offset:536
	s_waitcnt lgkmcnt(0)
	v_cmp_eq_u64_e32 vcc_lo, v[26:27], v[23:24]
	v_dual_mov_b32 v23, v26 :: v_dual_mov_b32 v24, v27
	s_or_b32 s22, vcc_lo, s22
	s_delay_alu instid0(SALU_CYCLE_1)
	s_and_not1_b32 exec_lo, exec_lo, s22
	s_cbranch_execnz .LBB150_142
; %bb.143:                              ;   in Loop: Header=BB150_126 Depth=2
	s_or_b32 exec_lo, exec_lo, s22
	s_delay_alu instid0(SALU_CYCLE_1)
	s_and_not1_b32 s21, s21, exec_lo
	s_branch .LBB150_125
.LBB150_144:                            ;   in Loop: Header=BB150_104 Depth=1
	s_or_b32 exec_lo, exec_lo, s15
	s_waitcnt vmcnt(0)
	v_mul_f64 v[9:10], v[7:8], -v[17:18]
	v_mul_f64 v[11:12], v[19:20], v[7:8]
	s_mov_b32 s15, 0
	s_delay_alu instid0(VALU_DEP_2) | instskip(NEXT) | instid1(VALU_DEP_2)
	v_fma_f64 v[7:8], v[19:20], v[5:6], v[9:10]
	v_fma_f64 v[5:6], v[17:18], v[5:6], v[11:12]
	v_dual_mov_b32 v9, v21 :: v_dual_mov_b32 v10, v22
	s_branch .LBB150_146
.LBB150_145:                            ;   in Loop: Header=BB150_146 Depth=2
	s_or_b32 exec_lo, exec_lo, s20
	s_xor_b32 s20, s21, -1
	s_delay_alu instid0(SALU_CYCLE_1) | instskip(NEXT) | instid1(SALU_CYCLE_1)
	s_and_b32 s20, exec_lo, s20
	s_or_b32 s15, s20, s15
	s_delay_alu instid0(SALU_CYCLE_1)
	s_and_not1_b32 exec_lo, exec_lo, s15
	s_cbranch_execz .LBB150_164
.LBB150_146:                            ;   Parent Loop BB150_104 Depth=1
                                        ; =>  This Loop Header: Depth=2
                                        ;       Child Loop BB150_152 Depth 3
                                        ;       Child Loop BB150_154 Depth 3
	;; [unrolled: 1-line block ×4, first 2 shown]
	s_delay_alu instid0(VALU_DEP_1)
	v_lshl_add_u32 v12, v9, 3, 0
	s_mov_b32 s20, exec_lo
                                        ; implicit-def: $sgpr21
	ds_load_b64 v[10:11], v12
	s_waitcnt lgkmcnt(0)
	v_cmpx_ne_u64_e64 v[10:11], v[15:16]
	s_xor_b32 s20, exec_lo, s20
	s_cbranch_execz .LBB150_158
; %bb.147:                              ;   in Loop: Header=BB150_146 Depth=2
	s_mov_b32 s22, exec_lo
                                        ; implicit-def: $sgpr21
	v_cmpx_ne_u64_e64 s[18:19], v[10:11]
	s_xor_b32 s22, exec_lo, s22
; %bb.148:                              ;   in Loop: Header=BB150_146 Depth=2
	v_add_nc_u32_e32 v9, 1, v9
	s_mov_b32 s21, -1
                                        ; implicit-def: $vgpr12
	s_delay_alu instid0(VALU_DEP_1)
	v_and_b32_e32 v9, 63, v9
; %bb.149:                              ;   in Loop: Header=BB150_146 Depth=2
	s_and_not1_saveexec_b32 s22, s22
	s_cbranch_execz .LBB150_157
; %bb.150:                              ;   in Loop: Header=BB150_146 Depth=2
	v_dual_mov_b32 v10, s18 :: v_dual_mov_b32 v11, s19
	s_mov_b32 s25, -1
	s_mov_b32 s23, exec_lo
	ds_cmpstore_rtn_b64 v[10:11], v12, v[15:16], v[10:11]
	s_waitcnt lgkmcnt(0)
	v_cmpx_eq_u64_e64 s[18:19], v[10:11]
	s_cbranch_execz .LBB150_156
; %bb.151:                              ;   in Loop: Header=BB150_146 Depth=2
	v_mul_lo_u32 v10, v9, 56
	s_mov_b32 s25, 0
	s_delay_alu instid0(VALU_DEP_1)
	v_add_nc_u32_e32 v12, v12, v10
	ds_load_b64 v[10:11], v12 offset:544
.LBB150_152:                            ;   Parent Loop BB150_104 Depth=1
                                        ;     Parent Loop BB150_146 Depth=2
                                        ; =>    This Inner Loop Header: Depth=3
	s_waitcnt lgkmcnt(0)
	v_add_f64 v[22:23], v[10:11], v[7:8]
	ds_cmpstore_rtn_b64 v[22:23], v12, v[22:23], v[10:11] offset:544
	s_waitcnt lgkmcnt(0)
	v_cmp_eq_u64_e32 vcc_lo, v[22:23], v[10:11]
	v_dual_mov_b32 v10, v22 :: v_dual_mov_b32 v11, v23
	s_or_b32 s25, vcc_lo, s25
	s_delay_alu instid0(SALU_CYCLE_1)
	s_and_not1_b32 exec_lo, exec_lo, s25
	s_cbranch_execnz .LBB150_152
; %bb.153:                              ;   in Loop: Header=BB150_146 Depth=2
	s_or_b32 exec_lo, exec_lo, s25
	ds_load_b64 v[10:11], v12 offset:552
	s_mov_b32 s25, 0
.LBB150_154:                            ;   Parent Loop BB150_104 Depth=1
                                        ;     Parent Loop BB150_146 Depth=2
                                        ; =>    This Inner Loop Header: Depth=3
	s_waitcnt lgkmcnt(0)
	v_add_f64 v[22:23], v[10:11], v[5:6]
	ds_cmpstore_rtn_b64 v[22:23], v12, v[22:23], v[10:11] offset:552
	s_waitcnt lgkmcnt(0)
	v_cmp_eq_u64_e32 vcc_lo, v[22:23], v[10:11]
	v_dual_mov_b32 v10, v22 :: v_dual_mov_b32 v11, v23
	s_or_b32 s25, vcc_lo, s25
	s_delay_alu instid0(SALU_CYCLE_1)
	s_and_not1_b32 exec_lo, exec_lo, s25
	s_cbranch_execnz .LBB150_154
; %bb.155:                              ;   in Loop: Header=BB150_146 Depth=2
	s_or_b32 exec_lo, exec_lo, s25
	s_delay_alu instid0(SALU_CYCLE_1)
	s_xor_b32 s25, exec_lo, -1
.LBB150_156:                            ;   in Loop: Header=BB150_146 Depth=2
	s_or_b32 exec_lo, exec_lo, s23
	s_delay_alu instid0(SALU_CYCLE_1) | instskip(SKIP_1) | instid1(SALU_CYCLE_1)
	s_and_not1_b32 s21, s21, exec_lo
	s_and_b32 s23, s25, exec_lo
	s_or_b32 s21, s21, s23
.LBB150_157:                            ;   in Loop: Header=BB150_146 Depth=2
	s_or_b32 exec_lo, exec_lo, s22
	s_delay_alu instid0(SALU_CYCLE_1)
	s_and_b32 s21, s21, exec_lo
                                        ; implicit-def: $vgpr12
.LBB150_158:                            ;   in Loop: Header=BB150_146 Depth=2
	s_and_not1_saveexec_b32 s20, s20
	s_cbranch_execz .LBB150_145
; %bb.159:                              ;   in Loop: Header=BB150_146 Depth=2
	v_mul_lo_u32 v10, v9, 56
	s_mov_b32 s22, 0
	s_delay_alu instid0(VALU_DEP_1)
	v_add_nc_u32_e32 v12, v12, v10
	ds_load_b64 v[10:11], v12 offset:544
.LBB150_160:                            ;   Parent Loop BB150_104 Depth=1
                                        ;     Parent Loop BB150_146 Depth=2
                                        ; =>    This Inner Loop Header: Depth=3
	s_waitcnt lgkmcnt(0)
	v_add_f64 v[22:23], v[10:11], v[7:8]
	ds_cmpstore_rtn_b64 v[22:23], v12, v[22:23], v[10:11] offset:544
	s_waitcnt lgkmcnt(0)
	v_cmp_eq_u64_e32 vcc_lo, v[22:23], v[10:11]
	v_dual_mov_b32 v10, v22 :: v_dual_mov_b32 v11, v23
	s_or_b32 s22, vcc_lo, s22
	s_delay_alu instid0(SALU_CYCLE_1)
	s_and_not1_b32 exec_lo, exec_lo, s22
	s_cbranch_execnz .LBB150_160
; %bb.161:                              ;   in Loop: Header=BB150_146 Depth=2
	s_or_b32 exec_lo, exec_lo, s22
	ds_load_b64 v[10:11], v12 offset:552
	s_mov_b32 s22, 0
.LBB150_162:                            ;   Parent Loop BB150_104 Depth=1
                                        ;     Parent Loop BB150_146 Depth=2
                                        ; =>    This Inner Loop Header: Depth=3
	s_waitcnt lgkmcnt(0)
	v_add_f64 v[22:23], v[10:11], v[5:6]
	ds_cmpstore_rtn_b64 v[22:23], v12, v[22:23], v[10:11] offset:552
	s_waitcnt lgkmcnt(0)
	v_cmp_eq_u64_e32 vcc_lo, v[22:23], v[10:11]
	v_dual_mov_b32 v10, v22 :: v_dual_mov_b32 v11, v23
	s_or_b32 s22, vcc_lo, s22
	s_delay_alu instid0(SALU_CYCLE_1)
	s_and_not1_b32 exec_lo, exec_lo, s22
	s_cbranch_execnz .LBB150_162
; %bb.163:                              ;   in Loop: Header=BB150_146 Depth=2
	s_or_b32 exec_lo, exec_lo, s22
	s_delay_alu instid0(SALU_CYCLE_1)
	s_and_not1_b32 s21, s21, exec_lo
	s_branch .LBB150_145
.LBB150_164:                            ;   in Loop: Header=BB150_104 Depth=1
	s_or_b32 exec_lo, exec_lo, s15
	v_mul_f64 v[5:6], v[3:4], -v[17:18]
	v_mul_f64 v[7:8], v[19:20], v[3:4]
	s_mov_b32 s15, 0
	s_delay_alu instid0(VALU_DEP_2) | instskip(NEXT) | instid1(VALU_DEP_2)
	v_fma_f64 v[3:4], v[19:20], v[1:2], v[5:6]
	v_fma_f64 v[1:2], v[17:18], v[1:2], v[7:8]
	s_branch .LBB150_166
.LBB150_165:                            ;   in Loop: Header=BB150_166 Depth=2
	s_or_b32 exec_lo, exec_lo, s20
	s_xor_b32 s20, s21, -1
	s_delay_alu instid0(SALU_CYCLE_1) | instskip(NEXT) | instid1(SALU_CYCLE_1)
	s_and_b32 s20, exec_lo, s20
	s_or_b32 s15, s20, s15
	s_delay_alu instid0(SALU_CYCLE_1)
	s_and_not1_b32 exec_lo, exec_lo, s15
	s_cbranch_execz .LBB150_103
.LBB150_166:                            ;   Parent Loop BB150_104 Depth=1
                                        ; =>  This Loop Header: Depth=2
                                        ;       Child Loop BB150_172 Depth 3
                                        ;       Child Loop BB150_174 Depth 3
	;; [unrolled: 1-line block ×4, first 2 shown]
	v_lshl_add_u32 v7, v21, 3, 0
	s_mov_b32 s20, exec_lo
                                        ; implicit-def: $sgpr21
	ds_load_b64 v[5:6], v7
	s_waitcnt lgkmcnt(0)
	v_cmpx_ne_u64_e64 v[5:6], v[15:16]
	s_xor_b32 s20, exec_lo, s20
	s_cbranch_execz .LBB150_178
; %bb.167:                              ;   in Loop: Header=BB150_166 Depth=2
	s_mov_b32 s22, exec_lo
                                        ; implicit-def: $sgpr21
	v_cmpx_ne_u64_e64 s[18:19], v[5:6]
	s_xor_b32 s22, exec_lo, s22
; %bb.168:                              ;   in Loop: Header=BB150_166 Depth=2
	v_add_nc_u32_e32 v5, 1, v21
	s_mov_b32 s21, -1
                                        ; implicit-def: $vgpr7
	s_delay_alu instid0(VALU_DEP_1)
	v_and_b32_e32 v21, 63, v5
; %bb.169:                              ;   in Loop: Header=BB150_166 Depth=2
	s_and_not1_saveexec_b32 s22, s22
	s_cbranch_execz .LBB150_177
; %bb.170:                              ;   in Loop: Header=BB150_166 Depth=2
	v_dual_mov_b32 v5, s18 :: v_dual_mov_b32 v6, s19
	s_mov_b32 s25, -1
	s_mov_b32 s23, exec_lo
	ds_cmpstore_rtn_b64 v[5:6], v7, v[15:16], v[5:6]
	s_waitcnt lgkmcnt(0)
	v_cmpx_eq_u64_e64 s[18:19], v[5:6]
	s_cbranch_execz .LBB150_176
; %bb.171:                              ;   in Loop: Header=BB150_166 Depth=2
	v_mul_lo_u32 v5, v21, 56
	s_mov_b32 s25, 0
	s_delay_alu instid0(VALU_DEP_1)
	v_add_nc_u32_e32 v7, v7, v5
	ds_load_b64 v[5:6], v7 offset:560
.LBB150_172:                            ;   Parent Loop BB150_104 Depth=1
                                        ;     Parent Loop BB150_166 Depth=2
                                        ; =>    This Inner Loop Header: Depth=3
	s_waitcnt lgkmcnt(0)
	v_add_f64 v[8:9], v[5:6], v[3:4]
	ds_cmpstore_rtn_b64 v[8:9], v7, v[8:9], v[5:6] offset:560
	s_waitcnt lgkmcnt(0)
	v_cmp_eq_u64_e32 vcc_lo, v[8:9], v[5:6]
	v_dual_mov_b32 v5, v8 :: v_dual_mov_b32 v6, v9
	s_or_b32 s25, vcc_lo, s25
	s_delay_alu instid0(SALU_CYCLE_1)
	s_and_not1_b32 exec_lo, exec_lo, s25
	s_cbranch_execnz .LBB150_172
; %bb.173:                              ;   in Loop: Header=BB150_166 Depth=2
	s_or_b32 exec_lo, exec_lo, s25
	ds_load_b64 v[5:6], v7 offset:568
	s_mov_b32 s25, 0
.LBB150_174:                            ;   Parent Loop BB150_104 Depth=1
                                        ;     Parent Loop BB150_166 Depth=2
                                        ; =>    This Inner Loop Header: Depth=3
	s_waitcnt lgkmcnt(0)
	v_add_f64 v[8:9], v[5:6], v[1:2]
	ds_cmpstore_rtn_b64 v[8:9], v7, v[8:9], v[5:6] offset:568
	s_waitcnt lgkmcnt(0)
	v_cmp_eq_u64_e32 vcc_lo, v[8:9], v[5:6]
	v_dual_mov_b32 v5, v8 :: v_dual_mov_b32 v6, v9
	s_or_b32 s25, vcc_lo, s25
	s_delay_alu instid0(SALU_CYCLE_1)
	s_and_not1_b32 exec_lo, exec_lo, s25
	s_cbranch_execnz .LBB150_174
; %bb.175:                              ;   in Loop: Header=BB150_166 Depth=2
	s_or_b32 exec_lo, exec_lo, s25
	s_delay_alu instid0(SALU_CYCLE_1)
	s_xor_b32 s25, exec_lo, -1
.LBB150_176:                            ;   in Loop: Header=BB150_166 Depth=2
	s_or_b32 exec_lo, exec_lo, s23
	s_delay_alu instid0(SALU_CYCLE_1) | instskip(SKIP_1) | instid1(SALU_CYCLE_1)
	s_and_not1_b32 s21, s21, exec_lo
	s_and_b32 s23, s25, exec_lo
	s_or_b32 s21, s21, s23
.LBB150_177:                            ;   in Loop: Header=BB150_166 Depth=2
	s_or_b32 exec_lo, exec_lo, s22
	s_delay_alu instid0(SALU_CYCLE_1)
	s_and_b32 s21, s21, exec_lo
                                        ; implicit-def: $vgpr7
.LBB150_178:                            ;   in Loop: Header=BB150_166 Depth=2
	s_and_not1_saveexec_b32 s20, s20
	s_cbranch_execz .LBB150_165
; %bb.179:                              ;   in Loop: Header=BB150_166 Depth=2
	v_mul_lo_u32 v5, v21, 56
	s_mov_b32 s22, 0
	s_delay_alu instid0(VALU_DEP_1)
	v_add_nc_u32_e32 v7, v7, v5
	ds_load_b64 v[5:6], v7 offset:560
.LBB150_180:                            ;   Parent Loop BB150_104 Depth=1
                                        ;     Parent Loop BB150_166 Depth=2
                                        ; =>    This Inner Loop Header: Depth=3
	s_waitcnt lgkmcnt(0)
	v_add_f64 v[8:9], v[5:6], v[3:4]
	ds_cmpstore_rtn_b64 v[8:9], v7, v[8:9], v[5:6] offset:560
	s_waitcnt lgkmcnt(0)
	v_cmp_eq_u64_e32 vcc_lo, v[8:9], v[5:6]
	v_dual_mov_b32 v5, v8 :: v_dual_mov_b32 v6, v9
	s_or_b32 s22, vcc_lo, s22
	s_delay_alu instid0(SALU_CYCLE_1)
	s_and_not1_b32 exec_lo, exec_lo, s22
	s_cbranch_execnz .LBB150_180
; %bb.181:                              ;   in Loop: Header=BB150_166 Depth=2
	s_or_b32 exec_lo, exec_lo, s22
	ds_load_b64 v[5:6], v7 offset:568
	s_mov_b32 s22, 0
.LBB150_182:                            ;   Parent Loop BB150_104 Depth=1
                                        ;     Parent Loop BB150_166 Depth=2
                                        ; =>    This Inner Loop Header: Depth=3
	s_waitcnt lgkmcnt(0)
	v_add_f64 v[8:9], v[5:6], v[1:2]
	ds_cmpstore_rtn_b64 v[8:9], v7, v[8:9], v[5:6] offset:568
	s_waitcnt lgkmcnt(0)
	v_cmp_eq_u64_e32 vcc_lo, v[8:9], v[5:6]
	v_dual_mov_b32 v5, v8 :: v_dual_mov_b32 v6, v9
	s_or_b32 s22, vcc_lo, s22
	s_delay_alu instid0(SALU_CYCLE_1)
	s_and_not1_b32 exec_lo, exec_lo, s22
	s_cbranch_execnz .LBB150_182
; %bb.183:                              ;   in Loop: Header=BB150_166 Depth=2
	s_or_b32 exec_lo, exec_lo, s22
	s_delay_alu instid0(SALU_CYCLE_1)
	s_and_not1_b32 s21, s21, exec_lo
	s_branch .LBB150_165
.LBB150_184:
	s_or_b32 exec_lo, exec_lo, s10
.LBB150_185:
	s_barrier
	buffer_gl0_inv
	s_and_saveexec_b32 s3, s2
	s_cbranch_execz .LBB150_188
; %bb.186:
	ds_load_b64 v[1:2], v57
	s_waitcnt lgkmcnt(0)
	v_cmp_gt_i64_e32 vcc_lo, s[18:19], v[1:2]
	s_and_b32 exec_lo, exec_lo, vcc_lo
	s_cbranch_execz .LBB150_188
; %bb.187:
	s_load_b128 s[4:7], s[0:1], 0x90
	v_mov_b32_e32 v3, 0
	s_lshl_b64 s[2:3], s[16:17], 3
	s_load_b64 s[0:1], s[0:1], 0xa0
	ds_load_2addr_b64 v[4:7], v3 offset1:1
	s_waitcnt lgkmcnt(0)
	s_add_u32 s2, s4, s2
	s_addc_u32 s3, s5, s3
	s_load_b64 s[2:3], s[2:3], 0x0
	ds_load_2addr_b64 v[8:11], v3 offset0:2 offset1:3
	ds_load_2addr_b64 v[12:15], v3 offset0:4 offset1:5
	ds_load_2addr_b64 v[16:19], v3 offset0:6 offset1:7
	ds_load_2addr_b64 v[20:23], v3 offset0:8 offset1:9
	ds_load_2addr_b64 v[24:27], v3 offset0:10 offset1:11
	ds_load_2addr_b64 v[28:31], v3 offset0:12 offset1:13
	ds_load_2addr_b64 v[32:35], v3 offset0:14 offset1:15
	ds_load_2addr_b64 v[36:39], v3 offset0:16 offset1:17
	ds_load_2addr_b64 v[40:43], v3 offset0:18 offset1:19
	ds_load_2addr_b64 v[44:47], v3 offset0:20 offset1:21
	ds_load_2addr_b64 v[48:51], v3 offset0:22 offset1:23
	v_cmp_gt_i64_e32 vcc_lo, v[1:2], v[4:5]
	v_cndmask_b32_e64 v4, 0, 1, vcc_lo
	v_cmp_gt_i64_e32 vcc_lo, v[1:2], v[6:7]
	v_cndmask_b32_e64 v5, 0, 1, vcc_lo
	s_waitcnt lgkmcnt(0)
	v_cmp_gt_i64_e32 vcc_lo, v[1:2], v[8:9]
	s_sub_u32 s2, s2, s14
	s_subb_u32 s3, s3, 0
	v_add_co_u32 v4, s2, s2, v4
	s_delay_alu instid0(VALU_DEP_1) | instskip(SKIP_1) | instid1(VALU_DEP_3)
	v_add_co_ci_u32_e64 v6, null, s3, 0, s2
	v_cndmask_b32_e64 v7, 0, 1, vcc_lo
	v_add_co_u32 v4, vcc_lo, v4, v5
	s_delay_alu instid0(VALU_DEP_3)
	v_add_co_ci_u32_e32 v5, vcc_lo, 0, v6, vcc_lo
	v_cmp_gt_i64_e32 vcc_lo, v[1:2], v[10:11]
	s_cmp_eq_u32 s24, 0
	s_cselect_b32 s2, 1, 2
	s_cselect_b32 s3, 2, 1
	v_cndmask_b32_e64 v6, 0, 1, vcc_lo
	v_add_co_u32 v4, vcc_lo, v4, v7
	v_add_co_ci_u32_e32 v5, vcc_lo, 0, v5, vcc_lo
	v_cmp_gt_i64_e32 vcc_lo, v[1:2], v[12:13]
	v_cndmask_b32_e64 v7, 0, 1, vcc_lo
	s_delay_alu instid0(VALU_DEP_4) | instskip(NEXT) | instid1(VALU_DEP_4)
	v_add_co_u32 v4, vcc_lo, v4, v6
	v_add_co_ci_u32_e32 v5, vcc_lo, 0, v5, vcc_lo
	v_cmp_gt_i64_e32 vcc_lo, v[1:2], v[14:15]
	v_cndmask_b32_e64 v6, 0, 1, vcc_lo
	s_delay_alu instid0(VALU_DEP_4) | instskip(NEXT) | instid1(VALU_DEP_4)
	;; [unrolled: 5-line block ×17, first 2 shown]
	v_add_co_u32 v9, vcc_lo, v4, v6
	v_add_co_ci_u32_e32 v10, vcc_lo, 0, v5, vcc_lo
	v_cmp_gt_i64_e32 vcc_lo, v[1:2], v[46:47]
	ds_load_2addr_b64 v[4:7], v3 offset0:24 offset1:25
	v_cndmask_b32_e64 v11, 0, 1, vcc_lo
	v_add_co_u32 v8, vcc_lo, v9, v8
	v_add_co_ci_u32_e32 v9, vcc_lo, 0, v10, vcc_lo
	s_delay_alu instid0(VALU_DEP_2) | instskip(NEXT) | instid1(VALU_DEP_2)
	v_add_co_u32 v12, vcc_lo, v8, v11
	v_add_co_ci_u32_e32 v13, vcc_lo, 0, v9, vcc_lo
	ds_load_2addr_b64 v[8:11], v3 offset0:26 offset1:27
	v_cmp_gt_i64_e32 vcc_lo, v[1:2], v[48:49]
	v_cndmask_b32_e64 v14, 0, 1, vcc_lo
	v_cmp_gt_i64_e32 vcc_lo, v[1:2], v[50:51]
	v_cndmask_b32_e64 v15, 0, 1, vcc_lo
	s_delay_alu instid0(VALU_DEP_3) | instskip(SKIP_1) | instid1(VALU_DEP_2)
	v_add_co_u32 v12, vcc_lo, v12, v14
	v_add_co_ci_u32_e32 v13, vcc_lo, 0, v13, vcc_lo
	v_add_co_u32 v12, vcc_lo, v12, v15
	s_delay_alu instid0(VALU_DEP_2)
	v_add_co_ci_u32_e32 v13, vcc_lo, 0, v13, vcc_lo
	s_waitcnt lgkmcnt(1)
	v_cmp_gt_i64_e32 vcc_lo, v[1:2], v[4:5]
	v_cndmask_b32_e64 v14, 0, 1, vcc_lo
	v_cmp_gt_i64_e32 vcc_lo, v[1:2], v[6:7]
	ds_load_2addr_b64 v[4:7], v3 offset0:28 offset1:29
	v_cndmask_b32_e64 v15, 0, 1, vcc_lo
	v_add_co_u32 v12, vcc_lo, v12, v14
	v_add_co_ci_u32_e32 v13, vcc_lo, 0, v13, vcc_lo
	s_waitcnt lgkmcnt(1)
	v_cmp_gt_i64_e32 vcc_lo, v[1:2], v[8:9]
	v_cndmask_b32_e64 v8, 0, 1, vcc_lo
	v_add_co_u32 v9, vcc_lo, v12, v15
	v_add_co_ci_u32_e32 v12, vcc_lo, 0, v13, vcc_lo
	v_cmp_gt_i64_e32 vcc_lo, v[1:2], v[10:11]
	v_cndmask_b32_e64 v13, 0, 1, vcc_lo
	s_delay_alu instid0(VALU_DEP_4) | instskip(SKIP_3) | instid1(VALU_DEP_2)
	v_add_co_u32 v14, vcc_lo, v9, v8
	ds_load_2addr_b64 v[8:11], v3 offset0:30 offset1:31
	v_add_co_ci_u32_e32 v12, vcc_lo, 0, v12, vcc_lo
	v_add_co_u32 v16, vcc_lo, v14, v13
	v_add_co_ci_u32_e32 v17, vcc_lo, 0, v12, vcc_lo
	s_waitcnt lgkmcnt(1)
	v_cmp_gt_i64_e32 vcc_lo, v[1:2], v[4:5]
	ds_load_2addr_b64 v[12:15], v3 offset0:32 offset1:33
	v_cndmask_b32_e64 v4, 0, 1, vcc_lo
	v_cmp_gt_i64_e32 vcc_lo, v[1:2], v[6:7]
	v_cndmask_b32_e64 v5, 0, 1, vcc_lo
	s_delay_alu instid0(VALU_DEP_3) | instskip(SKIP_1) | instid1(VALU_DEP_2)
	v_add_co_u32 v4, vcc_lo, v16, v4
	v_add_co_ci_u32_e32 v6, vcc_lo, 0, v17, vcc_lo
	v_add_co_u32 v16, vcc_lo, v4, v5
	s_delay_alu instid0(VALU_DEP_2)
	v_add_co_ci_u32_e32 v17, vcc_lo, 0, v6, vcc_lo
	ds_load_2addr_b64 v[4:7], v3 offset0:34 offset1:35
	s_waitcnt lgkmcnt(2)
	v_cmp_gt_i64_e32 vcc_lo, v[1:2], v[8:9]
	v_cndmask_b32_e64 v8, 0, 1, vcc_lo
	v_cmp_gt_i64_e32 vcc_lo, v[1:2], v[10:11]
	v_cndmask_b32_e64 v9, 0, 1, vcc_lo
	s_delay_alu instid0(VALU_DEP_3)
	v_add_co_u32 v8, vcc_lo, v16, v8
	v_add_co_ci_u32_e32 v10, vcc_lo, 0, v17, vcc_lo
	s_waitcnt lgkmcnt(1)
	v_cmp_gt_i64_e32 vcc_lo, v[1:2], v[12:13]
	v_cndmask_b32_e64 v11, 0, 1, vcc_lo
	v_add_co_u32 v8, vcc_lo, v8, v9
	v_add_co_ci_u32_e32 v9, vcc_lo, 0, v10, vcc_lo
	v_cmp_gt_i64_e32 vcc_lo, v[1:2], v[14:15]
	v_cndmask_b32_e64 v12, 0, 1, vcc_lo
	s_delay_alu instid0(VALU_DEP_4) | instskip(NEXT) | instid1(VALU_DEP_4)
	v_add_co_u32 v13, vcc_lo, v8, v11
	v_add_co_ci_u32_e32 v14, vcc_lo, 0, v9, vcc_lo
	ds_load_2addr_b64 v[8:11], v3 offset0:36 offset1:37
	v_add_co_u32 v16, vcc_lo, v13, v12
	v_add_co_ci_u32_e32 v17, vcc_lo, 0, v14, vcc_lo
	ds_load_2addr_b64 v[12:15], v3 offset0:38 offset1:39
	s_waitcnt lgkmcnt(2)
	v_cmp_gt_i64_e32 vcc_lo, v[1:2], v[4:5]
	v_cndmask_b32_e64 v4, 0, 1, vcc_lo
	v_cmp_gt_i64_e32 vcc_lo, v[1:2], v[6:7]
	v_cndmask_b32_e64 v5, 0, 1, vcc_lo
	s_delay_alu instid0(VALU_DEP_3) | instskip(SKIP_1) | instid1(VALU_DEP_2)
	v_add_co_u32 v4, vcc_lo, v16, v4
	v_add_co_ci_u32_e32 v6, vcc_lo, 0, v17, vcc_lo
	v_add_co_u32 v16, vcc_lo, v4, v5
	s_delay_alu instid0(VALU_DEP_2)
	v_add_co_ci_u32_e32 v17, vcc_lo, 0, v6, vcc_lo
	s_waitcnt lgkmcnt(1)
	v_cmp_gt_i64_e32 vcc_lo, v[1:2], v[8:9]
	ds_load_2addr_b64 v[4:7], v3 offset0:40 offset1:41
	v_cndmask_b32_e64 v8, 0, 1, vcc_lo
	v_cmp_gt_i64_e32 vcc_lo, v[1:2], v[10:11]
	v_cndmask_b32_e64 v9, 0, 1, vcc_lo
	s_delay_alu instid0(VALU_DEP_3)
	v_add_co_u32 v8, vcc_lo, v16, v8
	v_add_co_ci_u32_e32 v10, vcc_lo, 0, v17, vcc_lo
	s_waitcnt lgkmcnt(1)
	v_cmp_gt_i64_e32 vcc_lo, v[1:2], v[12:13]
	v_cndmask_b32_e64 v11, 0, 1, vcc_lo
	v_add_co_u32 v8, vcc_lo, v8, v9
	v_add_co_ci_u32_e32 v9, vcc_lo, 0, v10, vcc_lo
	v_cmp_gt_i64_e32 vcc_lo, v[1:2], v[14:15]
	v_cndmask_b32_e64 v12, 0, 1, vcc_lo
	s_delay_alu instid0(VALU_DEP_4) | instskip(NEXT) | instid1(VALU_DEP_4)
	v_add_co_u32 v13, vcc_lo, v8, v11
	v_add_co_ci_u32_e32 v14, vcc_lo, 0, v9, vcc_lo
	ds_load_2addr_b64 v[8:11], v3 offset0:42 offset1:43
	v_add_co_u32 v16, vcc_lo, v13, v12
	v_add_co_ci_u32_e32 v17, vcc_lo, 0, v14, vcc_lo
	s_waitcnt lgkmcnt(1)
	v_cmp_gt_i64_e32 vcc_lo, v[1:2], v[4:5]
	ds_load_2addr_b64 v[12:15], v3 offset0:44 offset1:45
	v_cndmask_b32_e64 v4, 0, 1, vcc_lo
	v_cmp_gt_i64_e32 vcc_lo, v[1:2], v[6:7]
	v_cndmask_b32_e64 v5, 0, 1, vcc_lo
	s_delay_alu instid0(VALU_DEP_3) | instskip(SKIP_1) | instid1(VALU_DEP_2)
	v_add_co_u32 v4, vcc_lo, v16, v4
	v_add_co_ci_u32_e32 v6, vcc_lo, 0, v17, vcc_lo
	v_add_co_u32 v16, vcc_lo, v4, v5
	s_delay_alu instid0(VALU_DEP_2)
	v_add_co_ci_u32_e32 v17, vcc_lo, 0, v6, vcc_lo
	ds_load_2addr_b64 v[4:7], v3 offset0:46 offset1:47
	s_waitcnt lgkmcnt(2)
	v_cmp_gt_i64_e32 vcc_lo, v[1:2], v[8:9]
	v_cndmask_b32_e64 v8, 0, 1, vcc_lo
	v_cmp_gt_i64_e32 vcc_lo, v[1:2], v[10:11]
	v_cndmask_b32_e64 v9, 0, 1, vcc_lo
	s_delay_alu instid0(VALU_DEP_3)
	v_add_co_u32 v8, vcc_lo, v16, v8
	v_add_co_ci_u32_e32 v10, vcc_lo, 0, v17, vcc_lo
	s_waitcnt lgkmcnt(1)
	v_cmp_gt_i64_e32 vcc_lo, v[1:2], v[12:13]
	v_cndmask_b32_e64 v11, 0, 1, vcc_lo
	v_add_co_u32 v8, vcc_lo, v8, v9
	v_add_co_ci_u32_e32 v9, vcc_lo, 0, v10, vcc_lo
	v_cmp_gt_i64_e32 vcc_lo, v[1:2], v[14:15]
	v_cndmask_b32_e64 v12, 0, 1, vcc_lo
	s_delay_alu instid0(VALU_DEP_4) | instskip(NEXT) | instid1(VALU_DEP_4)
	v_add_co_u32 v13, vcc_lo, v8, v11
	v_add_co_ci_u32_e32 v14, vcc_lo, 0, v9, vcc_lo
	ds_load_2addr_b64 v[8:11], v3 offset0:48 offset1:49
	v_add_co_u32 v16, vcc_lo, v13, v12
	v_add_co_ci_u32_e32 v17, vcc_lo, 0, v14, vcc_lo
	ds_load_2addr_b64 v[12:15], v3 offset0:50 offset1:51
	s_waitcnt lgkmcnt(2)
	v_cmp_gt_i64_e32 vcc_lo, v[1:2], v[4:5]
	v_cndmask_b32_e64 v4, 0, 1, vcc_lo
	v_cmp_gt_i64_e32 vcc_lo, v[1:2], v[6:7]
	v_cndmask_b32_e64 v5, 0, 1, vcc_lo
	s_delay_alu instid0(VALU_DEP_3) | instskip(SKIP_1) | instid1(VALU_DEP_2)
	v_add_co_u32 v4, vcc_lo, v16, v4
	v_add_co_ci_u32_e32 v6, vcc_lo, 0, v17, vcc_lo
	v_add_co_u32 v16, vcc_lo, v4, v5
	s_delay_alu instid0(VALU_DEP_2)
	v_add_co_ci_u32_e32 v17, vcc_lo, 0, v6, vcc_lo
	s_waitcnt lgkmcnt(1)
	v_cmp_gt_i64_e32 vcc_lo, v[1:2], v[8:9]
	ds_load_2addr_b64 v[4:7], v3 offset0:52 offset1:53
	v_cndmask_b32_e64 v8, 0, 1, vcc_lo
	v_cmp_gt_i64_e32 vcc_lo, v[1:2], v[10:11]
	v_cndmask_b32_e64 v9, 0, 1, vcc_lo
	s_delay_alu instid0(VALU_DEP_3)
	v_add_co_u32 v8, vcc_lo, v16, v8
	v_add_co_ci_u32_e32 v10, vcc_lo, 0, v17, vcc_lo
	s_waitcnt lgkmcnt(1)
	v_cmp_gt_i64_e32 vcc_lo, v[1:2], v[12:13]
	v_cndmask_b32_e64 v11, 0, 1, vcc_lo
	v_add_co_u32 v8, vcc_lo, v8, v9
	v_add_co_ci_u32_e32 v9, vcc_lo, 0, v10, vcc_lo
	v_cmp_gt_i64_e32 vcc_lo, v[1:2], v[14:15]
	v_cndmask_b32_e64 v12, 0, 1, vcc_lo
	s_delay_alu instid0(VALU_DEP_4) | instskip(NEXT) | instid1(VALU_DEP_4)
	v_add_co_u32 v13, vcc_lo, v8, v11
	v_add_co_ci_u32_e32 v14, vcc_lo, 0, v9, vcc_lo
	ds_load_2addr_b64 v[8:11], v3 offset0:54 offset1:55
	v_add_co_u32 v16, vcc_lo, v13, v12
	v_add_co_ci_u32_e32 v17, vcc_lo, 0, v14, vcc_lo
	s_waitcnt lgkmcnt(1)
	v_cmp_gt_i64_e32 vcc_lo, v[1:2], v[4:5]
	ds_load_2addr_b64 v[12:15], v3 offset0:56 offset1:57
	v_cndmask_b32_e64 v4, 0, 1, vcc_lo
	v_cmp_gt_i64_e32 vcc_lo, v[1:2], v[6:7]
	v_cndmask_b32_e64 v5, 0, 1, vcc_lo
	s_delay_alu instid0(VALU_DEP_3) | instskip(SKIP_1) | instid1(VALU_DEP_2)
	v_add_co_u32 v4, vcc_lo, v16, v4
	v_add_co_ci_u32_e32 v6, vcc_lo, 0, v17, vcc_lo
	v_add_co_u32 v16, vcc_lo, v4, v5
	s_delay_alu instid0(VALU_DEP_2)
	v_add_co_ci_u32_e32 v17, vcc_lo, 0, v6, vcc_lo
	ds_load_2addr_b64 v[4:7], v3 offset0:58 offset1:59
	s_waitcnt lgkmcnt(2)
	v_cmp_gt_i64_e32 vcc_lo, v[1:2], v[8:9]
	v_cndmask_b32_e64 v8, 0, 1, vcc_lo
	v_cmp_gt_i64_e32 vcc_lo, v[1:2], v[10:11]
	v_cndmask_b32_e64 v9, 0, 1, vcc_lo
	s_delay_alu instid0(VALU_DEP_3)
	v_add_co_u32 v8, vcc_lo, v16, v8
	v_add_co_ci_u32_e32 v10, vcc_lo, 0, v17, vcc_lo
	s_waitcnt lgkmcnt(1)
	v_cmp_gt_i64_e32 vcc_lo, v[1:2], v[12:13]
	v_cndmask_b32_e64 v12, 0, 1, vcc_lo
	v_add_co_u32 v13, vcc_lo, v8, v9
	v_add_co_ci_u32_e32 v16, vcc_lo, 0, v10, vcc_lo
	ds_load_2addr_b64 v[8:11], v3 offset0:60 offset1:61
	v_add_co_u32 v17, vcc_lo, v13, v12
	v_add_co_ci_u32_e32 v16, vcc_lo, 0, v16, vcc_lo
	v_cmp_gt_i64_e32 vcc_lo, v[1:2], v[14:15]
	ds_load_2addr_b64 v[12:15], v3 offset0:62 offset1:63
	v_cndmask_b32_e64 v18, 0, 1, vcc_lo
	s_waitcnt lgkmcnt(2)
	v_cmp_gt_i64_e32 vcc_lo, v[1:2], v[4:5]
	v_cndmask_b32_e64 v4, 0, 1, vcc_lo
	s_delay_alu instid0(VALU_DEP_3) | instskip(SKIP_3) | instid1(VALU_DEP_4)
	v_add_co_u32 v3, vcc_lo, v17, v18
	v_add_co_ci_u32_e32 v5, vcc_lo, 0, v16, vcc_lo
	v_cmp_gt_i64_e32 vcc_lo, v[1:2], v[6:7]
	v_cndmask_b32_e64 v6, 0, 1, vcc_lo
	v_add_co_u32 v3, vcc_lo, v3, v4
	s_delay_alu instid0(VALU_DEP_4)
	v_add_co_ci_u32_e32 v4, vcc_lo, 0, v5, vcc_lo
	s_waitcnt lgkmcnt(1)
	v_cmp_gt_i64_e32 vcc_lo, v[1:2], v[8:9]
	v_cndmask_b32_e64 v5, 0, 1, vcc_lo
	v_add_co_u32 v3, vcc_lo, v3, v6
	v_add_co_ci_u32_e32 v4, vcc_lo, 0, v4, vcc_lo
	v_cmp_gt_i64_e32 vcc_lo, v[1:2], v[10:11]
	v_cndmask_b32_e64 v6, 0, 1, vcc_lo
	s_delay_alu instid0(VALU_DEP_4) | instskip(NEXT) | instid1(VALU_DEP_4)
	v_add_co_u32 v3, vcc_lo, v3, v5
	v_add_co_ci_u32_e32 v4, vcc_lo, 0, v4, vcc_lo
	s_waitcnt lgkmcnt(0)
	v_cmp_gt_i64_e32 vcc_lo, v[1:2], v[12:13]
	v_cndmask_b32_e64 v5, 0, 1, vcc_lo
	v_add_co_u32 v3, vcc_lo, v3, v6
	v_add_co_ci_u32_e32 v4, vcc_lo, 0, v4, vcc_lo
	s_delay_alu instid0(VALU_DEP_2) | instskip(NEXT) | instid1(VALU_DEP_2)
	v_add_co_u32 v3, vcc_lo, v3, v5
	v_add_co_ci_u32_e32 v4, vcc_lo, 0, v4, vcc_lo
	v_cmp_gt_i64_e32 vcc_lo, v[1:2], v[14:15]
	v_lshlrev_b32_e32 v5, 2, v0
	v_lshlrev_b32_e32 v0, 6, v0
	v_cndmask_b32_e64 v6, 0, 1, vcc_lo
	s_delay_alu instid0(VALU_DEP_3) | instskip(SKIP_1) | instid1(VALU_DEP_3)
	v_or_b32_e32 v7, s2, v5
	v_or_b32_e32 v5, s3, v5
	v_add_co_u32 v19, vcc_lo, v3, v6
	v_add_nc_u32_e32 v3, 0, v0
	s_delay_alu instid0(VALU_DEP_4) | instskip(NEXT) | instid1(VALU_DEP_4)
	v_lshl_add_u32 v7, v7, 4, 0
	v_lshl_add_u32 v11, v5, 4, 0
	v_add3_u32 v0, 0, 0x200, v0
	v_add_co_ci_u32_e32 v20, vcc_lo, 0, v4, vcc_lo
	ds_load_2addr_b64 v[3:6], v3 offset0:64 offset1:65
	ds_load_2addr_b64 v[7:10], v7 offset0:64 offset1:65
	;; [unrolled: 1-line block ×4, first 2 shown]
	v_add_co_u32 v0, vcc_lo, v1, s14
	v_lshlrev_b64 v[21:22], 3, v[19:20]
	v_lshlrev_b64 v[19:20], 6, v[19:20]
	v_add_co_ci_u32_e32 v1, vcc_lo, 0, v2, vcc_lo
	s_delay_alu instid0(VALU_DEP_3) | instskip(NEXT) | instid1(VALU_DEP_4)
	v_add_co_u32 v21, vcc_lo, s6, v21
	v_add_co_ci_u32_e32 v22, vcc_lo, s7, v22, vcc_lo
	s_delay_alu instid0(VALU_DEP_4)
	v_add_co_u32 v19, vcc_lo, s0, v19
	v_add_co_ci_u32_e32 v20, vcc_lo, s1, v20, vcc_lo
	global_store_b64 v[21:22], v[0:1], off
	s_waitcnt lgkmcnt(3)
	global_store_b128 v[19:20], v[3:6], off
	s_waitcnt lgkmcnt(2)
	global_store_b128 v[19:20], v[7:10], off offset:16
	s_waitcnt lgkmcnt(1)
	global_store_b128 v[19:20], v[11:14], off offset:32
	;; [unrolled: 2-line block ×3, first 2 shown]
.LBB150_188:
	s_nop 0
	s_sendmsg sendmsg(MSG_DEALLOC_VGPRS)
	s_endpgm
	.section	.rodata,"a",@progbits
	.p2align	6, 0x0
	.amdhsa_kernel _ZN9rocsparseL30bsrgemm_fill_block_per_row_2x2ILj256ELj16ELj64ELj137Ell21rocsparse_complex_numIdEEEv20rocsparse_direction_T4_S4_PKS4_S6_NS_24const_host_device_scalarIT5_EEPKT3_S6_PKS8_SC_S6_SE_S9_SC_S6_SE_SC_PS4_PS8_21rocsparse_index_base_SH_SH_SH_bbb
		.amdhsa_group_segment_fixed_size 0
		.amdhsa_private_segment_fixed_size 24
		.amdhsa_kernarg_size 188
		.amdhsa_user_sgpr_count 15
		.amdhsa_user_sgpr_dispatch_ptr 0
		.amdhsa_user_sgpr_queue_ptr 0
		.amdhsa_user_sgpr_kernarg_segment_ptr 1
		.amdhsa_user_sgpr_dispatch_id 0
		.amdhsa_user_sgpr_private_segment_size 0
		.amdhsa_wavefront_size32 1
		.amdhsa_uses_dynamic_stack 0
		.amdhsa_enable_private_segment 1
		.amdhsa_system_sgpr_workgroup_id_x 1
		.amdhsa_system_sgpr_workgroup_id_y 0
		.amdhsa_system_sgpr_workgroup_id_z 0
		.amdhsa_system_sgpr_workgroup_info 0
		.amdhsa_system_vgpr_workitem_id 0
		.amdhsa_next_free_vgpr 63
		.amdhsa_next_free_sgpr 38
		.amdhsa_reserve_vcc 1
		.amdhsa_float_round_mode_32 0
		.amdhsa_float_round_mode_16_64 0
		.amdhsa_float_denorm_mode_32 3
		.amdhsa_float_denorm_mode_16_64 3
		.amdhsa_dx10_clamp 1
		.amdhsa_ieee_mode 1
		.amdhsa_fp16_overflow 0
		.amdhsa_workgroup_processor_mode 1
		.amdhsa_memory_ordered 1
		.amdhsa_forward_progress 0
		.amdhsa_shared_vgpr_count 0
		.amdhsa_exception_fp_ieee_invalid_op 0
		.amdhsa_exception_fp_denorm_src 0
		.amdhsa_exception_fp_ieee_div_zero 0
		.amdhsa_exception_fp_ieee_overflow 0
		.amdhsa_exception_fp_ieee_underflow 0
		.amdhsa_exception_fp_ieee_inexact 0
		.amdhsa_exception_int_div_zero 0
	.end_amdhsa_kernel
	.section	.text._ZN9rocsparseL30bsrgemm_fill_block_per_row_2x2ILj256ELj16ELj64ELj137Ell21rocsparse_complex_numIdEEEv20rocsparse_direction_T4_S4_PKS4_S6_NS_24const_host_device_scalarIT5_EEPKT3_S6_PKS8_SC_S6_SE_S9_SC_S6_SE_SC_PS4_PS8_21rocsparse_index_base_SH_SH_SH_bbb,"axG",@progbits,_ZN9rocsparseL30bsrgemm_fill_block_per_row_2x2ILj256ELj16ELj64ELj137Ell21rocsparse_complex_numIdEEEv20rocsparse_direction_T4_S4_PKS4_S6_NS_24const_host_device_scalarIT5_EEPKT3_S6_PKS8_SC_S6_SE_S9_SC_S6_SE_SC_PS4_PS8_21rocsparse_index_base_SH_SH_SH_bbb,comdat
.Lfunc_end150:
	.size	_ZN9rocsparseL30bsrgemm_fill_block_per_row_2x2ILj256ELj16ELj64ELj137Ell21rocsparse_complex_numIdEEEv20rocsparse_direction_T4_S4_PKS4_S6_NS_24const_host_device_scalarIT5_EEPKT3_S6_PKS8_SC_S6_SE_S9_SC_S6_SE_SC_PS4_PS8_21rocsparse_index_base_SH_SH_SH_bbb, .Lfunc_end150-_ZN9rocsparseL30bsrgemm_fill_block_per_row_2x2ILj256ELj16ELj64ELj137Ell21rocsparse_complex_numIdEEEv20rocsparse_direction_T4_S4_PKS4_S6_NS_24const_host_device_scalarIT5_EEPKT3_S6_PKS8_SC_S6_SE_S9_SC_S6_SE_SC_PS4_PS8_21rocsparse_index_base_SH_SH_SH_bbb
                                        ; -- End function
	.section	.AMDGPU.csdata,"",@progbits
; Kernel info:
; codeLenInByte = 8980
; NumSgprs: 40
; NumVgprs: 63
; ScratchSize: 24
; MemoryBound: 0
; FloatMode: 240
; IeeeMode: 1
; LDSByteSize: 0 bytes/workgroup (compile time only)
; SGPRBlocks: 4
; VGPRBlocks: 7
; NumSGPRsForWavesPerEU: 40
; NumVGPRsForWavesPerEU: 63
; Occupancy: 16
; WaveLimiterHint : 1
; COMPUTE_PGM_RSRC2:SCRATCH_EN: 1
; COMPUTE_PGM_RSRC2:USER_SGPR: 15
; COMPUTE_PGM_RSRC2:TRAP_HANDLER: 0
; COMPUTE_PGM_RSRC2:TGID_X_EN: 1
; COMPUTE_PGM_RSRC2:TGID_Y_EN: 0
; COMPUTE_PGM_RSRC2:TGID_Z_EN: 0
; COMPUTE_PGM_RSRC2:TIDIG_COMP_CNT: 0
	.section	.text._ZN9rocsparseL30bsrgemm_fill_block_per_row_2x2ILj256ELj16ELj128ELj137Ell21rocsparse_complex_numIdEEEv20rocsparse_direction_T4_S4_PKS4_S6_NS_24const_host_device_scalarIT5_EEPKT3_S6_PKS8_SC_S6_SE_S9_SC_S6_SE_SC_PS4_PS8_21rocsparse_index_base_SH_SH_SH_bbb,"axG",@progbits,_ZN9rocsparseL30bsrgemm_fill_block_per_row_2x2ILj256ELj16ELj128ELj137Ell21rocsparse_complex_numIdEEEv20rocsparse_direction_T4_S4_PKS4_S6_NS_24const_host_device_scalarIT5_EEPKT3_S6_PKS8_SC_S6_SE_S9_SC_S6_SE_SC_PS4_PS8_21rocsparse_index_base_SH_SH_SH_bbb,comdat
	.globl	_ZN9rocsparseL30bsrgemm_fill_block_per_row_2x2ILj256ELj16ELj128ELj137Ell21rocsparse_complex_numIdEEEv20rocsparse_direction_T4_S4_PKS4_S6_NS_24const_host_device_scalarIT5_EEPKT3_S6_PKS8_SC_S6_SE_S9_SC_S6_SE_SC_PS4_PS8_21rocsparse_index_base_SH_SH_SH_bbb ; -- Begin function _ZN9rocsparseL30bsrgemm_fill_block_per_row_2x2ILj256ELj16ELj128ELj137Ell21rocsparse_complex_numIdEEEv20rocsparse_direction_T4_S4_PKS4_S6_NS_24const_host_device_scalarIT5_EEPKT3_S6_PKS8_SC_S6_SE_S9_SC_S6_SE_SC_PS4_PS8_21rocsparse_index_base_SH_SH_SH_bbb
	.p2align	8
	.type	_ZN9rocsparseL30bsrgemm_fill_block_per_row_2x2ILj256ELj16ELj128ELj137Ell21rocsparse_complex_numIdEEEv20rocsparse_direction_T4_S4_PKS4_S6_NS_24const_host_device_scalarIT5_EEPKT3_S6_PKS8_SC_S6_SE_S9_SC_S6_SE_SC_PS4_PS8_21rocsparse_index_base_SH_SH_SH_bbb,@function
_ZN9rocsparseL30bsrgemm_fill_block_per_row_2x2ILj256ELj16ELj128ELj137Ell21rocsparse_complex_numIdEEEv20rocsparse_direction_T4_S4_PKS4_S6_NS_24const_host_device_scalarIT5_EEPKT3_S6_PKS8_SC_S6_SE_S9_SC_S6_SE_SC_PS4_PS8_21rocsparse_index_base_SH_SH_SH_bbb: ; @_ZN9rocsparseL30bsrgemm_fill_block_per_row_2x2ILj256ELj16ELj128ELj137Ell21rocsparse_complex_numIdEEEv20rocsparse_direction_T4_S4_PKS4_S6_NS_24const_host_device_scalarIT5_EEPKT3_S6_PKS8_SC_S6_SE_S9_SC_S6_SE_SC_PS4_PS8_21rocsparse_index_base_SH_SH_SH_bbb
; %bb.0:
	s_clause 0x2
	s_load_b32 s12, s[0:1], 0xb8
	s_load_b128 s[8:11], s[0:1], 0x28
	s_load_b128 s[4:7], s[0:1], 0x68
	v_mov_b32_e32 v17, 0
	v_mov_b32_e32 v18, 0
	s_mov_b32 s34, s15
	s_waitcnt lgkmcnt(0)
	s_bitcmp1_b32 s12, 0
	v_mov_b32_e32 v1, s8
	s_cselect_b32 s44, -1, 0
	s_bitcmp1_b32 s12, 16
	v_dual_mov_b32 v22, v18 :: v_dual_mov_b32 v21, v17
	s_cselect_b32 s2, -1, 0
	v_mov_b32_e32 v2, s9
	s_xor_b32 s3, s2, -1
	v_dual_mov_b32 v24, v18 :: v_dual_mov_b32 v23, v17
	v_cndmask_b32_e64 v5, 0, 1, s3
	v_dual_mov_b32 v3, s4 :: v_dual_mov_b32 v4, s5
	s_bitcmp0_b32 s12, 0
	s_clause 0x1
	scratch_store_b64 off, v[1:2], off
	scratch_store_b64 off, v[3:4], off offset:8
	v_cmp_ne_u32_e32 vcc_lo, 1, v5
	s_cbranch_scc1 .LBB151_3
; %bb.1:
	s_mov_b64 s[14:15], src_private_base
	s_and_b32 s13, s2, exec_lo
	s_cselect_b32 s13, s15, s9
	s_delay_alu instid0(SALU_CYCLE_1) | instskip(SKIP_2) | instid1(VALU_DEP_2)
	v_dual_mov_b32 v1, 0 :: v_dual_mov_b32 v2, s13
	v_dual_mov_b32 v24, s11 :: v_dual_mov_b32 v23, s10
	s_and_b32 vcc_lo, exec_lo, vcc_lo
	v_cndmask_b32_e64 v1, s8, v1, s2
	flat_load_b64 v[21:22], v[1:2]
	s_cbranch_vccnz .LBB151_3
; %bb.2:
	v_dual_mov_b32 v1, s8 :: v_dual_mov_b32 v2, s9
	flat_load_b64 v[23:24], v[1:2] offset:8
.LBB151_3:
	s_bitcmp1_b32 s12, 8
	v_dual_mov_b32 v20, v18 :: v_dual_mov_b32 v19, v17
	s_cselect_b32 s33, -1, 0
	s_bfe_u32 s8, s12, 0x10008
	s_delay_alu instid0(SALU_CYCLE_1)
	s_cmp_eq_u32 s8, 0
	s_cbranch_scc1 .LBB151_6
; %bb.4:
	s_mov_b64 s[8:9], src_private_base
	s_and_b32 s8, s2, exec_lo
	s_cselect_b32 s8, s9, s5
	s_delay_alu instid0(SALU_CYCLE_1) | instskip(SKIP_2) | instid1(VALU_DEP_2)
	v_dual_mov_b32 v1, 8 :: v_dual_mov_b32 v2, s8
	v_dual_mov_b32 v18, s7 :: v_dual_mov_b32 v17, s6
	s_and_not1_b32 vcc_lo, exec_lo, s3
	v_cndmask_b32_e64 v1, s4, v1, s2
	flat_load_b64 v[19:20], v[1:2]
	s_cbranch_vccnz .LBB151_6
; %bb.5:
	v_dual_mov_b32 v1, s4 :: v_dual_mov_b32 v2, s5
	flat_load_b64 v[17:18], v[1:2] offset:8
.LBB151_6:
	s_clause 0x1
	s_load_b128 s[20:23], s[0:1], 0xa8
	s_load_b64 s[40:41], s[0:1], 0x10
	v_cmp_gt_u32_e64 s2, 0x80, v0
	v_lshl_add_u32 v57, v0, 3, 0
	s_delay_alu instid0(VALU_DEP_2)
	s_and_saveexec_b32 s3, s2
	s_cbranch_execz .LBB151_8
; %bb.7:
	s_waitcnt lgkmcnt(0)
	v_dual_mov_b32 v1, s40 :: v_dual_mov_b32 v2, s41
	ds_store_b64 v57, v[1:2]
.LBB151_8:
	s_or_b32 exec_lo, exec_lo, s3
	s_clause 0x4
	s_load_b128 s[24:27], s[0:1], 0x98
	s_load_b256 s[4:11], s[0:1], 0x78
	s_load_b128 s[28:31], s[0:1], 0x58
	s_load_b128 s[36:39], s[0:1], 0x18
	s_load_b256 s[12:19], s[0:1], 0x38
	s_mov_b32 s3, exec_lo
	v_cmpx_gt_u32_e32 0x200, v0
	s_cbranch_execz .LBB151_11
; %bb.9:
	s_mov_b32 s42, 0
	v_or_b32_e32 v5, 0xffffff00, v0
	s_mov_b32 s43, s42
	v_lshlrev_b32_e32 v1, 4, v0
	s_mov_b32 s46, s42
	s_mov_b32 s47, s42
	s_delay_alu instid0(SALU_CYCLE_1) | instskip(NEXT) | instid1(VALU_DEP_2)
	v_dual_mov_b32 v3, s46 :: v_dual_mov_b32 v4, s47
	v_add3_u32 v6, v1, 0, 0x400
	v_dual_mov_b32 v1, s42 :: v_dual_mov_b32 v2, s43
.LBB151_10:                             ; =>This Inner Loop Header: Depth=1
	v_add_co_u32 v5, s35, 0x100, v5
	s_delay_alu instid0(VALU_DEP_1) | instskip(SKIP_3) | instid1(SALU_CYCLE_1)
	s_xor_b32 s35, s35, -1
	ds_store_2addr_b64 v6, v[1:2], v[3:4] offset1:1
	v_add_nc_u32_e32 v6, 0x1000, v6
	s_and_b32 s35, exec_lo, s35
	s_or_b32 s42, s35, s42
	s_delay_alu instid0(SALU_CYCLE_1)
	s_and_not1_b32 exec_lo, exec_lo, s42
	s_cbranch_execnz .LBB151_10
.LBB151_11:
	s_or_b32 exec_lo, exec_lo, s3
	s_waitcnt lgkmcnt(0)
	s_cmp_lg_u64 s[38:39], 0
	s_mov_b32 s35, 0
	s_waitcnt vmcnt(0)
	s_waitcnt_vscnt null, 0x0
	s_barrier
	buffer_gl0_inv
	s_cbranch_scc0 .LBB151_13
; %bb.12:
	s_load_b64 s[36:37], s[36:37], 0x0
	s_waitcnt lgkmcnt(0)
	s_lshl_b64 s[36:37], s[36:37], 3
	s_delay_alu instid0(SALU_CYCLE_1) | instskip(SKIP_2) | instid1(SALU_CYCLE_1)
	s_add_u32 s3, s38, s36
	s_addc_u32 s36, s39, s37
	s_lshl_b64 s[34:35], s[34:35], 3
	s_add_u32 s34, s3, s34
	s_addc_u32 s35, s36, s35
	s_load_b64 s[34:35], s[34:35], 0x0
.LBB151_13:
	s_load_b32 s3, s[0:1], 0x0
	s_and_not1_b32 vcc_lo, exec_lo, s44
	s_cbranch_vccnz .LBB151_101
; %bb.14:
	s_waitcnt lgkmcnt(0)
	s_lshl_b64 s[0:1], s[34:35], 3
	v_lshrrev_b32_e32 v1, 4, v0
	s_add_u32 s0, s12, s0
	s_addc_u32 s1, s13, s1
	s_mov_b32 s13, 0
	s_load_b128 s[36:39], s[0:1], 0x0
	v_sub_co_u32 v1, s0, v1, s20
	s_delay_alu instid0(VALU_DEP_1) | instskip(SKIP_2) | instid1(VALU_DEP_2)
	v_sub_co_ci_u32_e64 v2, null, 0, 0, s0
	s_mov_b32 s12, exec_lo
	s_waitcnt lgkmcnt(0)
	v_add_co_u32 v25, vcc_lo, s36, v1
	s_delay_alu instid0(VALU_DEP_2)
	v_add_co_ci_u32_e32 v26, vcc_lo, s37, v2, vcc_lo
	s_sub_u32 s0, s38, s20
	s_subb_u32 s1, s39, 0
	s_delay_alu instid0(VALU_DEP_1) | instid1(SALU_CYCLE_1)
	v_cmpx_gt_i64_e64 s[0:1], v[25:26]
	s_cbranch_execz .LBB151_100
; %bb.15:
	v_and_b32_e32 v1, 15, v0
	s_cmp_eq_u32 s3, 0
	s_cselect_b32 s37, 2, 1
	s_delay_alu instid0(VALU_DEP_1) | instskip(NEXT) | instid1(VALU_DEP_1)
	v_sub_co_u32 v58, s36, v1, s21
	v_sub_co_ci_u32_e64 v59, null, 0, 0, s36
	s_cselect_b32 s36, 1, 2
	s_branch .LBB151_17
.LBB151_16:                             ;   in Loop: Header=BB151_17 Depth=1
	s_or_b32 exec_lo, exec_lo, s38
	v_add_co_u32 v25, vcc_lo, v25, 16
	v_add_co_ci_u32_e32 v26, vcc_lo, 0, v26, vcc_lo
	s_delay_alu instid0(VALU_DEP_1) | instskip(SKIP_1) | instid1(SALU_CYCLE_1)
	v_cmp_le_i64_e32 vcc_lo, s[0:1], v[25:26]
	s_or_b32 s13, vcc_lo, s13
	s_and_not1_b32 exec_lo, exec_lo, s13
	s_cbranch_execz .LBB151_100
.LBB151_17:                             ; =>This Loop Header: Depth=1
                                        ;     Child Loop BB151_20 Depth 2
                                        ;       Child Loop BB151_22 Depth 3
                                        ;         Child Loop BB151_28 Depth 4
                                        ;         Child Loop BB151_30 Depth 4
                                        ;         Child Loop BB151_36 Depth 4
                                        ;         Child Loop BB151_38 Depth 4
                                        ;       Child Loop BB151_42 Depth 3
                                        ;         Child Loop BB151_48 Depth 4
                                        ;         Child Loop BB151_50 Depth 4
                                        ;         Child Loop BB151_56 Depth 4
                                        ;         Child Loop BB151_58 Depth 4
	;; [unrolled: 5-line block ×4, first 2 shown]
	v_lshlrev_b64 v[1:2], 3, v[25:26]
	s_mov_b32 s38, exec_lo
	s_delay_alu instid0(VALU_DEP_1) | instskip(NEXT) | instid1(VALU_DEP_2)
	v_add_co_u32 v1, vcc_lo, s14, v1
	v_add_co_ci_u32_e32 v2, vcc_lo, s15, v2, vcc_lo
	global_load_b64 v[1:2], v[1:2], off
	s_waitcnt vmcnt(0)
	v_sub_co_u32 v1, vcc_lo, v1, s20
	v_subrev_co_ci_u32_e32 v2, vcc_lo, 0, v2, vcc_lo
	s_delay_alu instid0(VALU_DEP_1) | instskip(NEXT) | instid1(VALU_DEP_1)
	v_lshlrev_b64 v[1:2], 3, v[1:2]
	v_add_co_u32 v1, vcc_lo, s18, v1
	s_delay_alu instid0(VALU_DEP_2)
	v_add_co_ci_u32_e32 v2, vcc_lo, s19, v2, vcc_lo
	global_load_b128 v[1:4], v[1:2], off
	s_waitcnt vmcnt(0)
	v_sub_co_u32 v27, vcc_lo, v3, s21
	v_subrev_co_ci_u32_e32 v28, vcc_lo, 0, v4, vcc_lo
	v_add_co_u32 v29, vcc_lo, v1, v58
	v_add_co_ci_u32_e32 v30, vcc_lo, v2, v59, vcc_lo
	s_delay_alu instid0(VALU_DEP_1)
	v_cmpx_lt_i64_e64 v[29:30], v[27:28]
	s_cbranch_execz .LBB151_16
; %bb.18:                               ;   in Loop: Header=BB151_17 Depth=1
	v_lshlrev_b64 v[1:2], 2, v[25:26]
	v_lshlrev_b64 v[3:4], 6, v[25:26]
	s_mov_b32 s39, 0
	s_delay_alu instid0(VALU_DEP_2) | instskip(NEXT) | instid1(VALU_DEP_3)
	v_or_b32_e32 v6, 0, v2
	v_or_b32_e32 v5, s36, v1
	;; [unrolled: 1-line block ×4, first 2 shown]
	v_add_co_u32 v7, vcc_lo, s16, v3
	s_delay_alu instid0(VALU_DEP_4) | instskip(SKIP_1) | instid1(VALU_DEP_4)
	v_lshlrev_b64 v[5:6], 4, v[5:6]
	v_add_co_ci_u32_e32 v8, vcc_lo, s17, v4, vcc_lo
	v_lshlrev_b64 v[9:10], 4, v[9:10]
	global_load_b128 v[1:4], v[7:8], off
	v_add_co_u32 v11, vcc_lo, s16, v5
	v_add_co_ci_u32_e32 v12, vcc_lo, s17, v6, vcc_lo
	v_add_co_u32 v13, vcc_lo, s16, v9
	v_add_co_ci_u32_e32 v14, vcc_lo, s17, v10, vcc_lo
	s_clause 0x2
	global_load_b128 v[5:8], v[7:8], off offset:48
	global_load_b128 v[9:12], v[11:12], off
	global_load_b128 v[13:16], v[13:14], off
	s_waitcnt vmcnt(3)
	v_mul_f64 v[31:32], v[3:4], -v[23:24]
	v_mul_f64 v[3:4], v[21:22], v[3:4]
	s_waitcnt vmcnt(2)
	v_mul_f64 v[35:36], v[7:8], -v[23:24]
	v_mul_f64 v[7:8], v[21:22], v[7:8]
	;; [unrolled: 3-line block ×4, first 2 shown]
	v_fma_f64 v[31:32], v[21:22], v[1:2], v[31:32]
	v_fma_f64 v[33:34], v[23:24], v[1:2], v[3:4]
	;; [unrolled: 1-line block ×8, first 2 shown]
	s_branch .LBB151_20
.LBB151_19:                             ;   in Loop: Header=BB151_20 Depth=2
	s_or_b32 exec_lo, exec_lo, s42
	v_add_co_u32 v29, vcc_lo, v29, 16
	v_add_co_ci_u32_e32 v30, vcc_lo, 0, v30, vcc_lo
	s_delay_alu instid0(VALU_DEP_1) | instskip(SKIP_1) | instid1(SALU_CYCLE_1)
	v_cmp_ge_i64_e32 vcc_lo, v[29:30], v[27:28]
	s_or_b32 s39, vcc_lo, s39
	s_and_not1_b32 exec_lo, exec_lo, s39
	s_cbranch_execz .LBB151_16
.LBB151_20:                             ;   Parent Loop BB151_17 Depth=1
                                        ; =>  This Loop Header: Depth=2
                                        ;       Child Loop BB151_22 Depth 3
                                        ;         Child Loop BB151_28 Depth 4
                                        ;         Child Loop BB151_30 Depth 4
                                        ;         Child Loop BB151_36 Depth 4
                                        ;         Child Loop BB151_38 Depth 4
                                        ;       Child Loop BB151_42 Depth 3
                                        ;         Child Loop BB151_48 Depth 4
                                        ;         Child Loop BB151_50 Depth 4
                                        ;         Child Loop BB151_56 Depth 4
                                        ;         Child Loop BB151_58 Depth 4
	;; [unrolled: 5-line block ×4, first 2 shown]
	v_lshlrev_b64 v[1:2], 2, v[29:30]
	s_mov_b32 s42, 0
	s_delay_alu instid0(VALU_DEP_1) | instskip(NEXT) | instid1(VALU_DEP_2)
	v_or_b32_e32 v4, 0, v2
	v_or_b32_e32 v3, s37, v1
	;; [unrolled: 1-line block ×4, first 2 shown]
	s_delay_alu instid0(VALU_DEP_3) | instskip(NEXT) | instid1(VALU_DEP_2)
	v_lshlrev_b64 v[3:4], 4, v[3:4]
	v_lshlrev_b64 v[1:2], 4, v[1:2]
	s_delay_alu instid0(VALU_DEP_2) | instskip(NEXT) | instid1(VALU_DEP_3)
	v_add_co_u32 v3, vcc_lo, s30, v3
	v_add_co_ci_u32_e32 v4, vcc_lo, s31, v4, vcc_lo
	global_load_b128 v[13:16], v[3:4], off
	v_lshlrev_b64 v[3:4], 6, v[29:30]
	s_delay_alu instid0(VALU_DEP_1) | instskip(NEXT) | instid1(VALU_DEP_2)
	v_add_co_u32 v5, vcc_lo, s30, v3
	v_add_co_ci_u32_e32 v6, vcc_lo, s31, v4, vcc_lo
	v_lshlrev_b64 v[3:4], 3, v[29:30]
	global_load_b128 v[9:12], v[5:6], off
	v_add_co_u32 v3, vcc_lo, s28, v3
	v_add_co_ci_u32_e32 v4, vcc_lo, s29, v4, vcc_lo
	v_add_co_u32 v1, vcc_lo, s30, v1
	v_add_co_ci_u32_e32 v2, vcc_lo, s31, v2, vcc_lo
	global_load_b64 v[47:48], v[3:4], off
	s_clause 0x1
	global_load_b128 v[1:4], v[1:2], off
	global_load_b128 v[5:8], v[5:6], off offset:48
	s_waitcnt vmcnt(4)
	v_mul_f64 v[49:50], v[15:16], -v[41:42]
	v_mul_f64 v[51:52], v[39:40], v[15:16]
	s_waitcnt vmcnt(2)
	v_sub_co_u32 v47, vcc_lo, v47, s21
	v_subrev_co_ci_u32_e32 v48, vcc_lo, 0, v48, vcc_lo
	s_delay_alu instid0(VALU_DEP_4) | instskip(NEXT) | instid1(VALU_DEP_4)
	v_fma_f64 v[49:50], v[39:40], v[13:14], v[49:50]
	v_fma_f64 v[51:52], v[41:42], v[13:14], v[51:52]
	s_delay_alu instid0(VALU_DEP_2) | instskip(NEXT) | instid1(VALU_DEP_2)
	v_fma_f64 v[49:50], v[31:32], v[9:10], v[49:50]
	v_fma_f64 v[52:53], v[33:34], v[9:10], v[51:52]
	s_delay_alu instid0(VALU_DEP_2) | instskip(NEXT) | instid1(VALU_DEP_2)
	v_fma_f64 v[50:51], -v[33:34], v[11:12], v[49:50]
	v_fma_f64 v[52:53], v[31:32], v[11:12], v[52:53]
	v_lshl_add_u32 v49, v47, 3, v47
	s_delay_alu instid0(VALU_DEP_1) | instskip(NEXT) | instid1(VALU_DEP_1)
	v_and_b32_e32 v49, 0x7f, v49
	v_dual_mov_b32 v55, v50 :: v_dual_mov_b32 v54, v49
	s_branch .LBB151_22
.LBB151_21:                             ;   in Loop: Header=BB151_22 Depth=3
	s_or_b32 exec_lo, exec_lo, s43
	s_xor_b32 s43, s44, -1
	s_delay_alu instid0(SALU_CYCLE_1) | instskip(NEXT) | instid1(SALU_CYCLE_1)
	s_and_b32 s43, exec_lo, s43
	s_or_b32 s42, s43, s42
	s_delay_alu instid0(SALU_CYCLE_1)
	s_and_not1_b32 exec_lo, exec_lo, s42
	s_cbranch_execz .LBB151_40
.LBB151_22:                             ;   Parent Loop BB151_17 Depth=1
                                        ;     Parent Loop BB151_20 Depth=2
                                        ; =>    This Loop Header: Depth=3
                                        ;         Child Loop BB151_28 Depth 4
                                        ;         Child Loop BB151_30 Depth 4
	;; [unrolled: 1-line block ×4, first 2 shown]
	s_delay_alu instid0(VALU_DEP_1)
	v_lshl_add_u32 v60, v54, 3, 0
	s_mov_b32 s43, exec_lo
                                        ; implicit-def: $sgpr44
	ds_load_b64 v[55:56], v60
	s_waitcnt lgkmcnt(0)
	v_cmpx_ne_u64_e64 v[55:56], v[47:48]
	s_xor_b32 s43, exec_lo, s43
	s_cbranch_execz .LBB151_34
; %bb.23:                               ;   in Loop: Header=BB151_22 Depth=3
	s_mov_b32 s45, exec_lo
                                        ; implicit-def: $sgpr44
	v_cmpx_ne_u64_e64 s[40:41], v[55:56]
	s_xor_b32 s45, exec_lo, s45
; %bb.24:                               ;   in Loop: Header=BB151_22 Depth=3
	v_add_nc_u32_e32 v54, 1, v54
	s_mov_b32 s44, -1
                                        ; implicit-def: $vgpr60
	s_delay_alu instid0(VALU_DEP_1)
	v_and_b32_e32 v54, 0x7f, v54
; %bb.25:                               ;   in Loop: Header=BB151_22 Depth=3
	s_and_not1_saveexec_b32 s45, s45
	s_cbranch_execz .LBB151_33
; %bb.26:                               ;   in Loop: Header=BB151_22 Depth=3
	v_dual_mov_b32 v56, s41 :: v_dual_mov_b32 v55, s40
	s_mov_b32 s47, -1
	s_mov_b32 s46, exec_lo
	ds_cmpstore_rtn_b64 v[55:56], v60, v[47:48], v[55:56]
	s_waitcnt lgkmcnt(0)
	v_cmpx_eq_u64_e64 s[40:41], v[55:56]
	s_cbranch_execz .LBB151_32
; %bb.27:                               ;   in Loop: Header=BB151_22 Depth=3
	v_mul_lo_u32 v55, v54, 56
	s_mov_b32 s47, 0
	s_delay_alu instid0(VALU_DEP_1)
	v_add_nc_u32_e32 v60, v60, v55
	ds_load_b64 v[55:56], v60 offset:1024
.LBB151_28:                             ;   Parent Loop BB151_17 Depth=1
                                        ;     Parent Loop BB151_20 Depth=2
                                        ;       Parent Loop BB151_22 Depth=3
                                        ; =>      This Inner Loop Header: Depth=4
	s_waitcnt lgkmcnt(0)
	v_add_f64 v[61:62], v[55:56], v[50:51]
	ds_cmpstore_rtn_b64 v[61:62], v60, v[61:62], v[55:56] offset:1024
	s_waitcnt lgkmcnt(0)
	v_cmp_eq_u64_e32 vcc_lo, v[61:62], v[55:56]
	v_dual_mov_b32 v55, v61 :: v_dual_mov_b32 v56, v62
	s_or_b32 s47, vcc_lo, s47
	s_delay_alu instid0(SALU_CYCLE_1)
	s_and_not1_b32 exec_lo, exec_lo, s47
	s_cbranch_execnz .LBB151_28
; %bb.29:                               ;   in Loop: Header=BB151_22 Depth=3
	s_or_b32 exec_lo, exec_lo, s47
	ds_load_b64 v[55:56], v60 offset:1032
	s_mov_b32 s47, 0
.LBB151_30:                             ;   Parent Loop BB151_17 Depth=1
                                        ;     Parent Loop BB151_20 Depth=2
                                        ;       Parent Loop BB151_22 Depth=3
                                        ; =>      This Inner Loop Header: Depth=4
	s_waitcnt lgkmcnt(0)
	v_add_f64 v[61:62], v[55:56], v[52:53]
	ds_cmpstore_rtn_b64 v[61:62], v60, v[61:62], v[55:56] offset:1032
	s_waitcnt lgkmcnt(0)
	v_cmp_eq_u64_e32 vcc_lo, v[61:62], v[55:56]
	v_dual_mov_b32 v55, v61 :: v_dual_mov_b32 v56, v62
	s_or_b32 s47, vcc_lo, s47
	s_delay_alu instid0(SALU_CYCLE_1)
	s_and_not1_b32 exec_lo, exec_lo, s47
	s_cbranch_execnz .LBB151_30
; %bb.31:                               ;   in Loop: Header=BB151_22 Depth=3
	s_or_b32 exec_lo, exec_lo, s47
	s_delay_alu instid0(SALU_CYCLE_1)
	s_xor_b32 s47, exec_lo, -1
.LBB151_32:                             ;   in Loop: Header=BB151_22 Depth=3
	s_or_b32 exec_lo, exec_lo, s46
	s_delay_alu instid0(SALU_CYCLE_1) | instskip(SKIP_1) | instid1(SALU_CYCLE_1)
	s_and_not1_b32 s44, s44, exec_lo
	s_and_b32 s46, s47, exec_lo
	s_or_b32 s44, s44, s46
.LBB151_33:                             ;   in Loop: Header=BB151_22 Depth=3
	s_or_b32 exec_lo, exec_lo, s45
	s_delay_alu instid0(SALU_CYCLE_1)
	s_and_b32 s44, s44, exec_lo
                                        ; implicit-def: $vgpr60
.LBB151_34:                             ;   in Loop: Header=BB151_22 Depth=3
	s_and_not1_saveexec_b32 s43, s43
	s_cbranch_execz .LBB151_21
; %bb.35:                               ;   in Loop: Header=BB151_22 Depth=3
	v_mul_lo_u32 v55, v54, 56
	s_mov_b32 s45, 0
	s_delay_alu instid0(VALU_DEP_1)
	v_add_nc_u32_e32 v60, v60, v55
	ds_load_b64 v[55:56], v60 offset:1024
.LBB151_36:                             ;   Parent Loop BB151_17 Depth=1
                                        ;     Parent Loop BB151_20 Depth=2
                                        ;       Parent Loop BB151_22 Depth=3
                                        ; =>      This Inner Loop Header: Depth=4
	s_waitcnt lgkmcnt(0)
	v_add_f64 v[61:62], v[55:56], v[50:51]
	ds_cmpstore_rtn_b64 v[61:62], v60, v[61:62], v[55:56] offset:1024
	s_waitcnt lgkmcnt(0)
	v_cmp_eq_u64_e32 vcc_lo, v[61:62], v[55:56]
	v_dual_mov_b32 v55, v61 :: v_dual_mov_b32 v56, v62
	s_or_b32 s45, vcc_lo, s45
	s_delay_alu instid0(SALU_CYCLE_1)
	s_and_not1_b32 exec_lo, exec_lo, s45
	s_cbranch_execnz .LBB151_36
; %bb.37:                               ;   in Loop: Header=BB151_22 Depth=3
	s_or_b32 exec_lo, exec_lo, s45
	ds_load_b64 v[55:56], v60 offset:1032
	s_mov_b32 s45, 0
.LBB151_38:                             ;   Parent Loop BB151_17 Depth=1
                                        ;     Parent Loop BB151_20 Depth=2
                                        ;       Parent Loop BB151_22 Depth=3
                                        ; =>      This Inner Loop Header: Depth=4
	s_waitcnt lgkmcnt(0)
	v_add_f64 v[61:62], v[55:56], v[52:53]
	ds_cmpstore_rtn_b64 v[61:62], v60, v[61:62], v[55:56] offset:1032
	s_waitcnt lgkmcnt(0)
	v_cmp_eq_u64_e32 vcc_lo, v[61:62], v[55:56]
	v_dual_mov_b32 v55, v61 :: v_dual_mov_b32 v56, v62
	s_or_b32 s45, vcc_lo, s45
	s_delay_alu instid0(SALU_CYCLE_1)
	s_and_not1_b32 exec_lo, exec_lo, s45
	s_cbranch_execnz .LBB151_38
; %bb.39:                               ;   in Loop: Header=BB151_22 Depth=3
	s_or_b32 exec_lo, exec_lo, s45
	s_delay_alu instid0(SALU_CYCLE_1)
	s_and_not1_b32 s44, s44, exec_lo
	s_branch .LBB151_21
.LBB151_40:                             ;   in Loop: Header=BB151_20 Depth=2
	s_or_b32 exec_lo, exec_lo, s42
	s_waitcnt vmcnt(0)
	v_mul_f64 v[50:51], v[7:8], -v[41:42]
	v_mul_f64 v[52:53], v[39:40], v[7:8]
	s_mov_b32 s42, 0
	s_delay_alu instid0(VALU_DEP_2) | instskip(NEXT) | instid1(VALU_DEP_2)
	v_fma_f64 v[50:51], v[39:40], v[5:6], v[50:51]
	v_fma_f64 v[52:53], v[41:42], v[5:6], v[52:53]
	s_delay_alu instid0(VALU_DEP_2) | instskip(NEXT) | instid1(VALU_DEP_2)
	v_fma_f64 v[50:51], v[31:32], v[1:2], v[50:51]
	v_fma_f64 v[52:53], v[33:34], v[1:2], v[52:53]
	s_delay_alu instid0(VALU_DEP_2) | instskip(NEXT) | instid1(VALU_DEP_2)
	v_fma_f64 v[50:51], -v[33:34], v[3:4], v[50:51]
	v_fma_f64 v[52:53], v[31:32], v[3:4], v[52:53]
	s_delay_alu instid0(VALU_DEP_2)
	v_dual_mov_b32 v55, v50 :: v_dual_mov_b32 v54, v49
	s_branch .LBB151_42
.LBB151_41:                             ;   in Loop: Header=BB151_42 Depth=3
	s_or_b32 exec_lo, exec_lo, s43
	s_xor_b32 s43, s44, -1
	s_delay_alu instid0(SALU_CYCLE_1) | instskip(NEXT) | instid1(SALU_CYCLE_1)
	s_and_b32 s43, exec_lo, s43
	s_or_b32 s42, s43, s42
	s_delay_alu instid0(SALU_CYCLE_1)
	s_and_not1_b32 exec_lo, exec_lo, s42
	s_cbranch_execz .LBB151_60
.LBB151_42:                             ;   Parent Loop BB151_17 Depth=1
                                        ;     Parent Loop BB151_20 Depth=2
                                        ; =>    This Loop Header: Depth=3
                                        ;         Child Loop BB151_48 Depth 4
                                        ;         Child Loop BB151_50 Depth 4
	;; [unrolled: 1-line block ×4, first 2 shown]
	s_delay_alu instid0(VALU_DEP_1)
	v_lshl_add_u32 v60, v54, 3, 0
	s_mov_b32 s43, exec_lo
                                        ; implicit-def: $sgpr44
	ds_load_b64 v[55:56], v60
	s_waitcnt lgkmcnt(0)
	v_cmpx_ne_u64_e64 v[55:56], v[47:48]
	s_xor_b32 s43, exec_lo, s43
	s_cbranch_execz .LBB151_54
; %bb.43:                               ;   in Loop: Header=BB151_42 Depth=3
	s_mov_b32 s45, exec_lo
                                        ; implicit-def: $sgpr44
	v_cmpx_ne_u64_e64 s[40:41], v[55:56]
	s_xor_b32 s45, exec_lo, s45
; %bb.44:                               ;   in Loop: Header=BB151_42 Depth=3
	v_add_nc_u32_e32 v54, 1, v54
	s_mov_b32 s44, -1
                                        ; implicit-def: $vgpr60
	s_delay_alu instid0(VALU_DEP_1)
	v_and_b32_e32 v54, 0x7f, v54
; %bb.45:                               ;   in Loop: Header=BB151_42 Depth=3
	s_and_not1_saveexec_b32 s45, s45
	s_cbranch_execz .LBB151_53
; %bb.46:                               ;   in Loop: Header=BB151_42 Depth=3
	v_dual_mov_b32 v56, s41 :: v_dual_mov_b32 v55, s40
	s_mov_b32 s47, -1
	s_mov_b32 s46, exec_lo
	ds_cmpstore_rtn_b64 v[55:56], v60, v[47:48], v[55:56]
	s_waitcnt lgkmcnt(0)
	v_cmpx_eq_u64_e64 s[40:41], v[55:56]
	s_cbranch_execz .LBB151_52
; %bb.47:                               ;   in Loop: Header=BB151_42 Depth=3
	v_mul_lo_u32 v55, v54, 56
	s_mov_b32 s47, 0
	s_delay_alu instid0(VALU_DEP_1)
	v_add_nc_u32_e32 v60, v60, v55
	ds_load_b64 v[55:56], v60 offset:1040
.LBB151_48:                             ;   Parent Loop BB151_17 Depth=1
                                        ;     Parent Loop BB151_20 Depth=2
                                        ;       Parent Loop BB151_42 Depth=3
                                        ; =>      This Inner Loop Header: Depth=4
	s_waitcnt lgkmcnt(0)
	v_add_f64 v[61:62], v[55:56], v[50:51]
	ds_cmpstore_rtn_b64 v[61:62], v60, v[61:62], v[55:56] offset:1040
	s_waitcnt lgkmcnt(0)
	v_cmp_eq_u64_e32 vcc_lo, v[61:62], v[55:56]
	v_dual_mov_b32 v55, v61 :: v_dual_mov_b32 v56, v62
	s_or_b32 s47, vcc_lo, s47
	s_delay_alu instid0(SALU_CYCLE_1)
	s_and_not1_b32 exec_lo, exec_lo, s47
	s_cbranch_execnz .LBB151_48
; %bb.49:                               ;   in Loop: Header=BB151_42 Depth=3
	s_or_b32 exec_lo, exec_lo, s47
	ds_load_b64 v[55:56], v60 offset:1048
	s_mov_b32 s47, 0
.LBB151_50:                             ;   Parent Loop BB151_17 Depth=1
                                        ;     Parent Loop BB151_20 Depth=2
                                        ;       Parent Loop BB151_42 Depth=3
                                        ; =>      This Inner Loop Header: Depth=4
	s_waitcnt lgkmcnt(0)
	v_add_f64 v[61:62], v[55:56], v[52:53]
	ds_cmpstore_rtn_b64 v[61:62], v60, v[61:62], v[55:56] offset:1048
	s_waitcnt lgkmcnt(0)
	v_cmp_eq_u64_e32 vcc_lo, v[61:62], v[55:56]
	v_dual_mov_b32 v55, v61 :: v_dual_mov_b32 v56, v62
	s_or_b32 s47, vcc_lo, s47
	s_delay_alu instid0(SALU_CYCLE_1)
	s_and_not1_b32 exec_lo, exec_lo, s47
	s_cbranch_execnz .LBB151_50
; %bb.51:                               ;   in Loop: Header=BB151_42 Depth=3
	s_or_b32 exec_lo, exec_lo, s47
	s_delay_alu instid0(SALU_CYCLE_1)
	s_xor_b32 s47, exec_lo, -1
.LBB151_52:                             ;   in Loop: Header=BB151_42 Depth=3
	s_or_b32 exec_lo, exec_lo, s46
	s_delay_alu instid0(SALU_CYCLE_1) | instskip(SKIP_1) | instid1(SALU_CYCLE_1)
	s_and_not1_b32 s44, s44, exec_lo
	s_and_b32 s46, s47, exec_lo
	s_or_b32 s44, s44, s46
.LBB151_53:                             ;   in Loop: Header=BB151_42 Depth=3
	s_or_b32 exec_lo, exec_lo, s45
	s_delay_alu instid0(SALU_CYCLE_1)
	s_and_b32 s44, s44, exec_lo
                                        ; implicit-def: $vgpr60
.LBB151_54:                             ;   in Loop: Header=BB151_42 Depth=3
	s_and_not1_saveexec_b32 s43, s43
	s_cbranch_execz .LBB151_41
; %bb.55:                               ;   in Loop: Header=BB151_42 Depth=3
	v_mul_lo_u32 v55, v54, 56
	s_mov_b32 s45, 0
	s_delay_alu instid0(VALU_DEP_1)
	v_add_nc_u32_e32 v60, v60, v55
	ds_load_b64 v[55:56], v60 offset:1040
.LBB151_56:                             ;   Parent Loop BB151_17 Depth=1
                                        ;     Parent Loop BB151_20 Depth=2
                                        ;       Parent Loop BB151_42 Depth=3
                                        ; =>      This Inner Loop Header: Depth=4
	s_waitcnt lgkmcnt(0)
	v_add_f64 v[61:62], v[55:56], v[50:51]
	ds_cmpstore_rtn_b64 v[61:62], v60, v[61:62], v[55:56] offset:1040
	s_waitcnt lgkmcnt(0)
	v_cmp_eq_u64_e32 vcc_lo, v[61:62], v[55:56]
	v_dual_mov_b32 v55, v61 :: v_dual_mov_b32 v56, v62
	s_or_b32 s45, vcc_lo, s45
	s_delay_alu instid0(SALU_CYCLE_1)
	s_and_not1_b32 exec_lo, exec_lo, s45
	s_cbranch_execnz .LBB151_56
; %bb.57:                               ;   in Loop: Header=BB151_42 Depth=3
	s_or_b32 exec_lo, exec_lo, s45
	ds_load_b64 v[55:56], v60 offset:1048
	s_mov_b32 s45, 0
.LBB151_58:                             ;   Parent Loop BB151_17 Depth=1
                                        ;     Parent Loop BB151_20 Depth=2
                                        ;       Parent Loop BB151_42 Depth=3
                                        ; =>      This Inner Loop Header: Depth=4
	s_waitcnt lgkmcnt(0)
	v_add_f64 v[61:62], v[55:56], v[52:53]
	ds_cmpstore_rtn_b64 v[61:62], v60, v[61:62], v[55:56] offset:1048
	s_waitcnt lgkmcnt(0)
	v_cmp_eq_u64_e32 vcc_lo, v[61:62], v[55:56]
	v_dual_mov_b32 v55, v61 :: v_dual_mov_b32 v56, v62
	s_or_b32 s45, vcc_lo, s45
	s_delay_alu instid0(SALU_CYCLE_1)
	s_and_not1_b32 exec_lo, exec_lo, s45
	s_cbranch_execnz .LBB151_58
; %bb.59:                               ;   in Loop: Header=BB151_42 Depth=3
	s_or_b32 exec_lo, exec_lo, s45
	s_delay_alu instid0(SALU_CYCLE_1)
	s_and_not1_b32 s44, s44, exec_lo
	s_branch .LBB151_41
.LBB151_60:                             ;   in Loop: Header=BB151_20 Depth=2
	s_or_b32 exec_lo, exec_lo, s42
	v_mul_f64 v[50:51], v[15:16], -v[37:38]
	v_mul_f64 v[15:16], v[35:36], v[15:16]
	s_mov_b32 s42, 0
	s_delay_alu instid0(VALU_DEP_2) | instskip(NEXT) | instid1(VALU_DEP_2)
	v_fma_f64 v[50:51], v[35:36], v[13:14], v[50:51]
	v_fma_f64 v[13:14], v[37:38], v[13:14], v[15:16]
	s_delay_alu instid0(VALU_DEP_2) | instskip(NEXT) | instid1(VALU_DEP_2)
	v_fma_f64 v[15:16], v[43:44], v[9:10], v[50:51]
	v_fma_f64 v[13:14], v[45:46], v[9:10], v[13:14]
	s_delay_alu instid0(VALU_DEP_2) | instskip(NEXT) | instid1(VALU_DEP_2)
	v_fma_f64 v[9:10], -v[45:46], v[11:12], v[15:16]
	v_fma_f64 v[11:12], v[43:44], v[11:12], v[13:14]
	v_dual_mov_b32 v13, v49 :: v_dual_mov_b32 v14, v50
	s_branch .LBB151_62
.LBB151_61:                             ;   in Loop: Header=BB151_62 Depth=3
	s_or_b32 exec_lo, exec_lo, s43
	s_xor_b32 s43, s44, -1
	s_delay_alu instid0(SALU_CYCLE_1) | instskip(NEXT) | instid1(SALU_CYCLE_1)
	s_and_b32 s43, exec_lo, s43
	s_or_b32 s42, s43, s42
	s_delay_alu instid0(SALU_CYCLE_1)
	s_and_not1_b32 exec_lo, exec_lo, s42
	s_cbranch_execz .LBB151_80
.LBB151_62:                             ;   Parent Loop BB151_17 Depth=1
                                        ;     Parent Loop BB151_20 Depth=2
                                        ; =>    This Loop Header: Depth=3
                                        ;         Child Loop BB151_68 Depth 4
                                        ;         Child Loop BB151_70 Depth 4
                                        ;         Child Loop BB151_76 Depth 4
                                        ;         Child Loop BB151_78 Depth 4
	s_delay_alu instid0(VALU_DEP_1)
	v_lshl_add_u32 v16, v13, 3, 0
	s_mov_b32 s43, exec_lo
                                        ; implicit-def: $sgpr44
	ds_load_b64 v[14:15], v16
	s_waitcnt lgkmcnt(0)
	v_cmpx_ne_u64_e64 v[14:15], v[47:48]
	s_xor_b32 s43, exec_lo, s43
	s_cbranch_execz .LBB151_74
; %bb.63:                               ;   in Loop: Header=BB151_62 Depth=3
	s_mov_b32 s45, exec_lo
                                        ; implicit-def: $sgpr44
	v_cmpx_ne_u64_e64 s[40:41], v[14:15]
	s_xor_b32 s45, exec_lo, s45
; %bb.64:                               ;   in Loop: Header=BB151_62 Depth=3
	v_add_nc_u32_e32 v13, 1, v13
	s_mov_b32 s44, -1
                                        ; implicit-def: $vgpr16
	s_delay_alu instid0(VALU_DEP_1)
	v_and_b32_e32 v13, 0x7f, v13
; %bb.65:                               ;   in Loop: Header=BB151_62 Depth=3
	s_and_not1_saveexec_b32 s45, s45
	s_cbranch_execz .LBB151_73
; %bb.66:                               ;   in Loop: Header=BB151_62 Depth=3
	v_dual_mov_b32 v14, s40 :: v_dual_mov_b32 v15, s41
	s_mov_b32 s47, -1
	s_mov_b32 s46, exec_lo
	ds_cmpstore_rtn_b64 v[14:15], v16, v[47:48], v[14:15]
	s_waitcnt lgkmcnt(0)
	v_cmpx_eq_u64_e64 s[40:41], v[14:15]
	s_cbranch_execz .LBB151_72
; %bb.67:                               ;   in Loop: Header=BB151_62 Depth=3
	v_mul_lo_u32 v14, v13, 56
	s_mov_b32 s47, 0
	s_delay_alu instid0(VALU_DEP_1)
	v_add_nc_u32_e32 v16, v16, v14
	ds_load_b64 v[14:15], v16 offset:1056
.LBB151_68:                             ;   Parent Loop BB151_17 Depth=1
                                        ;     Parent Loop BB151_20 Depth=2
                                        ;       Parent Loop BB151_62 Depth=3
                                        ; =>      This Inner Loop Header: Depth=4
	s_waitcnt lgkmcnt(0)
	v_add_f64 v[50:51], v[14:15], v[9:10]
	ds_cmpstore_rtn_b64 v[50:51], v16, v[50:51], v[14:15] offset:1056
	s_waitcnt lgkmcnt(0)
	v_cmp_eq_u64_e32 vcc_lo, v[50:51], v[14:15]
	v_dual_mov_b32 v14, v50 :: v_dual_mov_b32 v15, v51
	s_or_b32 s47, vcc_lo, s47
	s_delay_alu instid0(SALU_CYCLE_1)
	s_and_not1_b32 exec_lo, exec_lo, s47
	s_cbranch_execnz .LBB151_68
; %bb.69:                               ;   in Loop: Header=BB151_62 Depth=3
	s_or_b32 exec_lo, exec_lo, s47
	ds_load_b64 v[14:15], v16 offset:1064
	s_mov_b32 s47, 0
.LBB151_70:                             ;   Parent Loop BB151_17 Depth=1
                                        ;     Parent Loop BB151_20 Depth=2
                                        ;       Parent Loop BB151_62 Depth=3
                                        ; =>      This Inner Loop Header: Depth=4
	s_waitcnt lgkmcnt(0)
	v_add_f64 v[50:51], v[14:15], v[11:12]
	ds_cmpstore_rtn_b64 v[50:51], v16, v[50:51], v[14:15] offset:1064
	s_waitcnt lgkmcnt(0)
	v_cmp_eq_u64_e32 vcc_lo, v[50:51], v[14:15]
	v_dual_mov_b32 v14, v50 :: v_dual_mov_b32 v15, v51
	s_or_b32 s47, vcc_lo, s47
	s_delay_alu instid0(SALU_CYCLE_1)
	s_and_not1_b32 exec_lo, exec_lo, s47
	s_cbranch_execnz .LBB151_70
; %bb.71:                               ;   in Loop: Header=BB151_62 Depth=3
	s_or_b32 exec_lo, exec_lo, s47
	s_delay_alu instid0(SALU_CYCLE_1)
	s_xor_b32 s47, exec_lo, -1
.LBB151_72:                             ;   in Loop: Header=BB151_62 Depth=3
	s_or_b32 exec_lo, exec_lo, s46
	s_delay_alu instid0(SALU_CYCLE_1) | instskip(SKIP_1) | instid1(SALU_CYCLE_1)
	s_and_not1_b32 s44, s44, exec_lo
	s_and_b32 s46, s47, exec_lo
	s_or_b32 s44, s44, s46
.LBB151_73:                             ;   in Loop: Header=BB151_62 Depth=3
	s_or_b32 exec_lo, exec_lo, s45
	s_delay_alu instid0(SALU_CYCLE_1)
	s_and_b32 s44, s44, exec_lo
                                        ; implicit-def: $vgpr16
.LBB151_74:                             ;   in Loop: Header=BB151_62 Depth=3
	s_and_not1_saveexec_b32 s43, s43
	s_cbranch_execz .LBB151_61
; %bb.75:                               ;   in Loop: Header=BB151_62 Depth=3
	v_mul_lo_u32 v14, v13, 56
	s_mov_b32 s45, 0
	s_delay_alu instid0(VALU_DEP_1)
	v_add_nc_u32_e32 v16, v16, v14
	ds_load_b64 v[14:15], v16 offset:1056
.LBB151_76:                             ;   Parent Loop BB151_17 Depth=1
                                        ;     Parent Loop BB151_20 Depth=2
                                        ;       Parent Loop BB151_62 Depth=3
                                        ; =>      This Inner Loop Header: Depth=4
	s_waitcnt lgkmcnt(0)
	v_add_f64 v[50:51], v[14:15], v[9:10]
	ds_cmpstore_rtn_b64 v[50:51], v16, v[50:51], v[14:15] offset:1056
	s_waitcnt lgkmcnt(0)
	v_cmp_eq_u64_e32 vcc_lo, v[50:51], v[14:15]
	v_dual_mov_b32 v14, v50 :: v_dual_mov_b32 v15, v51
	s_or_b32 s45, vcc_lo, s45
	s_delay_alu instid0(SALU_CYCLE_1)
	s_and_not1_b32 exec_lo, exec_lo, s45
	s_cbranch_execnz .LBB151_76
; %bb.77:                               ;   in Loop: Header=BB151_62 Depth=3
	s_or_b32 exec_lo, exec_lo, s45
	ds_load_b64 v[14:15], v16 offset:1064
	s_mov_b32 s45, 0
.LBB151_78:                             ;   Parent Loop BB151_17 Depth=1
                                        ;     Parent Loop BB151_20 Depth=2
                                        ;       Parent Loop BB151_62 Depth=3
                                        ; =>      This Inner Loop Header: Depth=4
	s_waitcnt lgkmcnt(0)
	v_add_f64 v[50:51], v[14:15], v[11:12]
	ds_cmpstore_rtn_b64 v[50:51], v16, v[50:51], v[14:15] offset:1064
	s_waitcnt lgkmcnt(0)
	v_cmp_eq_u64_e32 vcc_lo, v[50:51], v[14:15]
	v_dual_mov_b32 v14, v50 :: v_dual_mov_b32 v15, v51
	s_or_b32 s45, vcc_lo, s45
	s_delay_alu instid0(SALU_CYCLE_1)
	s_and_not1_b32 exec_lo, exec_lo, s45
	s_cbranch_execnz .LBB151_78
; %bb.79:                               ;   in Loop: Header=BB151_62 Depth=3
	s_or_b32 exec_lo, exec_lo, s45
	s_delay_alu instid0(SALU_CYCLE_1)
	s_and_not1_b32 s44, s44, exec_lo
	s_branch .LBB151_61
.LBB151_80:                             ;   in Loop: Header=BB151_20 Depth=2
	s_or_b32 exec_lo, exec_lo, s42
	v_mul_f64 v[9:10], v[7:8], -v[37:38]
	v_mul_f64 v[7:8], v[35:36], v[7:8]
	s_mov_b32 s42, 0
	s_delay_alu instid0(VALU_DEP_2) | instskip(NEXT) | instid1(VALU_DEP_2)
	v_fma_f64 v[9:10], v[35:36], v[5:6], v[9:10]
	v_fma_f64 v[5:6], v[37:38], v[5:6], v[7:8]
	s_delay_alu instid0(VALU_DEP_2) | instskip(NEXT) | instid1(VALU_DEP_2)
	v_fma_f64 v[7:8], v[43:44], v[1:2], v[9:10]
	v_fma_f64 v[5:6], v[45:46], v[1:2], v[5:6]
	s_delay_alu instid0(VALU_DEP_2) | instskip(NEXT) | instid1(VALU_DEP_2)
	v_fma_f64 v[1:2], -v[45:46], v[3:4], v[7:8]
	v_fma_f64 v[3:4], v[43:44], v[3:4], v[5:6]
	s_branch .LBB151_82
.LBB151_81:                             ;   in Loop: Header=BB151_82 Depth=3
	s_or_b32 exec_lo, exec_lo, s43
	s_xor_b32 s43, s44, -1
	s_delay_alu instid0(SALU_CYCLE_1) | instskip(NEXT) | instid1(SALU_CYCLE_1)
	s_and_b32 s43, exec_lo, s43
	s_or_b32 s42, s43, s42
	s_delay_alu instid0(SALU_CYCLE_1)
	s_and_not1_b32 exec_lo, exec_lo, s42
	s_cbranch_execz .LBB151_19
.LBB151_82:                             ;   Parent Loop BB151_17 Depth=1
                                        ;     Parent Loop BB151_20 Depth=2
                                        ; =>    This Loop Header: Depth=3
                                        ;         Child Loop BB151_88 Depth 4
                                        ;         Child Loop BB151_90 Depth 4
	;; [unrolled: 1-line block ×4, first 2 shown]
	v_lshl_add_u32 v7, v49, 3, 0
	s_mov_b32 s43, exec_lo
                                        ; implicit-def: $sgpr44
	ds_load_b64 v[5:6], v7
	s_waitcnt lgkmcnt(0)
	v_cmpx_ne_u64_e64 v[5:6], v[47:48]
	s_xor_b32 s43, exec_lo, s43
	s_cbranch_execz .LBB151_94
; %bb.83:                               ;   in Loop: Header=BB151_82 Depth=3
	s_mov_b32 s45, exec_lo
                                        ; implicit-def: $sgpr44
	v_cmpx_ne_u64_e64 s[40:41], v[5:6]
	s_xor_b32 s45, exec_lo, s45
; %bb.84:                               ;   in Loop: Header=BB151_82 Depth=3
	v_add_nc_u32_e32 v5, 1, v49
	s_mov_b32 s44, -1
                                        ; implicit-def: $vgpr7
	s_delay_alu instid0(VALU_DEP_1)
	v_and_b32_e32 v49, 0x7f, v5
; %bb.85:                               ;   in Loop: Header=BB151_82 Depth=3
	s_and_not1_saveexec_b32 s45, s45
	s_cbranch_execz .LBB151_93
; %bb.86:                               ;   in Loop: Header=BB151_82 Depth=3
	v_dual_mov_b32 v5, s40 :: v_dual_mov_b32 v6, s41
	s_mov_b32 s47, -1
	s_mov_b32 s46, exec_lo
	ds_cmpstore_rtn_b64 v[5:6], v7, v[47:48], v[5:6]
	s_waitcnt lgkmcnt(0)
	v_cmpx_eq_u64_e64 s[40:41], v[5:6]
	s_cbranch_execz .LBB151_92
; %bb.87:                               ;   in Loop: Header=BB151_82 Depth=3
	v_mul_lo_u32 v5, v49, 56
	s_mov_b32 s47, 0
	s_delay_alu instid0(VALU_DEP_1)
	v_add_nc_u32_e32 v7, v7, v5
	ds_load_b64 v[5:6], v7 offset:1072
.LBB151_88:                             ;   Parent Loop BB151_17 Depth=1
                                        ;     Parent Loop BB151_20 Depth=2
                                        ;       Parent Loop BB151_82 Depth=3
                                        ; =>      This Inner Loop Header: Depth=4
	s_waitcnt lgkmcnt(0)
	v_add_f64 v[8:9], v[5:6], v[1:2]
	ds_cmpstore_rtn_b64 v[8:9], v7, v[8:9], v[5:6] offset:1072
	s_waitcnt lgkmcnt(0)
	v_cmp_eq_u64_e32 vcc_lo, v[8:9], v[5:6]
	v_dual_mov_b32 v5, v8 :: v_dual_mov_b32 v6, v9
	s_or_b32 s47, vcc_lo, s47
	s_delay_alu instid0(SALU_CYCLE_1)
	s_and_not1_b32 exec_lo, exec_lo, s47
	s_cbranch_execnz .LBB151_88
; %bb.89:                               ;   in Loop: Header=BB151_82 Depth=3
	s_or_b32 exec_lo, exec_lo, s47
	ds_load_b64 v[5:6], v7 offset:1080
	s_mov_b32 s47, 0
.LBB151_90:                             ;   Parent Loop BB151_17 Depth=1
                                        ;     Parent Loop BB151_20 Depth=2
                                        ;       Parent Loop BB151_82 Depth=3
                                        ; =>      This Inner Loop Header: Depth=4
	s_waitcnt lgkmcnt(0)
	v_add_f64 v[8:9], v[5:6], v[3:4]
	ds_cmpstore_rtn_b64 v[8:9], v7, v[8:9], v[5:6] offset:1080
	s_waitcnt lgkmcnt(0)
	v_cmp_eq_u64_e32 vcc_lo, v[8:9], v[5:6]
	v_dual_mov_b32 v5, v8 :: v_dual_mov_b32 v6, v9
	s_or_b32 s47, vcc_lo, s47
	s_delay_alu instid0(SALU_CYCLE_1)
	s_and_not1_b32 exec_lo, exec_lo, s47
	s_cbranch_execnz .LBB151_90
; %bb.91:                               ;   in Loop: Header=BB151_82 Depth=3
	s_or_b32 exec_lo, exec_lo, s47
	s_delay_alu instid0(SALU_CYCLE_1)
	s_xor_b32 s47, exec_lo, -1
.LBB151_92:                             ;   in Loop: Header=BB151_82 Depth=3
	s_or_b32 exec_lo, exec_lo, s46
	s_delay_alu instid0(SALU_CYCLE_1) | instskip(SKIP_1) | instid1(SALU_CYCLE_1)
	s_and_not1_b32 s44, s44, exec_lo
	s_and_b32 s46, s47, exec_lo
	s_or_b32 s44, s44, s46
.LBB151_93:                             ;   in Loop: Header=BB151_82 Depth=3
	s_or_b32 exec_lo, exec_lo, s45
	s_delay_alu instid0(SALU_CYCLE_1)
	s_and_b32 s44, s44, exec_lo
                                        ; implicit-def: $vgpr7
.LBB151_94:                             ;   in Loop: Header=BB151_82 Depth=3
	s_and_not1_saveexec_b32 s43, s43
	s_cbranch_execz .LBB151_81
; %bb.95:                               ;   in Loop: Header=BB151_82 Depth=3
	v_mul_lo_u32 v5, v49, 56
	s_mov_b32 s45, 0
	s_delay_alu instid0(VALU_DEP_1)
	v_add_nc_u32_e32 v7, v7, v5
	ds_load_b64 v[5:6], v7 offset:1072
.LBB151_96:                             ;   Parent Loop BB151_17 Depth=1
                                        ;     Parent Loop BB151_20 Depth=2
                                        ;       Parent Loop BB151_82 Depth=3
                                        ; =>      This Inner Loop Header: Depth=4
	s_waitcnt lgkmcnt(0)
	v_add_f64 v[8:9], v[5:6], v[1:2]
	ds_cmpstore_rtn_b64 v[8:9], v7, v[8:9], v[5:6] offset:1072
	s_waitcnt lgkmcnt(0)
	v_cmp_eq_u64_e32 vcc_lo, v[8:9], v[5:6]
	v_dual_mov_b32 v5, v8 :: v_dual_mov_b32 v6, v9
	s_or_b32 s45, vcc_lo, s45
	s_delay_alu instid0(SALU_CYCLE_1)
	s_and_not1_b32 exec_lo, exec_lo, s45
	s_cbranch_execnz .LBB151_96
; %bb.97:                               ;   in Loop: Header=BB151_82 Depth=3
	s_or_b32 exec_lo, exec_lo, s45
	ds_load_b64 v[5:6], v7 offset:1080
	s_mov_b32 s45, 0
.LBB151_98:                             ;   Parent Loop BB151_17 Depth=1
                                        ;     Parent Loop BB151_20 Depth=2
                                        ;       Parent Loop BB151_82 Depth=3
                                        ; =>      This Inner Loop Header: Depth=4
	s_waitcnt lgkmcnt(0)
	v_add_f64 v[8:9], v[5:6], v[3:4]
	ds_cmpstore_rtn_b64 v[8:9], v7, v[8:9], v[5:6] offset:1080
	s_waitcnt lgkmcnt(0)
	v_cmp_eq_u64_e32 vcc_lo, v[8:9], v[5:6]
	v_dual_mov_b32 v5, v8 :: v_dual_mov_b32 v6, v9
	s_or_b32 s45, vcc_lo, s45
	s_delay_alu instid0(SALU_CYCLE_1)
	s_and_not1_b32 exec_lo, exec_lo, s45
	s_cbranch_execnz .LBB151_98
; %bb.99:                               ;   in Loop: Header=BB151_82 Depth=3
	s_or_b32 exec_lo, exec_lo, s45
	s_delay_alu instid0(SALU_CYCLE_1)
	s_and_not1_b32 s44, s44, exec_lo
	s_branch .LBB151_81
.LBB151_100:
	s_or_b32 exec_lo, exec_lo, s12
.LBB151_101:
	s_delay_alu instid0(SALU_CYCLE_1)
	s_and_not1_b32 vcc_lo, exec_lo, s33
	s_waitcnt lgkmcnt(0)
	s_barrier
	buffer_gl0_inv
	s_cbranch_vccnz .LBB151_186
; %bb.102:
	s_lshl_b64 s[0:1], s[34:35], 3
	s_delay_alu instid0(SALU_CYCLE_1) | instskip(SKIP_4) | instid1(VALU_DEP_1)
	s_add_u32 s0, s4, s0
	s_addc_u32 s1, s5, s1
	s_mov_b32 s4, 0
	s_load_b128 s[12:15], s[0:1], 0x0
	v_sub_co_u32 v1, s0, v0, s23
	v_sub_co_ci_u32_e64 v2, null, 0, 0, s0
	s_mov_b32 s5, exec_lo
	s_waitcnt lgkmcnt(0)
	s_delay_alu instid0(VALU_DEP_2) | instskip(NEXT) | instid1(VALU_DEP_2)
	v_add_co_u32 v13, vcc_lo, s12, v1
	v_add_co_ci_u32_e32 v14, vcc_lo, s13, v2, vcc_lo
	s_sub_u32 s0, s14, s23
	s_subb_u32 s1, s15, 0
	s_delay_alu instid0(VALU_DEP_1) | instid1(SALU_CYCLE_1)
	v_cmpx_gt_i64_e64 s[0:1], v[13:14]
	s_cbranch_execz .LBB151_185
; %bb.103:
	s_cmp_eq_u32 s3, 0
	s_mov_b32 s12, s23
	s_cselect_b32 s13, 1, 2
	s_cselect_b32 s14, 2, 1
	s_branch .LBB151_105
.LBB151_104:                            ;   in Loop: Header=BB151_105 Depth=1
	s_or_b32 exec_lo, exec_lo, s15
	v_add_co_u32 v13, vcc_lo, 0x100, v13
	v_add_co_ci_u32_e32 v14, vcc_lo, 0, v14, vcc_lo
	s_delay_alu instid0(VALU_DEP_1) | instskip(SKIP_1) | instid1(SALU_CYCLE_1)
	v_cmp_le_i64_e32 vcc_lo, s[0:1], v[13:14]
	s_or_b32 s4, vcc_lo, s4
	s_and_not1_b32 exec_lo, exec_lo, s4
	s_cbranch_execz .LBB151_185
.LBB151_105:                            ; =>This Loop Header: Depth=1
                                        ;     Child Loop BB151_107 Depth 2
                                        ;       Child Loop BB151_113 Depth 3
                                        ;       Child Loop BB151_115 Depth 3
                                        ;       Child Loop BB151_121 Depth 3
                                        ;       Child Loop BB151_123 Depth 3
                                        ;     Child Loop BB151_127 Depth 2
                                        ;       Child Loop BB151_133 Depth 3
                                        ;       Child Loop BB151_135 Depth 3
                                        ;       Child Loop BB151_141 Depth 3
                                        ;       Child Loop BB151_143 Depth 3
	;; [unrolled: 5-line block ×4, first 2 shown]
	v_lshlrev_b64 v[1:2], 6, v[13:14]
	v_lshlrev_b64 v[3:4], 3, v[13:14]
	;; [unrolled: 1-line block ×3, first 2 shown]
	s_mov_b32 s15, 0
	s_delay_alu instid0(VALU_DEP_3) | instskip(NEXT) | instid1(VALU_DEP_4)
	v_add_co_u32 v1, vcc_lo, s8, v1
	v_add_co_ci_u32_e32 v2, vcc_lo, s9, v2, vcc_lo
	s_delay_alu instid0(VALU_DEP_4)
	v_add_co_u32 v3, vcc_lo, s6, v3
	v_add_co_ci_u32_e32 v4, vcc_lo, s7, v4, vcc_lo
	global_load_b128 v[24:27], v[1:2], off
	v_or_b32_e32 v8, 0, v6
	v_or_b32_e32 v7, s13, v5
	global_load_b64 v[15:16], v[3:4], off
	v_or_b32_e32 v4, 0, v6
	v_or_b32_e32 v3, s14, v5
	v_lshlrev_b64 v[5:6], 4, v[7:8]
	s_delay_alu instid0(VALU_DEP_2) | instskip(NEXT) | instid1(VALU_DEP_2)
	v_lshlrev_b64 v[3:4], 4, v[3:4]
	v_add_co_u32 v5, vcc_lo, s8, v5
	s_delay_alu instid0(VALU_DEP_3) | instskip(NEXT) | instid1(VALU_DEP_3)
	v_add_co_ci_u32_e32 v6, vcc_lo, s9, v6, vcc_lo
	v_add_co_u32 v7, vcc_lo, s8, v3
	s_delay_alu instid0(VALU_DEP_4)
	v_add_co_ci_u32_e32 v8, vcc_lo, s9, v4, vcc_lo
	s_clause 0x2
	global_load_b128 v[1:4], v[1:2], off offset:48
	global_load_b128 v[9:12], v[5:6], off
	global_load_b128 v[5:8], v[7:8], off
	s_waitcnt vmcnt(4)
	v_mul_f64 v[21:22], v[26:27], -v[17:18]
	v_mul_f64 v[26:27], v[19:20], v[26:27]
	s_waitcnt vmcnt(3)
	v_sub_co_u32 v15, vcc_lo, v15, s12
	v_subrev_co_ci_u32_e32 v16, vcc_lo, 0, v16, vcc_lo
	s_delay_alu instid0(VALU_DEP_4) | instskip(NEXT) | instid1(VALU_DEP_4)
	v_fma_f64 v[22:23], v[19:20], v[24:25], v[21:22]
	v_fma_f64 v[24:25], v[17:18], v[24:25], v[26:27]
	s_delay_alu instid0(VALU_DEP_4) | instskip(NEXT) | instid1(VALU_DEP_1)
	v_lshl_add_u32 v21, v15, 3, v15
	v_and_b32_e32 v21, 0x7f, v21
	s_delay_alu instid0(VALU_DEP_1)
	v_dual_mov_b32 v27, v22 :: v_dual_mov_b32 v26, v21
	s_branch .LBB151_107
.LBB151_106:                            ;   in Loop: Header=BB151_107 Depth=2
	s_or_b32 exec_lo, exec_lo, s16
	s_xor_b32 s16, s17, -1
	s_delay_alu instid0(SALU_CYCLE_1) | instskip(NEXT) | instid1(SALU_CYCLE_1)
	s_and_b32 s16, exec_lo, s16
	s_or_b32 s15, s16, s15
	s_delay_alu instid0(SALU_CYCLE_1)
	s_and_not1_b32 exec_lo, exec_lo, s15
	s_cbranch_execz .LBB151_125
.LBB151_107:                            ;   Parent Loop BB151_105 Depth=1
                                        ; =>  This Loop Header: Depth=2
                                        ;       Child Loop BB151_113 Depth 3
                                        ;       Child Loop BB151_115 Depth 3
	;; [unrolled: 1-line block ×4, first 2 shown]
	s_delay_alu instid0(VALU_DEP_1)
	v_lshl_add_u32 v29, v26, 3, 0
	s_mov_b32 s16, exec_lo
                                        ; implicit-def: $sgpr17
	ds_load_b64 v[27:28], v29
	s_waitcnt lgkmcnt(0)
	v_cmpx_ne_u64_e64 v[27:28], v[15:16]
	s_xor_b32 s16, exec_lo, s16
	s_cbranch_execz .LBB151_119
; %bb.108:                              ;   in Loop: Header=BB151_107 Depth=2
	s_mov_b32 s18, exec_lo
                                        ; implicit-def: $sgpr17
	v_cmpx_ne_u64_e64 s[40:41], v[27:28]
	s_xor_b32 s18, exec_lo, s18
; %bb.109:                              ;   in Loop: Header=BB151_107 Depth=2
	v_add_nc_u32_e32 v26, 1, v26
	s_mov_b32 s17, -1
                                        ; implicit-def: $vgpr29
	s_delay_alu instid0(VALU_DEP_1)
	v_and_b32_e32 v26, 0x7f, v26
; %bb.110:                              ;   in Loop: Header=BB151_107 Depth=2
	s_and_not1_saveexec_b32 s18, s18
	s_cbranch_execz .LBB151_118
; %bb.111:                              ;   in Loop: Header=BB151_107 Depth=2
	v_dual_mov_b32 v27, s40 :: v_dual_mov_b32 v28, s41
	s_mov_b32 s20, -1
	s_mov_b32 s19, exec_lo
	ds_cmpstore_rtn_b64 v[27:28], v29, v[15:16], v[27:28]
	s_waitcnt lgkmcnt(0)
	v_cmpx_eq_u64_e64 s[40:41], v[27:28]
	s_cbranch_execz .LBB151_117
; %bb.112:                              ;   in Loop: Header=BB151_107 Depth=2
	v_mul_lo_u32 v27, v26, 56
	s_mov_b32 s20, 0
	s_delay_alu instid0(VALU_DEP_1)
	v_add_nc_u32_e32 v29, v29, v27
	ds_load_b64 v[27:28], v29 offset:1024
.LBB151_113:                            ;   Parent Loop BB151_105 Depth=1
                                        ;     Parent Loop BB151_107 Depth=2
                                        ; =>    This Inner Loop Header: Depth=3
	s_waitcnt lgkmcnt(0)
	v_add_f64 v[30:31], v[27:28], v[22:23]
	ds_cmpstore_rtn_b64 v[30:31], v29, v[30:31], v[27:28] offset:1024
	s_waitcnt lgkmcnt(0)
	v_cmp_eq_u64_e32 vcc_lo, v[30:31], v[27:28]
	v_dual_mov_b32 v27, v30 :: v_dual_mov_b32 v28, v31
	s_or_b32 s20, vcc_lo, s20
	s_delay_alu instid0(SALU_CYCLE_1)
	s_and_not1_b32 exec_lo, exec_lo, s20
	s_cbranch_execnz .LBB151_113
; %bb.114:                              ;   in Loop: Header=BB151_107 Depth=2
	s_or_b32 exec_lo, exec_lo, s20
	ds_load_b64 v[27:28], v29 offset:1032
	s_mov_b32 s20, 0
.LBB151_115:                            ;   Parent Loop BB151_105 Depth=1
                                        ;     Parent Loop BB151_107 Depth=2
                                        ; =>    This Inner Loop Header: Depth=3
	s_waitcnt lgkmcnt(0)
	v_add_f64 v[30:31], v[27:28], v[24:25]
	ds_cmpstore_rtn_b64 v[30:31], v29, v[30:31], v[27:28] offset:1032
	s_waitcnt lgkmcnt(0)
	v_cmp_eq_u64_e32 vcc_lo, v[30:31], v[27:28]
	v_dual_mov_b32 v27, v30 :: v_dual_mov_b32 v28, v31
	s_or_b32 s20, vcc_lo, s20
	s_delay_alu instid0(SALU_CYCLE_1)
	s_and_not1_b32 exec_lo, exec_lo, s20
	s_cbranch_execnz .LBB151_115
; %bb.116:                              ;   in Loop: Header=BB151_107 Depth=2
	s_or_b32 exec_lo, exec_lo, s20
	s_delay_alu instid0(SALU_CYCLE_1)
	s_xor_b32 s20, exec_lo, -1
.LBB151_117:                            ;   in Loop: Header=BB151_107 Depth=2
	s_or_b32 exec_lo, exec_lo, s19
	s_delay_alu instid0(SALU_CYCLE_1) | instskip(SKIP_1) | instid1(SALU_CYCLE_1)
	s_and_not1_b32 s17, s17, exec_lo
	s_and_b32 s19, s20, exec_lo
	s_or_b32 s17, s17, s19
.LBB151_118:                            ;   in Loop: Header=BB151_107 Depth=2
	s_or_b32 exec_lo, exec_lo, s18
	s_delay_alu instid0(SALU_CYCLE_1)
	s_and_b32 s17, s17, exec_lo
                                        ; implicit-def: $vgpr29
.LBB151_119:                            ;   in Loop: Header=BB151_107 Depth=2
	s_and_not1_saveexec_b32 s16, s16
	s_cbranch_execz .LBB151_106
; %bb.120:                              ;   in Loop: Header=BB151_107 Depth=2
	v_mul_lo_u32 v27, v26, 56
	s_mov_b32 s18, 0
	s_delay_alu instid0(VALU_DEP_1)
	v_add_nc_u32_e32 v29, v29, v27
	ds_load_b64 v[27:28], v29 offset:1024
.LBB151_121:                            ;   Parent Loop BB151_105 Depth=1
                                        ;     Parent Loop BB151_107 Depth=2
                                        ; =>    This Inner Loop Header: Depth=3
	s_waitcnt lgkmcnt(0)
	v_add_f64 v[30:31], v[27:28], v[22:23]
	ds_cmpstore_rtn_b64 v[30:31], v29, v[30:31], v[27:28] offset:1024
	s_waitcnt lgkmcnt(0)
	v_cmp_eq_u64_e32 vcc_lo, v[30:31], v[27:28]
	v_dual_mov_b32 v27, v30 :: v_dual_mov_b32 v28, v31
	s_or_b32 s18, vcc_lo, s18
	s_delay_alu instid0(SALU_CYCLE_1)
	s_and_not1_b32 exec_lo, exec_lo, s18
	s_cbranch_execnz .LBB151_121
; %bb.122:                              ;   in Loop: Header=BB151_107 Depth=2
	s_or_b32 exec_lo, exec_lo, s18
	ds_load_b64 v[27:28], v29 offset:1032
	s_mov_b32 s18, 0
.LBB151_123:                            ;   Parent Loop BB151_105 Depth=1
                                        ;     Parent Loop BB151_107 Depth=2
                                        ; =>    This Inner Loop Header: Depth=3
	s_waitcnt lgkmcnt(0)
	v_add_f64 v[30:31], v[27:28], v[24:25]
	ds_cmpstore_rtn_b64 v[30:31], v29, v[30:31], v[27:28] offset:1032
	s_waitcnt lgkmcnt(0)
	v_cmp_eq_u64_e32 vcc_lo, v[30:31], v[27:28]
	v_dual_mov_b32 v27, v30 :: v_dual_mov_b32 v28, v31
	s_or_b32 s18, vcc_lo, s18
	s_delay_alu instid0(SALU_CYCLE_1)
	s_and_not1_b32 exec_lo, exec_lo, s18
	s_cbranch_execnz .LBB151_123
; %bb.124:                              ;   in Loop: Header=BB151_107 Depth=2
	s_or_b32 exec_lo, exec_lo, s18
	s_delay_alu instid0(SALU_CYCLE_1)
	s_and_not1_b32 s17, s17, exec_lo
	s_branch .LBB151_106
.LBB151_125:                            ;   in Loop: Header=BB151_105 Depth=1
	s_or_b32 exec_lo, exec_lo, s15
	s_waitcnt vmcnt(1)
	v_mul_f64 v[22:23], v[11:12], -v[17:18]
	v_mul_f64 v[24:25], v[19:20], v[11:12]
	s_mov_b32 s15, 0
	s_delay_alu instid0(VALU_DEP_2) | instskip(NEXT) | instid1(VALU_DEP_2)
	v_fma_f64 v[11:12], v[19:20], v[9:10], v[22:23]
	v_fma_f64 v[9:10], v[17:18], v[9:10], v[24:25]
	v_mov_b32_e32 v23, v22
	v_mov_b32_e32 v22, v21
	s_branch .LBB151_127
.LBB151_126:                            ;   in Loop: Header=BB151_127 Depth=2
	s_or_b32 exec_lo, exec_lo, s16
	s_xor_b32 s16, s17, -1
	s_delay_alu instid0(SALU_CYCLE_1) | instskip(NEXT) | instid1(SALU_CYCLE_1)
	s_and_b32 s16, exec_lo, s16
	s_or_b32 s15, s16, s15
	s_delay_alu instid0(SALU_CYCLE_1)
	s_and_not1_b32 exec_lo, exec_lo, s15
	s_cbranch_execz .LBB151_145
.LBB151_127:                            ;   Parent Loop BB151_105 Depth=1
                                        ; =>  This Loop Header: Depth=2
                                        ;       Child Loop BB151_133 Depth 3
                                        ;       Child Loop BB151_135 Depth 3
	;; [unrolled: 1-line block ×4, first 2 shown]
	s_delay_alu instid0(VALU_DEP_1)
	v_lshl_add_u32 v25, v22, 3, 0
	s_mov_b32 s16, exec_lo
                                        ; implicit-def: $sgpr17
	ds_load_b64 v[23:24], v25
	s_waitcnt lgkmcnt(0)
	v_cmpx_ne_u64_e64 v[23:24], v[15:16]
	s_xor_b32 s16, exec_lo, s16
	s_cbranch_execz .LBB151_139
; %bb.128:                              ;   in Loop: Header=BB151_127 Depth=2
	s_mov_b32 s18, exec_lo
                                        ; implicit-def: $sgpr17
	v_cmpx_ne_u64_e64 s[40:41], v[23:24]
	s_xor_b32 s18, exec_lo, s18
; %bb.129:                              ;   in Loop: Header=BB151_127 Depth=2
	v_add_nc_u32_e32 v22, 1, v22
	s_mov_b32 s17, -1
                                        ; implicit-def: $vgpr25
	s_delay_alu instid0(VALU_DEP_1)
	v_and_b32_e32 v22, 0x7f, v22
; %bb.130:                              ;   in Loop: Header=BB151_127 Depth=2
	s_and_not1_saveexec_b32 s18, s18
	s_cbranch_execz .LBB151_138
; %bb.131:                              ;   in Loop: Header=BB151_127 Depth=2
	v_dual_mov_b32 v23, s40 :: v_dual_mov_b32 v24, s41
	s_mov_b32 s20, -1
	s_mov_b32 s19, exec_lo
	ds_cmpstore_rtn_b64 v[23:24], v25, v[15:16], v[23:24]
	s_waitcnt lgkmcnt(0)
	v_cmpx_eq_u64_e64 s[40:41], v[23:24]
	s_cbranch_execz .LBB151_137
; %bb.132:                              ;   in Loop: Header=BB151_127 Depth=2
	v_mul_lo_u32 v23, v22, 56
	s_mov_b32 s20, 0
	s_delay_alu instid0(VALU_DEP_1)
	v_add_nc_u32_e32 v25, v25, v23
	ds_load_b64 v[23:24], v25 offset:1040
.LBB151_133:                            ;   Parent Loop BB151_105 Depth=1
                                        ;     Parent Loop BB151_127 Depth=2
                                        ; =>    This Inner Loop Header: Depth=3
	s_waitcnt lgkmcnt(0)
	v_add_f64 v[26:27], v[23:24], v[11:12]
	ds_cmpstore_rtn_b64 v[26:27], v25, v[26:27], v[23:24] offset:1040
	s_waitcnt lgkmcnt(0)
	v_cmp_eq_u64_e32 vcc_lo, v[26:27], v[23:24]
	v_dual_mov_b32 v23, v26 :: v_dual_mov_b32 v24, v27
	s_or_b32 s20, vcc_lo, s20
	s_delay_alu instid0(SALU_CYCLE_1)
	s_and_not1_b32 exec_lo, exec_lo, s20
	s_cbranch_execnz .LBB151_133
; %bb.134:                              ;   in Loop: Header=BB151_127 Depth=2
	s_or_b32 exec_lo, exec_lo, s20
	ds_load_b64 v[23:24], v25 offset:1048
	s_mov_b32 s20, 0
.LBB151_135:                            ;   Parent Loop BB151_105 Depth=1
                                        ;     Parent Loop BB151_127 Depth=2
                                        ; =>    This Inner Loop Header: Depth=3
	s_waitcnt lgkmcnt(0)
	v_add_f64 v[26:27], v[23:24], v[9:10]
	ds_cmpstore_rtn_b64 v[26:27], v25, v[26:27], v[23:24] offset:1048
	s_waitcnt lgkmcnt(0)
	v_cmp_eq_u64_e32 vcc_lo, v[26:27], v[23:24]
	v_dual_mov_b32 v23, v26 :: v_dual_mov_b32 v24, v27
	s_or_b32 s20, vcc_lo, s20
	s_delay_alu instid0(SALU_CYCLE_1)
	s_and_not1_b32 exec_lo, exec_lo, s20
	s_cbranch_execnz .LBB151_135
; %bb.136:                              ;   in Loop: Header=BB151_127 Depth=2
	s_or_b32 exec_lo, exec_lo, s20
	s_delay_alu instid0(SALU_CYCLE_1)
	s_xor_b32 s20, exec_lo, -1
.LBB151_137:                            ;   in Loop: Header=BB151_127 Depth=2
	s_or_b32 exec_lo, exec_lo, s19
	s_delay_alu instid0(SALU_CYCLE_1) | instskip(SKIP_1) | instid1(SALU_CYCLE_1)
	s_and_not1_b32 s17, s17, exec_lo
	s_and_b32 s19, s20, exec_lo
	s_or_b32 s17, s17, s19
.LBB151_138:                            ;   in Loop: Header=BB151_127 Depth=2
	s_or_b32 exec_lo, exec_lo, s18
	s_delay_alu instid0(SALU_CYCLE_1)
	s_and_b32 s17, s17, exec_lo
                                        ; implicit-def: $vgpr25
.LBB151_139:                            ;   in Loop: Header=BB151_127 Depth=2
	s_and_not1_saveexec_b32 s16, s16
	s_cbranch_execz .LBB151_126
; %bb.140:                              ;   in Loop: Header=BB151_127 Depth=2
	v_mul_lo_u32 v23, v22, 56
	s_mov_b32 s18, 0
	s_delay_alu instid0(VALU_DEP_1)
	v_add_nc_u32_e32 v25, v25, v23
	ds_load_b64 v[23:24], v25 offset:1040
.LBB151_141:                            ;   Parent Loop BB151_105 Depth=1
                                        ;     Parent Loop BB151_127 Depth=2
                                        ; =>    This Inner Loop Header: Depth=3
	s_waitcnt lgkmcnt(0)
	v_add_f64 v[26:27], v[23:24], v[11:12]
	ds_cmpstore_rtn_b64 v[26:27], v25, v[26:27], v[23:24] offset:1040
	s_waitcnt lgkmcnt(0)
	v_cmp_eq_u64_e32 vcc_lo, v[26:27], v[23:24]
	v_dual_mov_b32 v23, v26 :: v_dual_mov_b32 v24, v27
	s_or_b32 s18, vcc_lo, s18
	s_delay_alu instid0(SALU_CYCLE_1)
	s_and_not1_b32 exec_lo, exec_lo, s18
	s_cbranch_execnz .LBB151_141
; %bb.142:                              ;   in Loop: Header=BB151_127 Depth=2
	s_or_b32 exec_lo, exec_lo, s18
	ds_load_b64 v[23:24], v25 offset:1048
	s_mov_b32 s18, 0
.LBB151_143:                            ;   Parent Loop BB151_105 Depth=1
                                        ;     Parent Loop BB151_127 Depth=2
                                        ; =>    This Inner Loop Header: Depth=3
	s_waitcnt lgkmcnt(0)
	v_add_f64 v[26:27], v[23:24], v[9:10]
	ds_cmpstore_rtn_b64 v[26:27], v25, v[26:27], v[23:24] offset:1048
	s_waitcnt lgkmcnt(0)
	v_cmp_eq_u64_e32 vcc_lo, v[26:27], v[23:24]
	v_dual_mov_b32 v23, v26 :: v_dual_mov_b32 v24, v27
	s_or_b32 s18, vcc_lo, s18
	s_delay_alu instid0(SALU_CYCLE_1)
	s_and_not1_b32 exec_lo, exec_lo, s18
	s_cbranch_execnz .LBB151_143
; %bb.144:                              ;   in Loop: Header=BB151_127 Depth=2
	s_or_b32 exec_lo, exec_lo, s18
	s_delay_alu instid0(SALU_CYCLE_1)
	s_and_not1_b32 s17, s17, exec_lo
	s_branch .LBB151_126
.LBB151_145:                            ;   in Loop: Header=BB151_105 Depth=1
	s_or_b32 exec_lo, exec_lo, s15
	s_waitcnt vmcnt(0)
	v_mul_f64 v[9:10], v[7:8], -v[17:18]
	v_mul_f64 v[11:12], v[19:20], v[7:8]
	s_mov_b32 s15, 0
	s_delay_alu instid0(VALU_DEP_2) | instskip(NEXT) | instid1(VALU_DEP_2)
	v_fma_f64 v[7:8], v[19:20], v[5:6], v[9:10]
	v_fma_f64 v[5:6], v[17:18], v[5:6], v[11:12]
	v_dual_mov_b32 v9, v21 :: v_dual_mov_b32 v10, v22
	s_branch .LBB151_147
.LBB151_146:                            ;   in Loop: Header=BB151_147 Depth=2
	s_or_b32 exec_lo, exec_lo, s16
	s_xor_b32 s16, s17, -1
	s_delay_alu instid0(SALU_CYCLE_1) | instskip(NEXT) | instid1(SALU_CYCLE_1)
	s_and_b32 s16, exec_lo, s16
	s_or_b32 s15, s16, s15
	s_delay_alu instid0(SALU_CYCLE_1)
	s_and_not1_b32 exec_lo, exec_lo, s15
	s_cbranch_execz .LBB151_165
.LBB151_147:                            ;   Parent Loop BB151_105 Depth=1
                                        ; =>  This Loop Header: Depth=2
                                        ;       Child Loop BB151_153 Depth 3
                                        ;       Child Loop BB151_155 Depth 3
	;; [unrolled: 1-line block ×4, first 2 shown]
	s_delay_alu instid0(VALU_DEP_1)
	v_lshl_add_u32 v12, v9, 3, 0
	s_mov_b32 s16, exec_lo
                                        ; implicit-def: $sgpr17
	ds_load_b64 v[10:11], v12
	s_waitcnt lgkmcnt(0)
	v_cmpx_ne_u64_e64 v[10:11], v[15:16]
	s_xor_b32 s16, exec_lo, s16
	s_cbranch_execz .LBB151_159
; %bb.148:                              ;   in Loop: Header=BB151_147 Depth=2
	s_mov_b32 s18, exec_lo
                                        ; implicit-def: $sgpr17
	v_cmpx_ne_u64_e64 s[40:41], v[10:11]
	s_xor_b32 s18, exec_lo, s18
; %bb.149:                              ;   in Loop: Header=BB151_147 Depth=2
	v_add_nc_u32_e32 v9, 1, v9
	s_mov_b32 s17, -1
                                        ; implicit-def: $vgpr12
	s_delay_alu instid0(VALU_DEP_1)
	v_and_b32_e32 v9, 0x7f, v9
; %bb.150:                              ;   in Loop: Header=BB151_147 Depth=2
	s_and_not1_saveexec_b32 s18, s18
	s_cbranch_execz .LBB151_158
; %bb.151:                              ;   in Loop: Header=BB151_147 Depth=2
	v_dual_mov_b32 v10, s40 :: v_dual_mov_b32 v11, s41
	s_mov_b32 s20, -1
	s_mov_b32 s19, exec_lo
	ds_cmpstore_rtn_b64 v[10:11], v12, v[15:16], v[10:11]
	s_waitcnt lgkmcnt(0)
	v_cmpx_eq_u64_e64 s[40:41], v[10:11]
	s_cbranch_execz .LBB151_157
; %bb.152:                              ;   in Loop: Header=BB151_147 Depth=2
	v_mul_lo_u32 v10, v9, 56
	s_mov_b32 s20, 0
	s_delay_alu instid0(VALU_DEP_1)
	v_add_nc_u32_e32 v12, v12, v10
	ds_load_b64 v[10:11], v12 offset:1056
.LBB151_153:                            ;   Parent Loop BB151_105 Depth=1
                                        ;     Parent Loop BB151_147 Depth=2
                                        ; =>    This Inner Loop Header: Depth=3
	s_waitcnt lgkmcnt(0)
	v_add_f64 v[22:23], v[10:11], v[7:8]
	ds_cmpstore_rtn_b64 v[22:23], v12, v[22:23], v[10:11] offset:1056
	s_waitcnt lgkmcnt(0)
	v_cmp_eq_u64_e32 vcc_lo, v[22:23], v[10:11]
	v_dual_mov_b32 v10, v22 :: v_dual_mov_b32 v11, v23
	s_or_b32 s20, vcc_lo, s20
	s_delay_alu instid0(SALU_CYCLE_1)
	s_and_not1_b32 exec_lo, exec_lo, s20
	s_cbranch_execnz .LBB151_153
; %bb.154:                              ;   in Loop: Header=BB151_147 Depth=2
	s_or_b32 exec_lo, exec_lo, s20
	ds_load_b64 v[10:11], v12 offset:1064
	s_mov_b32 s20, 0
.LBB151_155:                            ;   Parent Loop BB151_105 Depth=1
                                        ;     Parent Loop BB151_147 Depth=2
                                        ; =>    This Inner Loop Header: Depth=3
	s_waitcnt lgkmcnt(0)
	v_add_f64 v[22:23], v[10:11], v[5:6]
	ds_cmpstore_rtn_b64 v[22:23], v12, v[22:23], v[10:11] offset:1064
	s_waitcnt lgkmcnt(0)
	v_cmp_eq_u64_e32 vcc_lo, v[22:23], v[10:11]
	v_dual_mov_b32 v10, v22 :: v_dual_mov_b32 v11, v23
	s_or_b32 s20, vcc_lo, s20
	s_delay_alu instid0(SALU_CYCLE_1)
	s_and_not1_b32 exec_lo, exec_lo, s20
	s_cbranch_execnz .LBB151_155
; %bb.156:                              ;   in Loop: Header=BB151_147 Depth=2
	s_or_b32 exec_lo, exec_lo, s20
	s_delay_alu instid0(SALU_CYCLE_1)
	s_xor_b32 s20, exec_lo, -1
.LBB151_157:                            ;   in Loop: Header=BB151_147 Depth=2
	s_or_b32 exec_lo, exec_lo, s19
	s_delay_alu instid0(SALU_CYCLE_1) | instskip(SKIP_1) | instid1(SALU_CYCLE_1)
	s_and_not1_b32 s17, s17, exec_lo
	s_and_b32 s19, s20, exec_lo
	s_or_b32 s17, s17, s19
.LBB151_158:                            ;   in Loop: Header=BB151_147 Depth=2
	s_or_b32 exec_lo, exec_lo, s18
	s_delay_alu instid0(SALU_CYCLE_1)
	s_and_b32 s17, s17, exec_lo
                                        ; implicit-def: $vgpr12
.LBB151_159:                            ;   in Loop: Header=BB151_147 Depth=2
	s_and_not1_saveexec_b32 s16, s16
	s_cbranch_execz .LBB151_146
; %bb.160:                              ;   in Loop: Header=BB151_147 Depth=2
	v_mul_lo_u32 v10, v9, 56
	s_mov_b32 s18, 0
	s_delay_alu instid0(VALU_DEP_1)
	v_add_nc_u32_e32 v12, v12, v10
	ds_load_b64 v[10:11], v12 offset:1056
.LBB151_161:                            ;   Parent Loop BB151_105 Depth=1
                                        ;     Parent Loop BB151_147 Depth=2
                                        ; =>    This Inner Loop Header: Depth=3
	s_waitcnt lgkmcnt(0)
	v_add_f64 v[22:23], v[10:11], v[7:8]
	ds_cmpstore_rtn_b64 v[22:23], v12, v[22:23], v[10:11] offset:1056
	s_waitcnt lgkmcnt(0)
	v_cmp_eq_u64_e32 vcc_lo, v[22:23], v[10:11]
	v_dual_mov_b32 v10, v22 :: v_dual_mov_b32 v11, v23
	s_or_b32 s18, vcc_lo, s18
	s_delay_alu instid0(SALU_CYCLE_1)
	s_and_not1_b32 exec_lo, exec_lo, s18
	s_cbranch_execnz .LBB151_161
; %bb.162:                              ;   in Loop: Header=BB151_147 Depth=2
	s_or_b32 exec_lo, exec_lo, s18
	ds_load_b64 v[10:11], v12 offset:1064
	s_mov_b32 s18, 0
.LBB151_163:                            ;   Parent Loop BB151_105 Depth=1
                                        ;     Parent Loop BB151_147 Depth=2
                                        ; =>    This Inner Loop Header: Depth=3
	s_waitcnt lgkmcnt(0)
	v_add_f64 v[22:23], v[10:11], v[5:6]
	ds_cmpstore_rtn_b64 v[22:23], v12, v[22:23], v[10:11] offset:1064
	s_waitcnt lgkmcnt(0)
	v_cmp_eq_u64_e32 vcc_lo, v[22:23], v[10:11]
	v_dual_mov_b32 v10, v22 :: v_dual_mov_b32 v11, v23
	s_or_b32 s18, vcc_lo, s18
	s_delay_alu instid0(SALU_CYCLE_1)
	s_and_not1_b32 exec_lo, exec_lo, s18
	s_cbranch_execnz .LBB151_163
; %bb.164:                              ;   in Loop: Header=BB151_147 Depth=2
	s_or_b32 exec_lo, exec_lo, s18
	s_delay_alu instid0(SALU_CYCLE_1)
	s_and_not1_b32 s17, s17, exec_lo
	s_branch .LBB151_146
.LBB151_165:                            ;   in Loop: Header=BB151_105 Depth=1
	s_or_b32 exec_lo, exec_lo, s15
	v_mul_f64 v[5:6], v[3:4], -v[17:18]
	v_mul_f64 v[7:8], v[19:20], v[3:4]
	s_mov_b32 s15, 0
	s_delay_alu instid0(VALU_DEP_2) | instskip(NEXT) | instid1(VALU_DEP_2)
	v_fma_f64 v[3:4], v[19:20], v[1:2], v[5:6]
	v_fma_f64 v[1:2], v[17:18], v[1:2], v[7:8]
	s_branch .LBB151_167
.LBB151_166:                            ;   in Loop: Header=BB151_167 Depth=2
	s_or_b32 exec_lo, exec_lo, s16
	s_xor_b32 s16, s17, -1
	s_delay_alu instid0(SALU_CYCLE_1) | instskip(NEXT) | instid1(SALU_CYCLE_1)
	s_and_b32 s16, exec_lo, s16
	s_or_b32 s15, s16, s15
	s_delay_alu instid0(SALU_CYCLE_1)
	s_and_not1_b32 exec_lo, exec_lo, s15
	s_cbranch_execz .LBB151_104
.LBB151_167:                            ;   Parent Loop BB151_105 Depth=1
                                        ; =>  This Loop Header: Depth=2
                                        ;       Child Loop BB151_173 Depth 3
                                        ;       Child Loop BB151_175 Depth 3
	;; [unrolled: 1-line block ×4, first 2 shown]
	v_lshl_add_u32 v7, v21, 3, 0
	s_mov_b32 s16, exec_lo
                                        ; implicit-def: $sgpr17
	ds_load_b64 v[5:6], v7
	s_waitcnt lgkmcnt(0)
	v_cmpx_ne_u64_e64 v[5:6], v[15:16]
	s_xor_b32 s16, exec_lo, s16
	s_cbranch_execz .LBB151_179
; %bb.168:                              ;   in Loop: Header=BB151_167 Depth=2
	s_mov_b32 s18, exec_lo
                                        ; implicit-def: $sgpr17
	v_cmpx_ne_u64_e64 s[40:41], v[5:6]
	s_xor_b32 s18, exec_lo, s18
; %bb.169:                              ;   in Loop: Header=BB151_167 Depth=2
	v_add_nc_u32_e32 v5, 1, v21
	s_mov_b32 s17, -1
                                        ; implicit-def: $vgpr7
	s_delay_alu instid0(VALU_DEP_1)
	v_and_b32_e32 v21, 0x7f, v5
; %bb.170:                              ;   in Loop: Header=BB151_167 Depth=2
	s_and_not1_saveexec_b32 s18, s18
	s_cbranch_execz .LBB151_178
; %bb.171:                              ;   in Loop: Header=BB151_167 Depth=2
	v_dual_mov_b32 v5, s40 :: v_dual_mov_b32 v6, s41
	s_mov_b32 s20, -1
	s_mov_b32 s19, exec_lo
	ds_cmpstore_rtn_b64 v[5:6], v7, v[15:16], v[5:6]
	s_waitcnt lgkmcnt(0)
	v_cmpx_eq_u64_e64 s[40:41], v[5:6]
	s_cbranch_execz .LBB151_177
; %bb.172:                              ;   in Loop: Header=BB151_167 Depth=2
	v_mul_lo_u32 v5, v21, 56
	s_mov_b32 s20, 0
	s_delay_alu instid0(VALU_DEP_1)
	v_add_nc_u32_e32 v7, v7, v5
	ds_load_b64 v[5:6], v7 offset:1072
.LBB151_173:                            ;   Parent Loop BB151_105 Depth=1
                                        ;     Parent Loop BB151_167 Depth=2
                                        ; =>    This Inner Loop Header: Depth=3
	s_waitcnt lgkmcnt(0)
	v_add_f64 v[8:9], v[5:6], v[3:4]
	ds_cmpstore_rtn_b64 v[8:9], v7, v[8:9], v[5:6] offset:1072
	s_waitcnt lgkmcnt(0)
	v_cmp_eq_u64_e32 vcc_lo, v[8:9], v[5:6]
	v_dual_mov_b32 v5, v8 :: v_dual_mov_b32 v6, v9
	s_or_b32 s20, vcc_lo, s20
	s_delay_alu instid0(SALU_CYCLE_1)
	s_and_not1_b32 exec_lo, exec_lo, s20
	s_cbranch_execnz .LBB151_173
; %bb.174:                              ;   in Loop: Header=BB151_167 Depth=2
	s_or_b32 exec_lo, exec_lo, s20
	ds_load_b64 v[5:6], v7 offset:1080
	s_mov_b32 s20, 0
.LBB151_175:                            ;   Parent Loop BB151_105 Depth=1
                                        ;     Parent Loop BB151_167 Depth=2
                                        ; =>    This Inner Loop Header: Depth=3
	s_waitcnt lgkmcnt(0)
	v_add_f64 v[8:9], v[5:6], v[1:2]
	ds_cmpstore_rtn_b64 v[8:9], v7, v[8:9], v[5:6] offset:1080
	s_waitcnt lgkmcnt(0)
	v_cmp_eq_u64_e32 vcc_lo, v[8:9], v[5:6]
	v_dual_mov_b32 v5, v8 :: v_dual_mov_b32 v6, v9
	s_or_b32 s20, vcc_lo, s20
	s_delay_alu instid0(SALU_CYCLE_1)
	s_and_not1_b32 exec_lo, exec_lo, s20
	s_cbranch_execnz .LBB151_175
; %bb.176:                              ;   in Loop: Header=BB151_167 Depth=2
	s_or_b32 exec_lo, exec_lo, s20
	s_delay_alu instid0(SALU_CYCLE_1)
	s_xor_b32 s20, exec_lo, -1
.LBB151_177:                            ;   in Loop: Header=BB151_167 Depth=2
	s_or_b32 exec_lo, exec_lo, s19
	s_delay_alu instid0(SALU_CYCLE_1) | instskip(SKIP_1) | instid1(SALU_CYCLE_1)
	s_and_not1_b32 s17, s17, exec_lo
	s_and_b32 s19, s20, exec_lo
	s_or_b32 s17, s17, s19
.LBB151_178:                            ;   in Loop: Header=BB151_167 Depth=2
	s_or_b32 exec_lo, exec_lo, s18
	s_delay_alu instid0(SALU_CYCLE_1)
	s_and_b32 s17, s17, exec_lo
                                        ; implicit-def: $vgpr7
.LBB151_179:                            ;   in Loop: Header=BB151_167 Depth=2
	s_and_not1_saveexec_b32 s16, s16
	s_cbranch_execz .LBB151_166
; %bb.180:                              ;   in Loop: Header=BB151_167 Depth=2
	v_mul_lo_u32 v5, v21, 56
	s_mov_b32 s18, 0
	s_delay_alu instid0(VALU_DEP_1)
	v_add_nc_u32_e32 v7, v7, v5
	ds_load_b64 v[5:6], v7 offset:1072
.LBB151_181:                            ;   Parent Loop BB151_105 Depth=1
                                        ;     Parent Loop BB151_167 Depth=2
                                        ; =>    This Inner Loop Header: Depth=3
	s_waitcnt lgkmcnt(0)
	v_add_f64 v[8:9], v[5:6], v[3:4]
	ds_cmpstore_rtn_b64 v[8:9], v7, v[8:9], v[5:6] offset:1072
	s_waitcnt lgkmcnt(0)
	v_cmp_eq_u64_e32 vcc_lo, v[8:9], v[5:6]
	v_dual_mov_b32 v5, v8 :: v_dual_mov_b32 v6, v9
	s_or_b32 s18, vcc_lo, s18
	s_delay_alu instid0(SALU_CYCLE_1)
	s_and_not1_b32 exec_lo, exec_lo, s18
	s_cbranch_execnz .LBB151_181
; %bb.182:                              ;   in Loop: Header=BB151_167 Depth=2
	s_or_b32 exec_lo, exec_lo, s18
	ds_load_b64 v[5:6], v7 offset:1080
	s_mov_b32 s18, 0
.LBB151_183:                            ;   Parent Loop BB151_105 Depth=1
                                        ;     Parent Loop BB151_167 Depth=2
                                        ; =>    This Inner Loop Header: Depth=3
	s_waitcnt lgkmcnt(0)
	v_add_f64 v[8:9], v[5:6], v[1:2]
	ds_cmpstore_rtn_b64 v[8:9], v7, v[8:9], v[5:6] offset:1080
	s_waitcnt lgkmcnt(0)
	v_cmp_eq_u64_e32 vcc_lo, v[8:9], v[5:6]
	v_dual_mov_b32 v5, v8 :: v_dual_mov_b32 v6, v9
	s_or_b32 s18, vcc_lo, s18
	s_delay_alu instid0(SALU_CYCLE_1)
	s_and_not1_b32 exec_lo, exec_lo, s18
	s_cbranch_execnz .LBB151_183
; %bb.184:                              ;   in Loop: Header=BB151_167 Depth=2
	s_or_b32 exec_lo, exec_lo, s18
	s_delay_alu instid0(SALU_CYCLE_1)
	s_and_not1_b32 s17, s17, exec_lo
	s_branch .LBB151_166
.LBB151_185:
	s_or_b32 exec_lo, exec_lo, s5
.LBB151_186:
	s_barrier
	buffer_gl0_inv
	s_and_saveexec_b32 s0, s2
	s_cbranch_execz .LBB151_191
; %bb.187:
	ds_load_b64 v[1:2], v57
	s_mov_b32 s1, 0
	s_waitcnt lgkmcnt(0)
	v_cmp_gt_i64_e32 vcc_lo, s[40:41], v[1:2]
	s_and_b32 exec_lo, exec_lo, vcc_lo
	s_cbranch_execz .LBB151_191
; %bb.188:
	s_lshl_b64 s[4:5], s[34:35], 3
	s_delay_alu instid0(SALU_CYCLE_1)
	s_add_u32 s4, s10, s4
	s_addc_u32 s5, s11, s5
	s_load_b64 s[4:5], s[4:5], 0x0
	s_waitcnt lgkmcnt(0)
	s_sub_u32 s4, s4, s22
	s_subb_u32 s5, s5, 0
	s_delay_alu instid0(SALU_CYCLE_1)
	v_dual_mov_b32 v3, s4 :: v_dual_mov_b32 v4, s5
.LBB151_189:                            ; =>This Inner Loop Header: Depth=1
	s_add_i32 s0, s1, 0
	s_addk_i32 s1, 0x80
	v_mov_b32_e32 v33, s0
	s_cmpk_lg_i32 s1, 0x400
	ds_load_2addr_b64 v[5:8], v33 offset1:1
	ds_load_2addr_b64 v[9:12], v33 offset0:2 offset1:3
	ds_load_2addr_b64 v[13:16], v33 offset0:4 offset1:5
	;; [unrolled: 1-line block ×7, first 2 shown]
	s_waitcnt lgkmcnt(7)
	v_cmp_gt_i64_e32 vcc_lo, v[1:2], v[5:6]
	v_cndmask_b32_e64 v5, 0, 1, vcc_lo
	v_cmp_gt_i64_e32 vcc_lo, v[1:2], v[7:8]
	v_cndmask_b32_e64 v6, 0, 1, vcc_lo
	s_waitcnt lgkmcnt(6)
	v_cmp_gt_i64_e32 vcc_lo, v[1:2], v[9:10]
	v_cndmask_b32_e64 v7, 0, 1, vcc_lo
	v_cmp_gt_i64_e32 vcc_lo, v[1:2], v[11:12]
	v_cndmask_b32_e64 v8, 0, 1, vcc_lo
	;; [unrolled: 5-line block ×4, first 2 shown]
	s_waitcnt lgkmcnt(3)
	v_cmp_gt_i64_e32 vcc_lo, v[1:2], v[21:22]
	v_cndmask_b32_e64 v13, 0, 1, vcc_lo
	v_add_co_u32 v3, vcc_lo, v3, v5
	v_add_co_ci_u32_e32 v4, vcc_lo, 0, v4, vcc_lo
	v_cmp_gt_i64_e32 vcc_lo, v[1:2], v[23:24]
	s_delay_alu instid0(VALU_DEP_3) | instskip(NEXT) | instid1(VALU_DEP_1)
	v_add_co_u32 v3, s0, v3, v6
	v_add_co_ci_u32_e64 v4, s0, 0, v4, s0
	v_cndmask_b32_e64 v5, 0, 1, vcc_lo
	s_delay_alu instid0(VALU_DEP_3) | instskip(NEXT) | instid1(VALU_DEP_3)
	v_add_co_u32 v3, vcc_lo, v3, v7
	v_add_co_ci_u32_e32 v4, vcc_lo, 0, v4, vcc_lo
	s_waitcnt lgkmcnt(2)
	v_cmp_gt_i64_e32 vcc_lo, v[1:2], v[25:26]
	s_delay_alu instid0(VALU_DEP_3) | instskip(NEXT) | instid1(VALU_DEP_1)
	v_add_co_u32 v3, s0, v3, v8
	v_add_co_ci_u32_e64 v4, s0, 0, v4, s0
	v_cndmask_b32_e64 v6, 0, 1, vcc_lo
	s_delay_alu instid0(VALU_DEP_3) | instskip(NEXT) | instid1(VALU_DEP_3)
	v_add_co_u32 v3, vcc_lo, v3, v9
	v_add_co_ci_u32_e32 v4, vcc_lo, 0, v4, vcc_lo
	v_cmp_gt_i64_e32 vcc_lo, v[1:2], v[27:28]
	s_delay_alu instid0(VALU_DEP_3) | instskip(NEXT) | instid1(VALU_DEP_1)
	v_add_co_u32 v3, s0, v3, v10
	v_add_co_ci_u32_e64 v4, s0, 0, v4, s0
	v_cndmask_b32_e64 v7, 0, 1, vcc_lo
	s_delay_alu instid0(VALU_DEP_3) | instskip(NEXT) | instid1(VALU_DEP_3)
	v_add_co_u32 v3, vcc_lo, v3, v11
	v_add_co_ci_u32_e32 v4, vcc_lo, 0, v4, vcc_lo
	s_waitcnt lgkmcnt(1)
	v_cmp_gt_i64_e32 vcc_lo, v[1:2], v[29:30]
	s_delay_alu instid0(VALU_DEP_3) | instskip(NEXT) | instid1(VALU_DEP_1)
	v_add_co_u32 v3, s0, v3, v12
	v_add_co_ci_u32_e64 v4, s0, 0, v4, s0
	v_cndmask_b32_e64 v8, 0, 1, vcc_lo
	s_delay_alu instid0(VALU_DEP_3) | instskip(NEXT) | instid1(VALU_DEP_3)
	;; [unrolled: 17-line block ×3, first 2 shown]
	v_add_co_u32 v3, vcc_lo, v3, v8
	v_add_co_ci_u32_e32 v4, vcc_lo, 0, v4, vcc_lo
	v_cmp_gt_i64_e32 vcc_lo, v[1:2], v[35:36]
	s_delay_alu instid0(VALU_DEP_3) | instskip(NEXT) | instid1(VALU_DEP_1)
	v_add_co_u32 v3, s0, v3, v5
	v_add_co_ci_u32_e64 v4, s0, 0, v4, s0
	v_cndmask_b32_e64 v5, 0, 1, vcc_lo
	s_delay_alu instid0(VALU_DEP_3) | instskip(NEXT) | instid1(VALU_DEP_3)
	v_add_co_u32 v3, vcc_lo, v3, v6
	v_add_co_ci_u32_e32 v4, vcc_lo, 0, v4, vcc_lo
	s_delay_alu instid0(VALU_DEP_2) | instskip(NEXT) | instid1(VALU_DEP_2)
	v_add_co_u32 v3, vcc_lo, v3, v5
	v_add_co_ci_u32_e32 v4, vcc_lo, 0, v4, vcc_lo
	s_cbranch_scc1 .LBB151_189
; %bb.190:
	v_lshlrev_b32_e32 v5, 2, v0
	s_cmp_eq_u32 s3, 0
	v_lshlrev_b32_e32 v0, 6, v0
	s_cselect_b32 s0, 1, 2
	s_cselect_b32 s1, 2, 1
	v_or_b32_e32 v6, s0, v5
	v_or_b32_e32 v5, s1, v5
	v_add_nc_u32_e32 v7, 0, v0
	v_add3_u32 v0, 0, 0x400, v0
	v_lshlrev_b64 v[21:22], 3, v[3:4]
	v_lshl_add_u32 v13, v6, 4, 0
	v_lshl_add_u32 v17, v5, 4, 0
	ds_load_2addr_b64 v[5:8], v7 offset0:128 offset1:129
	ds_load_2addr_b64 v[9:12], v0 offset0:6 offset1:7
	;; [unrolled: 1-line block ×4, first 2 shown]
	v_add_co_u32 v0, vcc_lo, v1, s22
	v_add_co_ci_u32_e32 v1, vcc_lo, 0, v2, vcc_lo
	v_lshlrev_b64 v[2:3], 6, v[3:4]
	v_add_co_u32 v21, vcc_lo, s24, v21
	v_add_co_ci_u32_e32 v22, vcc_lo, s25, v22, vcc_lo
	s_delay_alu instid0(VALU_DEP_3) | instskip(NEXT) | instid1(VALU_DEP_4)
	v_add_co_u32 v2, vcc_lo, s26, v2
	v_add_co_ci_u32_e32 v3, vcc_lo, s27, v3, vcc_lo
	global_store_b64 v[21:22], v[0:1], off
	s_waitcnt lgkmcnt(3)
	global_store_b128 v[2:3], v[5:8], off
	s_waitcnt lgkmcnt(1)
	global_store_b128 v[2:3], v[13:16], off offset:16
	s_waitcnt lgkmcnt(0)
	s_clause 0x1
	global_store_b128 v[2:3], v[17:20], off offset:32
	global_store_b128 v[2:3], v[9:12], off offset:48
.LBB151_191:
	s_nop 0
	s_sendmsg sendmsg(MSG_DEALLOC_VGPRS)
	s_endpgm
	.section	.rodata,"a",@progbits
	.p2align	6, 0x0
	.amdhsa_kernel _ZN9rocsparseL30bsrgemm_fill_block_per_row_2x2ILj256ELj16ELj128ELj137Ell21rocsparse_complex_numIdEEEv20rocsparse_direction_T4_S4_PKS4_S6_NS_24const_host_device_scalarIT5_EEPKT3_S6_PKS8_SC_S6_SE_S9_SC_S6_SE_SC_PS4_PS8_21rocsparse_index_base_SH_SH_SH_bbb
		.amdhsa_group_segment_fixed_size 0
		.amdhsa_private_segment_fixed_size 24
		.amdhsa_kernarg_size 188
		.amdhsa_user_sgpr_count 15
		.amdhsa_user_sgpr_dispatch_ptr 0
		.amdhsa_user_sgpr_queue_ptr 0
		.amdhsa_user_sgpr_kernarg_segment_ptr 1
		.amdhsa_user_sgpr_dispatch_id 0
		.amdhsa_user_sgpr_private_segment_size 0
		.amdhsa_wavefront_size32 1
		.amdhsa_uses_dynamic_stack 0
		.amdhsa_enable_private_segment 1
		.amdhsa_system_sgpr_workgroup_id_x 1
		.amdhsa_system_sgpr_workgroup_id_y 0
		.amdhsa_system_sgpr_workgroup_id_z 0
		.amdhsa_system_sgpr_workgroup_info 0
		.amdhsa_system_vgpr_workitem_id 0
		.amdhsa_next_free_vgpr 63
		.amdhsa_next_free_sgpr 48
		.amdhsa_reserve_vcc 1
		.amdhsa_float_round_mode_32 0
		.amdhsa_float_round_mode_16_64 0
		.amdhsa_float_denorm_mode_32 3
		.amdhsa_float_denorm_mode_16_64 3
		.amdhsa_dx10_clamp 1
		.amdhsa_ieee_mode 1
		.amdhsa_fp16_overflow 0
		.amdhsa_workgroup_processor_mode 1
		.amdhsa_memory_ordered 1
		.amdhsa_forward_progress 0
		.amdhsa_shared_vgpr_count 0
		.amdhsa_exception_fp_ieee_invalid_op 0
		.amdhsa_exception_fp_denorm_src 0
		.amdhsa_exception_fp_ieee_div_zero 0
		.amdhsa_exception_fp_ieee_overflow 0
		.amdhsa_exception_fp_ieee_underflow 0
		.amdhsa_exception_fp_ieee_inexact 0
		.amdhsa_exception_int_div_zero 0
	.end_amdhsa_kernel
	.section	.text._ZN9rocsparseL30bsrgemm_fill_block_per_row_2x2ILj256ELj16ELj128ELj137Ell21rocsparse_complex_numIdEEEv20rocsparse_direction_T4_S4_PKS4_S6_NS_24const_host_device_scalarIT5_EEPKT3_S6_PKS8_SC_S6_SE_S9_SC_S6_SE_SC_PS4_PS8_21rocsparse_index_base_SH_SH_SH_bbb,"axG",@progbits,_ZN9rocsparseL30bsrgemm_fill_block_per_row_2x2ILj256ELj16ELj128ELj137Ell21rocsparse_complex_numIdEEEv20rocsparse_direction_T4_S4_PKS4_S6_NS_24const_host_device_scalarIT5_EEPKT3_S6_PKS8_SC_S6_SE_S9_SC_S6_SE_SC_PS4_PS8_21rocsparse_index_base_SH_SH_SH_bbb,comdat
.Lfunc_end151:
	.size	_ZN9rocsparseL30bsrgemm_fill_block_per_row_2x2ILj256ELj16ELj128ELj137Ell21rocsparse_complex_numIdEEEv20rocsparse_direction_T4_S4_PKS4_S6_NS_24const_host_device_scalarIT5_EEPKT3_S6_PKS8_SC_S6_SE_S9_SC_S6_SE_SC_PS4_PS8_21rocsparse_index_base_SH_SH_SH_bbb, .Lfunc_end151-_ZN9rocsparseL30bsrgemm_fill_block_per_row_2x2ILj256ELj16ELj128ELj137Ell21rocsparse_complex_numIdEEEv20rocsparse_direction_T4_S4_PKS4_S6_NS_24const_host_device_scalarIT5_EEPKT3_S6_PKS8_SC_S6_SE_S9_SC_S6_SE_SC_PS4_PS8_21rocsparse_index_base_SH_SH_SH_bbb
                                        ; -- End function
	.section	.AMDGPU.csdata,"",@progbits
; Kernel info:
; codeLenInByte = 7584
; NumSgprs: 50
; NumVgprs: 63
; ScratchSize: 24
; MemoryBound: 0
; FloatMode: 240
; IeeeMode: 1
; LDSByteSize: 0 bytes/workgroup (compile time only)
; SGPRBlocks: 6
; VGPRBlocks: 7
; NumSGPRsForWavesPerEU: 50
; NumVGPRsForWavesPerEU: 63
; Occupancy: 16
; WaveLimiterHint : 1
; COMPUTE_PGM_RSRC2:SCRATCH_EN: 1
; COMPUTE_PGM_RSRC2:USER_SGPR: 15
; COMPUTE_PGM_RSRC2:TRAP_HANDLER: 0
; COMPUTE_PGM_RSRC2:TGID_X_EN: 1
; COMPUTE_PGM_RSRC2:TGID_Y_EN: 0
; COMPUTE_PGM_RSRC2:TGID_Z_EN: 0
; COMPUTE_PGM_RSRC2:TIDIG_COMP_CNT: 0
	.section	.text._ZN9rocsparseL30bsrgemm_fill_block_per_row_2x2ILj256ELj16ELj256ELj137Ell21rocsparse_complex_numIdEEEv20rocsparse_direction_T4_S4_PKS4_S6_NS_24const_host_device_scalarIT5_EEPKT3_S6_PKS8_SC_S6_SE_S9_SC_S6_SE_SC_PS4_PS8_21rocsparse_index_base_SH_SH_SH_bbb,"axG",@progbits,_ZN9rocsparseL30bsrgemm_fill_block_per_row_2x2ILj256ELj16ELj256ELj137Ell21rocsparse_complex_numIdEEEv20rocsparse_direction_T4_S4_PKS4_S6_NS_24const_host_device_scalarIT5_EEPKT3_S6_PKS8_SC_S6_SE_S9_SC_S6_SE_SC_PS4_PS8_21rocsparse_index_base_SH_SH_SH_bbb,comdat
	.globl	_ZN9rocsparseL30bsrgemm_fill_block_per_row_2x2ILj256ELj16ELj256ELj137Ell21rocsparse_complex_numIdEEEv20rocsparse_direction_T4_S4_PKS4_S6_NS_24const_host_device_scalarIT5_EEPKT3_S6_PKS8_SC_S6_SE_S9_SC_S6_SE_SC_PS4_PS8_21rocsparse_index_base_SH_SH_SH_bbb ; -- Begin function _ZN9rocsparseL30bsrgemm_fill_block_per_row_2x2ILj256ELj16ELj256ELj137Ell21rocsparse_complex_numIdEEEv20rocsparse_direction_T4_S4_PKS4_S6_NS_24const_host_device_scalarIT5_EEPKT3_S6_PKS8_SC_S6_SE_S9_SC_S6_SE_SC_PS4_PS8_21rocsparse_index_base_SH_SH_SH_bbb
	.p2align	8
	.type	_ZN9rocsparseL30bsrgemm_fill_block_per_row_2x2ILj256ELj16ELj256ELj137Ell21rocsparse_complex_numIdEEEv20rocsparse_direction_T4_S4_PKS4_S6_NS_24const_host_device_scalarIT5_EEPKT3_S6_PKS8_SC_S6_SE_S9_SC_S6_SE_SC_PS4_PS8_21rocsparse_index_base_SH_SH_SH_bbb,@function
_ZN9rocsparseL30bsrgemm_fill_block_per_row_2x2ILj256ELj16ELj256ELj137Ell21rocsparse_complex_numIdEEEv20rocsparse_direction_T4_S4_PKS4_S6_NS_24const_host_device_scalarIT5_EEPKT3_S6_PKS8_SC_S6_SE_S9_SC_S6_SE_SC_PS4_PS8_21rocsparse_index_base_SH_SH_SH_bbb: ; @_ZN9rocsparseL30bsrgemm_fill_block_per_row_2x2ILj256ELj16ELj256ELj137Ell21rocsparse_complex_numIdEEEv20rocsparse_direction_T4_S4_PKS4_S6_NS_24const_host_device_scalarIT5_EEPKT3_S6_PKS8_SC_S6_SE_S9_SC_S6_SE_SC_PS4_PS8_21rocsparse_index_base_SH_SH_SH_bbb
; %bb.0:
	s_clause 0x2
	s_load_b32 s12, s[0:1], 0xb8
	s_load_b128 s[8:11], s[0:1], 0x28
	s_load_b128 s[4:7], s[0:1], 0x68
	v_mov_b32_e32 v17, 0
	v_mov_b32_e32 v18, 0
	s_mov_b32 s34, s15
	s_waitcnt lgkmcnt(0)
	s_bitcmp1_b32 s12, 0
	v_mov_b32_e32 v1, s8
	s_cselect_b32 s44, -1, 0
	s_bitcmp1_b32 s12, 16
	v_dual_mov_b32 v22, v18 :: v_dual_mov_b32 v21, v17
	s_cselect_b32 s2, -1, 0
	v_mov_b32_e32 v2, s9
	s_xor_b32 s3, s2, -1
	v_dual_mov_b32 v24, v18 :: v_dual_mov_b32 v23, v17
	v_cndmask_b32_e64 v5, 0, 1, s3
	v_dual_mov_b32 v3, s4 :: v_dual_mov_b32 v4, s5
	s_bitcmp0_b32 s12, 0
	s_clause 0x1
	scratch_store_b64 off, v[1:2], off
	scratch_store_b64 off, v[3:4], off offset:8
	v_cmp_ne_u32_e32 vcc_lo, 1, v5
	s_cbranch_scc1 .LBB152_3
; %bb.1:
	s_mov_b64 s[14:15], src_private_base
	s_and_b32 s13, s2, exec_lo
	s_cselect_b32 s13, s15, s9
	s_delay_alu instid0(SALU_CYCLE_1) | instskip(SKIP_2) | instid1(VALU_DEP_2)
	v_dual_mov_b32 v1, 0 :: v_dual_mov_b32 v2, s13
	v_dual_mov_b32 v24, s11 :: v_dual_mov_b32 v23, s10
	s_and_b32 vcc_lo, exec_lo, vcc_lo
	v_cndmask_b32_e64 v1, s8, v1, s2
	flat_load_b64 v[21:22], v[1:2]
	s_cbranch_vccnz .LBB152_3
; %bb.2:
	v_dual_mov_b32 v1, s8 :: v_dual_mov_b32 v2, s9
	flat_load_b64 v[23:24], v[1:2] offset:8
.LBB152_3:
	s_load_b128 s[20:23], s[0:1], 0xa8
	s_bitcmp1_b32 s12, 8
	v_dual_mov_b32 v20, v18 :: v_dual_mov_b32 v19, v17
	s_cselect_b32 s33, -1, 0
	s_bfe_u32 s8, s12, 0x10008
	s_delay_alu instid0(SALU_CYCLE_1)
	s_cmp_eq_u32 s8, 0
	s_cbranch_scc1 .LBB152_6
; %bb.4:
	s_mov_b64 s[8:9], src_private_base
	s_and_b32 s8, s2, exec_lo
	s_cselect_b32 s8, s9, s5
	s_delay_alu instid0(SALU_CYCLE_1) | instskip(SKIP_2) | instid1(VALU_DEP_2)
	v_dual_mov_b32 v1, 8 :: v_dual_mov_b32 v2, s8
	v_dual_mov_b32 v18, s7 :: v_dual_mov_b32 v17, s6
	s_and_not1_b32 vcc_lo, exec_lo, s3
	v_cndmask_b32_e64 v1, s4, v1, s2
	flat_load_b64 v[19:20], v[1:2]
	s_cbranch_vccnz .LBB152_6
; %bb.5:
	v_dual_mov_b32 v1, s4 :: v_dual_mov_b32 v2, s5
	flat_load_b64 v[17:18], v[1:2] offset:8
.LBB152_6:
	s_clause 0x5
	s_load_b128 s[24:27], s[0:1], 0x98
	s_load_b256 s[4:11], s[0:1], 0x78
	s_load_b128 s[36:39], s[0:1], 0x58
	s_load_b128 s[28:31], s[0:1], 0x10
	s_load_b64 s[40:41], s[0:1], 0x20
	s_load_b256 s[12:19], s[0:1], 0x38
	v_cmp_gt_u32_e64 s2, 0x100, v0
	v_lshl_add_u32 v57, v0, 3, 0
	s_delay_alu instid0(VALU_DEP_2)
	s_and_saveexec_b32 s3, s2
	s_cbranch_execz .LBB152_8
; %bb.7:
	s_waitcnt lgkmcnt(0)
	v_dual_mov_b32 v1, s28 :: v_dual_mov_b32 v2, s29
	ds_store_b64 v57, v[1:2]
.LBB152_8:
	s_or_b32 exec_lo, exec_lo, s3
	s_mov_b32 s42, 0
	v_or_b32_e32 v5, 0xffffff00, v0
	s_mov_b32 s43, s42
	v_lshlrev_b32_e32 v1, 4, v0
	s_mov_b32 s46, s42
	s_mov_b32 s47, s42
	s_delay_alu instid0(SALU_CYCLE_1) | instskip(NEXT) | instid1(VALU_DEP_2)
	v_dual_mov_b32 v3, s46 :: v_dual_mov_b32 v4, s47
	v_add3_u32 v6, v1, 0, 0x800
	v_dual_mov_b32 v1, s42 :: v_dual_mov_b32 v2, s43
.LBB152_9:                              ; =>This Inner Loop Header: Depth=1
	v_add_nc_u32_e32 v5, 0x100, v5
	ds_store_2addr_b64 v6, v[1:2], v[3:4] offset1:1
	v_add_nc_u32_e32 v6, 0x1000, v6
	v_cmp_lt_u32_e32 vcc_lo, 0x2ff, v5
	s_or_b32 s42, vcc_lo, s42
	s_delay_alu instid0(SALU_CYCLE_1)
	s_and_not1_b32 exec_lo, exec_lo, s42
	s_cbranch_execnz .LBB152_9
; %bb.10:
	s_or_b32 exec_lo, exec_lo, s42
	s_waitcnt lgkmcnt(0)
	s_cmp_lg_u64 s[40:41], 0
	s_mov_b32 s35, 0
	s_waitcnt vmcnt(0)
	s_waitcnt_vscnt null, 0x0
	s_barrier
	buffer_gl0_inv
	s_cbranch_scc0 .LBB152_12
; %bb.11:
	s_load_b64 s[30:31], s[30:31], 0x0
	s_waitcnt lgkmcnt(0)
	s_lshl_b64 s[30:31], s[30:31], 3
	s_delay_alu instid0(SALU_CYCLE_1) | instskip(SKIP_2) | instid1(SALU_CYCLE_1)
	s_add_u32 s3, s40, s30
	s_addc_u32 s40, s41, s31
	s_lshl_b64 s[30:31], s[34:35], 3
	s_add_u32 s30, s3, s30
	s_addc_u32 s31, s40, s31
	s_load_b64 s[34:35], s[30:31], 0x0
.LBB152_12:
	s_load_b32 s3, s[0:1], 0x0
	s_and_not1_b32 vcc_lo, exec_lo, s44
	s_cbranch_vccnz .LBB152_100
; %bb.13:
	s_waitcnt lgkmcnt(0)
	s_lshl_b64 s[0:1], s[34:35], 3
	v_lshrrev_b32_e32 v1, 4, v0
	s_add_u32 s0, s12, s0
	s_addc_u32 s1, s13, s1
	s_mov_b32 s13, 0
	s_load_b128 s[40:43], s[0:1], 0x0
	v_sub_co_u32 v1, s0, v1, s20
	s_delay_alu instid0(VALU_DEP_1) | instskip(SKIP_2) | instid1(VALU_DEP_2)
	v_sub_co_ci_u32_e64 v2, null, 0, 0, s0
	s_mov_b32 s12, exec_lo
	s_waitcnt lgkmcnt(0)
	v_add_co_u32 v25, vcc_lo, s40, v1
	s_delay_alu instid0(VALU_DEP_2)
	v_add_co_ci_u32_e32 v26, vcc_lo, s41, v2, vcc_lo
	s_sub_u32 s0, s42, s20
	s_subb_u32 s1, s43, 0
	s_delay_alu instid0(VALU_DEP_1) | instid1(SALU_CYCLE_1)
	v_cmpx_gt_i64_e64 s[0:1], v[25:26]
	s_cbranch_execz .LBB152_99
; %bb.14:
	v_and_b32_e32 v1, 15, v0
	s_cmp_eq_u32 s3, 0
	s_cselect_b32 s31, 2, 1
	s_delay_alu instid0(VALU_DEP_1) | instskip(NEXT) | instid1(VALU_DEP_1)
	v_sub_co_u32 v58, s30, v1, s21
	v_sub_co_ci_u32_e64 v59, null, 0, 0, s30
	s_cselect_b32 s30, 1, 2
	s_branch .LBB152_16
.LBB152_15:                             ;   in Loop: Header=BB152_16 Depth=1
	s_or_b32 exec_lo, exec_lo, s40
	v_add_co_u32 v25, vcc_lo, v25, 16
	v_add_co_ci_u32_e32 v26, vcc_lo, 0, v26, vcc_lo
	s_delay_alu instid0(VALU_DEP_1) | instskip(SKIP_1) | instid1(SALU_CYCLE_1)
	v_cmp_le_i64_e32 vcc_lo, s[0:1], v[25:26]
	s_or_b32 s13, vcc_lo, s13
	s_and_not1_b32 exec_lo, exec_lo, s13
	s_cbranch_execz .LBB152_99
.LBB152_16:                             ; =>This Loop Header: Depth=1
                                        ;     Child Loop BB152_19 Depth 2
                                        ;       Child Loop BB152_21 Depth 3
                                        ;         Child Loop BB152_27 Depth 4
                                        ;         Child Loop BB152_29 Depth 4
                                        ;         Child Loop BB152_35 Depth 4
                                        ;         Child Loop BB152_37 Depth 4
                                        ;       Child Loop BB152_41 Depth 3
                                        ;         Child Loop BB152_47 Depth 4
                                        ;         Child Loop BB152_49 Depth 4
                                        ;         Child Loop BB152_55 Depth 4
                                        ;         Child Loop BB152_57 Depth 4
	;; [unrolled: 5-line block ×4, first 2 shown]
	v_lshlrev_b64 v[1:2], 3, v[25:26]
	s_mov_b32 s40, exec_lo
	s_delay_alu instid0(VALU_DEP_1) | instskip(NEXT) | instid1(VALU_DEP_2)
	v_add_co_u32 v1, vcc_lo, s14, v1
	v_add_co_ci_u32_e32 v2, vcc_lo, s15, v2, vcc_lo
	global_load_b64 v[1:2], v[1:2], off
	s_waitcnt vmcnt(0)
	v_sub_co_u32 v1, vcc_lo, v1, s20
	v_subrev_co_ci_u32_e32 v2, vcc_lo, 0, v2, vcc_lo
	s_delay_alu instid0(VALU_DEP_1) | instskip(NEXT) | instid1(VALU_DEP_1)
	v_lshlrev_b64 v[1:2], 3, v[1:2]
	v_add_co_u32 v1, vcc_lo, s18, v1
	s_delay_alu instid0(VALU_DEP_2)
	v_add_co_ci_u32_e32 v2, vcc_lo, s19, v2, vcc_lo
	global_load_b128 v[1:4], v[1:2], off
	s_waitcnt vmcnt(0)
	v_sub_co_u32 v27, vcc_lo, v3, s21
	v_subrev_co_ci_u32_e32 v28, vcc_lo, 0, v4, vcc_lo
	v_add_co_u32 v29, vcc_lo, v1, v58
	v_add_co_ci_u32_e32 v30, vcc_lo, v2, v59, vcc_lo
	s_delay_alu instid0(VALU_DEP_1)
	v_cmpx_lt_i64_e64 v[29:30], v[27:28]
	s_cbranch_execz .LBB152_15
; %bb.17:                               ;   in Loop: Header=BB152_16 Depth=1
	v_lshlrev_b64 v[1:2], 2, v[25:26]
	v_lshlrev_b64 v[3:4], 6, v[25:26]
	s_mov_b32 s41, 0
	s_delay_alu instid0(VALU_DEP_2) | instskip(NEXT) | instid1(VALU_DEP_3)
	v_or_b32_e32 v6, 0, v2
	v_or_b32_e32 v5, s30, v1
	;; [unrolled: 1-line block ×4, first 2 shown]
	v_add_co_u32 v7, vcc_lo, s16, v3
	s_delay_alu instid0(VALU_DEP_4) | instskip(SKIP_1) | instid1(VALU_DEP_4)
	v_lshlrev_b64 v[5:6], 4, v[5:6]
	v_add_co_ci_u32_e32 v8, vcc_lo, s17, v4, vcc_lo
	v_lshlrev_b64 v[9:10], 4, v[9:10]
	global_load_b128 v[1:4], v[7:8], off
	v_add_co_u32 v11, vcc_lo, s16, v5
	v_add_co_ci_u32_e32 v12, vcc_lo, s17, v6, vcc_lo
	v_add_co_u32 v13, vcc_lo, s16, v9
	v_add_co_ci_u32_e32 v14, vcc_lo, s17, v10, vcc_lo
	s_clause 0x2
	global_load_b128 v[5:8], v[7:8], off offset:48
	global_load_b128 v[9:12], v[11:12], off
	global_load_b128 v[13:16], v[13:14], off
	s_waitcnt vmcnt(3)
	v_mul_f64 v[31:32], v[3:4], -v[23:24]
	v_mul_f64 v[3:4], v[21:22], v[3:4]
	s_waitcnt vmcnt(2)
	v_mul_f64 v[35:36], v[7:8], -v[23:24]
	v_mul_f64 v[7:8], v[21:22], v[7:8]
	;; [unrolled: 3-line block ×4, first 2 shown]
	v_fma_f64 v[31:32], v[21:22], v[1:2], v[31:32]
	v_fma_f64 v[33:34], v[23:24], v[1:2], v[3:4]
	;; [unrolled: 1-line block ×8, first 2 shown]
	s_branch .LBB152_19
.LBB152_18:                             ;   in Loop: Header=BB152_19 Depth=2
	s_or_b32 exec_lo, exec_lo, s42
	v_add_co_u32 v29, vcc_lo, v29, 16
	v_add_co_ci_u32_e32 v30, vcc_lo, 0, v30, vcc_lo
	s_delay_alu instid0(VALU_DEP_1) | instskip(SKIP_1) | instid1(SALU_CYCLE_1)
	v_cmp_ge_i64_e32 vcc_lo, v[29:30], v[27:28]
	s_or_b32 s41, vcc_lo, s41
	s_and_not1_b32 exec_lo, exec_lo, s41
	s_cbranch_execz .LBB152_15
.LBB152_19:                             ;   Parent Loop BB152_16 Depth=1
                                        ; =>  This Loop Header: Depth=2
                                        ;       Child Loop BB152_21 Depth 3
                                        ;         Child Loop BB152_27 Depth 4
                                        ;         Child Loop BB152_29 Depth 4
                                        ;         Child Loop BB152_35 Depth 4
                                        ;         Child Loop BB152_37 Depth 4
                                        ;       Child Loop BB152_41 Depth 3
                                        ;         Child Loop BB152_47 Depth 4
                                        ;         Child Loop BB152_49 Depth 4
                                        ;         Child Loop BB152_55 Depth 4
                                        ;         Child Loop BB152_57 Depth 4
	;; [unrolled: 5-line block ×4, first 2 shown]
	v_lshlrev_b64 v[1:2], 2, v[29:30]
	s_mov_b32 s42, 0
	s_delay_alu instid0(VALU_DEP_1) | instskip(NEXT) | instid1(VALU_DEP_2)
	v_or_b32_e32 v4, 0, v2
	v_or_b32_e32 v3, s31, v1
	v_or_b32_e32 v2, 0, v2
	v_or_b32_e32 v1, s30, v1
	s_delay_alu instid0(VALU_DEP_3) | instskip(NEXT) | instid1(VALU_DEP_2)
	v_lshlrev_b64 v[3:4], 4, v[3:4]
	v_lshlrev_b64 v[1:2], 4, v[1:2]
	s_delay_alu instid0(VALU_DEP_2) | instskip(NEXT) | instid1(VALU_DEP_3)
	v_add_co_u32 v3, vcc_lo, s38, v3
	v_add_co_ci_u32_e32 v4, vcc_lo, s39, v4, vcc_lo
	global_load_b128 v[13:16], v[3:4], off
	v_lshlrev_b64 v[3:4], 6, v[29:30]
	s_delay_alu instid0(VALU_DEP_1) | instskip(NEXT) | instid1(VALU_DEP_2)
	v_add_co_u32 v5, vcc_lo, s38, v3
	v_add_co_ci_u32_e32 v6, vcc_lo, s39, v4, vcc_lo
	v_lshlrev_b64 v[3:4], 3, v[29:30]
	global_load_b128 v[9:12], v[5:6], off
	v_add_co_u32 v3, vcc_lo, s36, v3
	v_add_co_ci_u32_e32 v4, vcc_lo, s37, v4, vcc_lo
	v_add_co_u32 v1, vcc_lo, s38, v1
	v_add_co_ci_u32_e32 v2, vcc_lo, s39, v2, vcc_lo
	global_load_b64 v[47:48], v[3:4], off
	s_clause 0x1
	global_load_b128 v[1:4], v[1:2], off
	global_load_b128 v[5:8], v[5:6], off offset:48
	s_waitcnt vmcnt(4)
	v_mul_f64 v[49:50], v[15:16], -v[41:42]
	v_mul_f64 v[51:52], v[39:40], v[15:16]
	s_waitcnt vmcnt(2)
	v_sub_co_u32 v47, vcc_lo, v47, s21
	v_subrev_co_ci_u32_e32 v48, vcc_lo, 0, v48, vcc_lo
	s_delay_alu instid0(VALU_DEP_4) | instskip(NEXT) | instid1(VALU_DEP_4)
	v_fma_f64 v[49:50], v[39:40], v[13:14], v[49:50]
	v_fma_f64 v[51:52], v[41:42], v[13:14], v[51:52]
	s_delay_alu instid0(VALU_DEP_2) | instskip(NEXT) | instid1(VALU_DEP_2)
	v_fma_f64 v[49:50], v[31:32], v[9:10], v[49:50]
	v_fma_f64 v[52:53], v[33:34], v[9:10], v[51:52]
	s_delay_alu instid0(VALU_DEP_2) | instskip(NEXT) | instid1(VALU_DEP_2)
	v_fma_f64 v[50:51], -v[33:34], v[11:12], v[49:50]
	v_fma_f64 v[52:53], v[31:32], v[11:12], v[52:53]
	v_mul_lo_u32 v49, 0x89, v47
	s_delay_alu instid0(VALU_DEP_1) | instskip(NEXT) | instid1(VALU_DEP_1)
	v_and_b32_e32 v49, 0xff, v49
	v_dual_mov_b32 v55, v50 :: v_dual_mov_b32 v54, v49
	s_branch .LBB152_21
.LBB152_20:                             ;   in Loop: Header=BB152_21 Depth=3
	s_or_b32 exec_lo, exec_lo, s43
	s_xor_b32 s43, s44, -1
	s_delay_alu instid0(SALU_CYCLE_1) | instskip(NEXT) | instid1(SALU_CYCLE_1)
	s_and_b32 s43, exec_lo, s43
	s_or_b32 s42, s43, s42
	s_delay_alu instid0(SALU_CYCLE_1)
	s_and_not1_b32 exec_lo, exec_lo, s42
	s_cbranch_execz .LBB152_39
.LBB152_21:                             ;   Parent Loop BB152_16 Depth=1
                                        ;     Parent Loop BB152_19 Depth=2
                                        ; =>    This Loop Header: Depth=3
                                        ;         Child Loop BB152_27 Depth 4
                                        ;         Child Loop BB152_29 Depth 4
	;; [unrolled: 1-line block ×4, first 2 shown]
	s_delay_alu instid0(VALU_DEP_1)
	v_lshl_add_u32 v60, v54, 3, 0
	s_mov_b32 s43, exec_lo
                                        ; implicit-def: $sgpr44
	ds_load_b64 v[55:56], v60
	s_waitcnt lgkmcnt(0)
	v_cmpx_ne_u64_e64 v[55:56], v[47:48]
	s_xor_b32 s43, exec_lo, s43
	s_cbranch_execz .LBB152_33
; %bb.22:                               ;   in Loop: Header=BB152_21 Depth=3
	s_mov_b32 s45, exec_lo
                                        ; implicit-def: $sgpr44
	v_cmpx_ne_u64_e64 s[28:29], v[55:56]
	s_xor_b32 s45, exec_lo, s45
; %bb.23:                               ;   in Loop: Header=BB152_21 Depth=3
	v_add_nc_u32_e32 v54, 1, v54
	s_mov_b32 s44, -1
                                        ; implicit-def: $vgpr60
	s_delay_alu instid0(VALU_DEP_1)
	v_and_b32_e32 v54, 0xff, v54
; %bb.24:                               ;   in Loop: Header=BB152_21 Depth=3
	s_and_not1_saveexec_b32 s45, s45
	s_cbranch_execz .LBB152_32
; %bb.25:                               ;   in Loop: Header=BB152_21 Depth=3
	v_dual_mov_b32 v56, s29 :: v_dual_mov_b32 v55, s28
	s_mov_b32 s47, -1
	s_mov_b32 s46, exec_lo
	ds_cmpstore_rtn_b64 v[55:56], v60, v[47:48], v[55:56]
	s_waitcnt lgkmcnt(0)
	v_cmpx_eq_u64_e64 s[28:29], v[55:56]
	s_cbranch_execz .LBB152_31
; %bb.26:                               ;   in Loop: Header=BB152_21 Depth=3
	v_mul_lo_u32 v55, v54, 56
	s_mov_b32 s47, 0
	s_delay_alu instid0(VALU_DEP_1)
	v_add_nc_u32_e32 v60, v60, v55
	ds_load_b64 v[55:56], v60 offset:2048
.LBB152_27:                             ;   Parent Loop BB152_16 Depth=1
                                        ;     Parent Loop BB152_19 Depth=2
                                        ;       Parent Loop BB152_21 Depth=3
                                        ; =>      This Inner Loop Header: Depth=4
	s_waitcnt lgkmcnt(0)
	v_add_f64 v[61:62], v[55:56], v[50:51]
	ds_cmpstore_rtn_b64 v[61:62], v60, v[61:62], v[55:56] offset:2048
	s_waitcnt lgkmcnt(0)
	v_cmp_eq_u64_e32 vcc_lo, v[61:62], v[55:56]
	v_dual_mov_b32 v55, v61 :: v_dual_mov_b32 v56, v62
	s_or_b32 s47, vcc_lo, s47
	s_delay_alu instid0(SALU_CYCLE_1)
	s_and_not1_b32 exec_lo, exec_lo, s47
	s_cbranch_execnz .LBB152_27
; %bb.28:                               ;   in Loop: Header=BB152_21 Depth=3
	s_or_b32 exec_lo, exec_lo, s47
	ds_load_b64 v[55:56], v60 offset:2056
	s_mov_b32 s47, 0
.LBB152_29:                             ;   Parent Loop BB152_16 Depth=1
                                        ;     Parent Loop BB152_19 Depth=2
                                        ;       Parent Loop BB152_21 Depth=3
                                        ; =>      This Inner Loop Header: Depth=4
	s_waitcnt lgkmcnt(0)
	v_add_f64 v[61:62], v[55:56], v[52:53]
	ds_cmpstore_rtn_b64 v[61:62], v60, v[61:62], v[55:56] offset:2056
	s_waitcnt lgkmcnt(0)
	v_cmp_eq_u64_e32 vcc_lo, v[61:62], v[55:56]
	v_dual_mov_b32 v55, v61 :: v_dual_mov_b32 v56, v62
	s_or_b32 s47, vcc_lo, s47
	s_delay_alu instid0(SALU_CYCLE_1)
	s_and_not1_b32 exec_lo, exec_lo, s47
	s_cbranch_execnz .LBB152_29
; %bb.30:                               ;   in Loop: Header=BB152_21 Depth=3
	s_or_b32 exec_lo, exec_lo, s47
	s_delay_alu instid0(SALU_CYCLE_1)
	s_xor_b32 s47, exec_lo, -1
.LBB152_31:                             ;   in Loop: Header=BB152_21 Depth=3
	s_or_b32 exec_lo, exec_lo, s46
	s_delay_alu instid0(SALU_CYCLE_1) | instskip(SKIP_1) | instid1(SALU_CYCLE_1)
	s_and_not1_b32 s44, s44, exec_lo
	s_and_b32 s46, s47, exec_lo
	s_or_b32 s44, s44, s46
.LBB152_32:                             ;   in Loop: Header=BB152_21 Depth=3
	s_or_b32 exec_lo, exec_lo, s45
	s_delay_alu instid0(SALU_CYCLE_1)
	s_and_b32 s44, s44, exec_lo
                                        ; implicit-def: $vgpr60
.LBB152_33:                             ;   in Loop: Header=BB152_21 Depth=3
	s_and_not1_saveexec_b32 s43, s43
	s_cbranch_execz .LBB152_20
; %bb.34:                               ;   in Loop: Header=BB152_21 Depth=3
	v_mul_lo_u32 v55, v54, 56
	s_mov_b32 s45, 0
	s_delay_alu instid0(VALU_DEP_1)
	v_add_nc_u32_e32 v60, v60, v55
	ds_load_b64 v[55:56], v60 offset:2048
.LBB152_35:                             ;   Parent Loop BB152_16 Depth=1
                                        ;     Parent Loop BB152_19 Depth=2
                                        ;       Parent Loop BB152_21 Depth=3
                                        ; =>      This Inner Loop Header: Depth=4
	s_waitcnt lgkmcnt(0)
	v_add_f64 v[61:62], v[55:56], v[50:51]
	ds_cmpstore_rtn_b64 v[61:62], v60, v[61:62], v[55:56] offset:2048
	s_waitcnt lgkmcnt(0)
	v_cmp_eq_u64_e32 vcc_lo, v[61:62], v[55:56]
	v_dual_mov_b32 v55, v61 :: v_dual_mov_b32 v56, v62
	s_or_b32 s45, vcc_lo, s45
	s_delay_alu instid0(SALU_CYCLE_1)
	s_and_not1_b32 exec_lo, exec_lo, s45
	s_cbranch_execnz .LBB152_35
; %bb.36:                               ;   in Loop: Header=BB152_21 Depth=3
	s_or_b32 exec_lo, exec_lo, s45
	ds_load_b64 v[55:56], v60 offset:2056
	s_mov_b32 s45, 0
.LBB152_37:                             ;   Parent Loop BB152_16 Depth=1
                                        ;     Parent Loop BB152_19 Depth=2
                                        ;       Parent Loop BB152_21 Depth=3
                                        ; =>      This Inner Loop Header: Depth=4
	s_waitcnt lgkmcnt(0)
	v_add_f64 v[61:62], v[55:56], v[52:53]
	ds_cmpstore_rtn_b64 v[61:62], v60, v[61:62], v[55:56] offset:2056
	s_waitcnt lgkmcnt(0)
	v_cmp_eq_u64_e32 vcc_lo, v[61:62], v[55:56]
	v_dual_mov_b32 v55, v61 :: v_dual_mov_b32 v56, v62
	s_or_b32 s45, vcc_lo, s45
	s_delay_alu instid0(SALU_CYCLE_1)
	s_and_not1_b32 exec_lo, exec_lo, s45
	s_cbranch_execnz .LBB152_37
; %bb.38:                               ;   in Loop: Header=BB152_21 Depth=3
	s_or_b32 exec_lo, exec_lo, s45
	s_delay_alu instid0(SALU_CYCLE_1)
	s_and_not1_b32 s44, s44, exec_lo
	s_branch .LBB152_20
.LBB152_39:                             ;   in Loop: Header=BB152_19 Depth=2
	s_or_b32 exec_lo, exec_lo, s42
	s_waitcnt vmcnt(0)
	v_mul_f64 v[50:51], v[7:8], -v[41:42]
	v_mul_f64 v[52:53], v[39:40], v[7:8]
	s_mov_b32 s42, 0
	s_delay_alu instid0(VALU_DEP_2) | instskip(NEXT) | instid1(VALU_DEP_2)
	v_fma_f64 v[50:51], v[39:40], v[5:6], v[50:51]
	v_fma_f64 v[52:53], v[41:42], v[5:6], v[52:53]
	s_delay_alu instid0(VALU_DEP_2) | instskip(NEXT) | instid1(VALU_DEP_2)
	v_fma_f64 v[50:51], v[31:32], v[1:2], v[50:51]
	v_fma_f64 v[52:53], v[33:34], v[1:2], v[52:53]
	s_delay_alu instid0(VALU_DEP_2) | instskip(NEXT) | instid1(VALU_DEP_2)
	v_fma_f64 v[50:51], -v[33:34], v[3:4], v[50:51]
	v_fma_f64 v[52:53], v[31:32], v[3:4], v[52:53]
	s_delay_alu instid0(VALU_DEP_2)
	v_dual_mov_b32 v55, v50 :: v_dual_mov_b32 v54, v49
	s_branch .LBB152_41
.LBB152_40:                             ;   in Loop: Header=BB152_41 Depth=3
	s_or_b32 exec_lo, exec_lo, s43
	s_xor_b32 s43, s44, -1
	s_delay_alu instid0(SALU_CYCLE_1) | instskip(NEXT) | instid1(SALU_CYCLE_1)
	s_and_b32 s43, exec_lo, s43
	s_or_b32 s42, s43, s42
	s_delay_alu instid0(SALU_CYCLE_1)
	s_and_not1_b32 exec_lo, exec_lo, s42
	s_cbranch_execz .LBB152_59
.LBB152_41:                             ;   Parent Loop BB152_16 Depth=1
                                        ;     Parent Loop BB152_19 Depth=2
                                        ; =>    This Loop Header: Depth=3
                                        ;         Child Loop BB152_47 Depth 4
                                        ;         Child Loop BB152_49 Depth 4
	;; [unrolled: 1-line block ×4, first 2 shown]
	s_delay_alu instid0(VALU_DEP_1)
	v_lshl_add_u32 v60, v54, 3, 0
	s_mov_b32 s43, exec_lo
                                        ; implicit-def: $sgpr44
	ds_load_b64 v[55:56], v60
	s_waitcnt lgkmcnt(0)
	v_cmpx_ne_u64_e64 v[55:56], v[47:48]
	s_xor_b32 s43, exec_lo, s43
	s_cbranch_execz .LBB152_53
; %bb.42:                               ;   in Loop: Header=BB152_41 Depth=3
	s_mov_b32 s45, exec_lo
                                        ; implicit-def: $sgpr44
	v_cmpx_ne_u64_e64 s[28:29], v[55:56]
	s_xor_b32 s45, exec_lo, s45
; %bb.43:                               ;   in Loop: Header=BB152_41 Depth=3
	v_add_nc_u32_e32 v54, 1, v54
	s_mov_b32 s44, -1
                                        ; implicit-def: $vgpr60
	s_delay_alu instid0(VALU_DEP_1)
	v_and_b32_e32 v54, 0xff, v54
; %bb.44:                               ;   in Loop: Header=BB152_41 Depth=3
	s_and_not1_saveexec_b32 s45, s45
	s_cbranch_execz .LBB152_52
; %bb.45:                               ;   in Loop: Header=BB152_41 Depth=3
	v_dual_mov_b32 v56, s29 :: v_dual_mov_b32 v55, s28
	s_mov_b32 s47, -1
	s_mov_b32 s46, exec_lo
	ds_cmpstore_rtn_b64 v[55:56], v60, v[47:48], v[55:56]
	s_waitcnt lgkmcnt(0)
	v_cmpx_eq_u64_e64 s[28:29], v[55:56]
	s_cbranch_execz .LBB152_51
; %bb.46:                               ;   in Loop: Header=BB152_41 Depth=3
	v_mul_lo_u32 v55, v54, 56
	s_mov_b32 s47, 0
	s_delay_alu instid0(VALU_DEP_1)
	v_add_nc_u32_e32 v60, v60, v55
	ds_load_b64 v[55:56], v60 offset:2064
.LBB152_47:                             ;   Parent Loop BB152_16 Depth=1
                                        ;     Parent Loop BB152_19 Depth=2
                                        ;       Parent Loop BB152_41 Depth=3
                                        ; =>      This Inner Loop Header: Depth=4
	s_waitcnt lgkmcnt(0)
	v_add_f64 v[61:62], v[55:56], v[50:51]
	ds_cmpstore_rtn_b64 v[61:62], v60, v[61:62], v[55:56] offset:2064
	s_waitcnt lgkmcnt(0)
	v_cmp_eq_u64_e32 vcc_lo, v[61:62], v[55:56]
	v_dual_mov_b32 v55, v61 :: v_dual_mov_b32 v56, v62
	s_or_b32 s47, vcc_lo, s47
	s_delay_alu instid0(SALU_CYCLE_1)
	s_and_not1_b32 exec_lo, exec_lo, s47
	s_cbranch_execnz .LBB152_47
; %bb.48:                               ;   in Loop: Header=BB152_41 Depth=3
	s_or_b32 exec_lo, exec_lo, s47
	ds_load_b64 v[55:56], v60 offset:2072
	s_mov_b32 s47, 0
.LBB152_49:                             ;   Parent Loop BB152_16 Depth=1
                                        ;     Parent Loop BB152_19 Depth=2
                                        ;       Parent Loop BB152_41 Depth=3
                                        ; =>      This Inner Loop Header: Depth=4
	s_waitcnt lgkmcnt(0)
	v_add_f64 v[61:62], v[55:56], v[52:53]
	ds_cmpstore_rtn_b64 v[61:62], v60, v[61:62], v[55:56] offset:2072
	s_waitcnt lgkmcnt(0)
	v_cmp_eq_u64_e32 vcc_lo, v[61:62], v[55:56]
	v_dual_mov_b32 v55, v61 :: v_dual_mov_b32 v56, v62
	s_or_b32 s47, vcc_lo, s47
	s_delay_alu instid0(SALU_CYCLE_1)
	s_and_not1_b32 exec_lo, exec_lo, s47
	s_cbranch_execnz .LBB152_49
; %bb.50:                               ;   in Loop: Header=BB152_41 Depth=3
	s_or_b32 exec_lo, exec_lo, s47
	s_delay_alu instid0(SALU_CYCLE_1)
	s_xor_b32 s47, exec_lo, -1
.LBB152_51:                             ;   in Loop: Header=BB152_41 Depth=3
	s_or_b32 exec_lo, exec_lo, s46
	s_delay_alu instid0(SALU_CYCLE_1) | instskip(SKIP_1) | instid1(SALU_CYCLE_1)
	s_and_not1_b32 s44, s44, exec_lo
	s_and_b32 s46, s47, exec_lo
	s_or_b32 s44, s44, s46
.LBB152_52:                             ;   in Loop: Header=BB152_41 Depth=3
	s_or_b32 exec_lo, exec_lo, s45
	s_delay_alu instid0(SALU_CYCLE_1)
	s_and_b32 s44, s44, exec_lo
                                        ; implicit-def: $vgpr60
.LBB152_53:                             ;   in Loop: Header=BB152_41 Depth=3
	s_and_not1_saveexec_b32 s43, s43
	s_cbranch_execz .LBB152_40
; %bb.54:                               ;   in Loop: Header=BB152_41 Depth=3
	v_mul_lo_u32 v55, v54, 56
	s_mov_b32 s45, 0
	s_delay_alu instid0(VALU_DEP_1)
	v_add_nc_u32_e32 v60, v60, v55
	ds_load_b64 v[55:56], v60 offset:2064
.LBB152_55:                             ;   Parent Loop BB152_16 Depth=1
                                        ;     Parent Loop BB152_19 Depth=2
                                        ;       Parent Loop BB152_41 Depth=3
                                        ; =>      This Inner Loop Header: Depth=4
	s_waitcnt lgkmcnt(0)
	v_add_f64 v[61:62], v[55:56], v[50:51]
	ds_cmpstore_rtn_b64 v[61:62], v60, v[61:62], v[55:56] offset:2064
	s_waitcnt lgkmcnt(0)
	v_cmp_eq_u64_e32 vcc_lo, v[61:62], v[55:56]
	v_dual_mov_b32 v55, v61 :: v_dual_mov_b32 v56, v62
	s_or_b32 s45, vcc_lo, s45
	s_delay_alu instid0(SALU_CYCLE_1)
	s_and_not1_b32 exec_lo, exec_lo, s45
	s_cbranch_execnz .LBB152_55
; %bb.56:                               ;   in Loop: Header=BB152_41 Depth=3
	s_or_b32 exec_lo, exec_lo, s45
	ds_load_b64 v[55:56], v60 offset:2072
	s_mov_b32 s45, 0
.LBB152_57:                             ;   Parent Loop BB152_16 Depth=1
                                        ;     Parent Loop BB152_19 Depth=2
                                        ;       Parent Loop BB152_41 Depth=3
                                        ; =>      This Inner Loop Header: Depth=4
	s_waitcnt lgkmcnt(0)
	v_add_f64 v[61:62], v[55:56], v[52:53]
	ds_cmpstore_rtn_b64 v[61:62], v60, v[61:62], v[55:56] offset:2072
	s_waitcnt lgkmcnt(0)
	v_cmp_eq_u64_e32 vcc_lo, v[61:62], v[55:56]
	v_dual_mov_b32 v55, v61 :: v_dual_mov_b32 v56, v62
	s_or_b32 s45, vcc_lo, s45
	s_delay_alu instid0(SALU_CYCLE_1)
	s_and_not1_b32 exec_lo, exec_lo, s45
	s_cbranch_execnz .LBB152_57
; %bb.58:                               ;   in Loop: Header=BB152_41 Depth=3
	s_or_b32 exec_lo, exec_lo, s45
	s_delay_alu instid0(SALU_CYCLE_1)
	s_and_not1_b32 s44, s44, exec_lo
	s_branch .LBB152_40
.LBB152_59:                             ;   in Loop: Header=BB152_19 Depth=2
	s_or_b32 exec_lo, exec_lo, s42
	v_mul_f64 v[50:51], v[15:16], -v[37:38]
	v_mul_f64 v[15:16], v[35:36], v[15:16]
	s_mov_b32 s42, 0
	s_delay_alu instid0(VALU_DEP_2) | instskip(NEXT) | instid1(VALU_DEP_2)
	v_fma_f64 v[50:51], v[35:36], v[13:14], v[50:51]
	v_fma_f64 v[13:14], v[37:38], v[13:14], v[15:16]
	s_delay_alu instid0(VALU_DEP_2) | instskip(NEXT) | instid1(VALU_DEP_2)
	v_fma_f64 v[15:16], v[43:44], v[9:10], v[50:51]
	v_fma_f64 v[13:14], v[45:46], v[9:10], v[13:14]
	s_delay_alu instid0(VALU_DEP_2) | instskip(NEXT) | instid1(VALU_DEP_2)
	v_fma_f64 v[9:10], -v[45:46], v[11:12], v[15:16]
	v_fma_f64 v[11:12], v[43:44], v[11:12], v[13:14]
	v_dual_mov_b32 v13, v49 :: v_dual_mov_b32 v14, v50
	s_branch .LBB152_61
.LBB152_60:                             ;   in Loop: Header=BB152_61 Depth=3
	s_or_b32 exec_lo, exec_lo, s43
	s_xor_b32 s43, s44, -1
	s_delay_alu instid0(SALU_CYCLE_1) | instskip(NEXT) | instid1(SALU_CYCLE_1)
	s_and_b32 s43, exec_lo, s43
	s_or_b32 s42, s43, s42
	s_delay_alu instid0(SALU_CYCLE_1)
	s_and_not1_b32 exec_lo, exec_lo, s42
	s_cbranch_execz .LBB152_79
.LBB152_61:                             ;   Parent Loop BB152_16 Depth=1
                                        ;     Parent Loop BB152_19 Depth=2
                                        ; =>    This Loop Header: Depth=3
                                        ;         Child Loop BB152_67 Depth 4
                                        ;         Child Loop BB152_69 Depth 4
	;; [unrolled: 1-line block ×4, first 2 shown]
	s_delay_alu instid0(VALU_DEP_1)
	v_lshl_add_u32 v16, v13, 3, 0
	s_mov_b32 s43, exec_lo
                                        ; implicit-def: $sgpr44
	ds_load_b64 v[14:15], v16
	s_waitcnt lgkmcnt(0)
	v_cmpx_ne_u64_e64 v[14:15], v[47:48]
	s_xor_b32 s43, exec_lo, s43
	s_cbranch_execz .LBB152_73
; %bb.62:                               ;   in Loop: Header=BB152_61 Depth=3
	s_mov_b32 s45, exec_lo
                                        ; implicit-def: $sgpr44
	v_cmpx_ne_u64_e64 s[28:29], v[14:15]
	s_xor_b32 s45, exec_lo, s45
; %bb.63:                               ;   in Loop: Header=BB152_61 Depth=3
	v_add_nc_u32_e32 v13, 1, v13
	s_mov_b32 s44, -1
                                        ; implicit-def: $vgpr16
	s_delay_alu instid0(VALU_DEP_1)
	v_and_b32_e32 v13, 0xff, v13
; %bb.64:                               ;   in Loop: Header=BB152_61 Depth=3
	s_and_not1_saveexec_b32 s45, s45
	s_cbranch_execz .LBB152_72
; %bb.65:                               ;   in Loop: Header=BB152_61 Depth=3
	v_dual_mov_b32 v14, s28 :: v_dual_mov_b32 v15, s29
	s_mov_b32 s47, -1
	s_mov_b32 s46, exec_lo
	ds_cmpstore_rtn_b64 v[14:15], v16, v[47:48], v[14:15]
	s_waitcnt lgkmcnt(0)
	v_cmpx_eq_u64_e64 s[28:29], v[14:15]
	s_cbranch_execz .LBB152_71
; %bb.66:                               ;   in Loop: Header=BB152_61 Depth=3
	v_mul_lo_u32 v14, v13, 56
	s_mov_b32 s47, 0
	s_delay_alu instid0(VALU_DEP_1)
	v_add_nc_u32_e32 v16, v16, v14
	ds_load_b64 v[14:15], v16 offset:2080
.LBB152_67:                             ;   Parent Loop BB152_16 Depth=1
                                        ;     Parent Loop BB152_19 Depth=2
                                        ;       Parent Loop BB152_61 Depth=3
                                        ; =>      This Inner Loop Header: Depth=4
	s_waitcnt lgkmcnt(0)
	v_add_f64 v[50:51], v[14:15], v[9:10]
	ds_cmpstore_rtn_b64 v[50:51], v16, v[50:51], v[14:15] offset:2080
	s_waitcnt lgkmcnt(0)
	v_cmp_eq_u64_e32 vcc_lo, v[50:51], v[14:15]
	v_dual_mov_b32 v14, v50 :: v_dual_mov_b32 v15, v51
	s_or_b32 s47, vcc_lo, s47
	s_delay_alu instid0(SALU_CYCLE_1)
	s_and_not1_b32 exec_lo, exec_lo, s47
	s_cbranch_execnz .LBB152_67
; %bb.68:                               ;   in Loop: Header=BB152_61 Depth=3
	s_or_b32 exec_lo, exec_lo, s47
	ds_load_b64 v[14:15], v16 offset:2088
	s_mov_b32 s47, 0
.LBB152_69:                             ;   Parent Loop BB152_16 Depth=1
                                        ;     Parent Loop BB152_19 Depth=2
                                        ;       Parent Loop BB152_61 Depth=3
                                        ; =>      This Inner Loop Header: Depth=4
	s_waitcnt lgkmcnt(0)
	v_add_f64 v[50:51], v[14:15], v[11:12]
	ds_cmpstore_rtn_b64 v[50:51], v16, v[50:51], v[14:15] offset:2088
	s_waitcnt lgkmcnt(0)
	v_cmp_eq_u64_e32 vcc_lo, v[50:51], v[14:15]
	v_dual_mov_b32 v14, v50 :: v_dual_mov_b32 v15, v51
	s_or_b32 s47, vcc_lo, s47
	s_delay_alu instid0(SALU_CYCLE_1)
	s_and_not1_b32 exec_lo, exec_lo, s47
	s_cbranch_execnz .LBB152_69
; %bb.70:                               ;   in Loop: Header=BB152_61 Depth=3
	s_or_b32 exec_lo, exec_lo, s47
	s_delay_alu instid0(SALU_CYCLE_1)
	s_xor_b32 s47, exec_lo, -1
.LBB152_71:                             ;   in Loop: Header=BB152_61 Depth=3
	s_or_b32 exec_lo, exec_lo, s46
	s_delay_alu instid0(SALU_CYCLE_1) | instskip(SKIP_1) | instid1(SALU_CYCLE_1)
	s_and_not1_b32 s44, s44, exec_lo
	s_and_b32 s46, s47, exec_lo
	s_or_b32 s44, s44, s46
.LBB152_72:                             ;   in Loop: Header=BB152_61 Depth=3
	s_or_b32 exec_lo, exec_lo, s45
	s_delay_alu instid0(SALU_CYCLE_1)
	s_and_b32 s44, s44, exec_lo
                                        ; implicit-def: $vgpr16
.LBB152_73:                             ;   in Loop: Header=BB152_61 Depth=3
	s_and_not1_saveexec_b32 s43, s43
	s_cbranch_execz .LBB152_60
; %bb.74:                               ;   in Loop: Header=BB152_61 Depth=3
	v_mul_lo_u32 v14, v13, 56
	s_mov_b32 s45, 0
	s_delay_alu instid0(VALU_DEP_1)
	v_add_nc_u32_e32 v16, v16, v14
	ds_load_b64 v[14:15], v16 offset:2080
.LBB152_75:                             ;   Parent Loop BB152_16 Depth=1
                                        ;     Parent Loop BB152_19 Depth=2
                                        ;       Parent Loop BB152_61 Depth=3
                                        ; =>      This Inner Loop Header: Depth=4
	s_waitcnt lgkmcnt(0)
	v_add_f64 v[50:51], v[14:15], v[9:10]
	ds_cmpstore_rtn_b64 v[50:51], v16, v[50:51], v[14:15] offset:2080
	s_waitcnt lgkmcnt(0)
	v_cmp_eq_u64_e32 vcc_lo, v[50:51], v[14:15]
	v_dual_mov_b32 v14, v50 :: v_dual_mov_b32 v15, v51
	s_or_b32 s45, vcc_lo, s45
	s_delay_alu instid0(SALU_CYCLE_1)
	s_and_not1_b32 exec_lo, exec_lo, s45
	s_cbranch_execnz .LBB152_75
; %bb.76:                               ;   in Loop: Header=BB152_61 Depth=3
	s_or_b32 exec_lo, exec_lo, s45
	ds_load_b64 v[14:15], v16 offset:2088
	s_mov_b32 s45, 0
.LBB152_77:                             ;   Parent Loop BB152_16 Depth=1
                                        ;     Parent Loop BB152_19 Depth=2
                                        ;       Parent Loop BB152_61 Depth=3
                                        ; =>      This Inner Loop Header: Depth=4
	s_waitcnt lgkmcnt(0)
	v_add_f64 v[50:51], v[14:15], v[11:12]
	ds_cmpstore_rtn_b64 v[50:51], v16, v[50:51], v[14:15] offset:2088
	s_waitcnt lgkmcnt(0)
	v_cmp_eq_u64_e32 vcc_lo, v[50:51], v[14:15]
	v_dual_mov_b32 v14, v50 :: v_dual_mov_b32 v15, v51
	s_or_b32 s45, vcc_lo, s45
	s_delay_alu instid0(SALU_CYCLE_1)
	s_and_not1_b32 exec_lo, exec_lo, s45
	s_cbranch_execnz .LBB152_77
; %bb.78:                               ;   in Loop: Header=BB152_61 Depth=3
	s_or_b32 exec_lo, exec_lo, s45
	s_delay_alu instid0(SALU_CYCLE_1)
	s_and_not1_b32 s44, s44, exec_lo
	s_branch .LBB152_60
.LBB152_79:                             ;   in Loop: Header=BB152_19 Depth=2
	s_or_b32 exec_lo, exec_lo, s42
	v_mul_f64 v[9:10], v[7:8], -v[37:38]
	v_mul_f64 v[7:8], v[35:36], v[7:8]
	s_mov_b32 s42, 0
	s_delay_alu instid0(VALU_DEP_2) | instskip(NEXT) | instid1(VALU_DEP_2)
	v_fma_f64 v[9:10], v[35:36], v[5:6], v[9:10]
	v_fma_f64 v[5:6], v[37:38], v[5:6], v[7:8]
	s_delay_alu instid0(VALU_DEP_2) | instskip(NEXT) | instid1(VALU_DEP_2)
	v_fma_f64 v[7:8], v[43:44], v[1:2], v[9:10]
	v_fma_f64 v[5:6], v[45:46], v[1:2], v[5:6]
	s_delay_alu instid0(VALU_DEP_2) | instskip(NEXT) | instid1(VALU_DEP_2)
	v_fma_f64 v[1:2], -v[45:46], v[3:4], v[7:8]
	v_fma_f64 v[3:4], v[43:44], v[3:4], v[5:6]
	s_branch .LBB152_81
.LBB152_80:                             ;   in Loop: Header=BB152_81 Depth=3
	s_or_b32 exec_lo, exec_lo, s43
	s_xor_b32 s43, s44, -1
	s_delay_alu instid0(SALU_CYCLE_1) | instskip(NEXT) | instid1(SALU_CYCLE_1)
	s_and_b32 s43, exec_lo, s43
	s_or_b32 s42, s43, s42
	s_delay_alu instid0(SALU_CYCLE_1)
	s_and_not1_b32 exec_lo, exec_lo, s42
	s_cbranch_execz .LBB152_18
.LBB152_81:                             ;   Parent Loop BB152_16 Depth=1
                                        ;     Parent Loop BB152_19 Depth=2
                                        ; =>    This Loop Header: Depth=3
                                        ;         Child Loop BB152_87 Depth 4
                                        ;         Child Loop BB152_89 Depth 4
	;; [unrolled: 1-line block ×4, first 2 shown]
	v_lshl_add_u32 v7, v49, 3, 0
	s_mov_b32 s43, exec_lo
                                        ; implicit-def: $sgpr44
	ds_load_b64 v[5:6], v7
	s_waitcnt lgkmcnt(0)
	v_cmpx_ne_u64_e64 v[5:6], v[47:48]
	s_xor_b32 s43, exec_lo, s43
	s_cbranch_execz .LBB152_93
; %bb.82:                               ;   in Loop: Header=BB152_81 Depth=3
	s_mov_b32 s45, exec_lo
                                        ; implicit-def: $sgpr44
	v_cmpx_ne_u64_e64 s[28:29], v[5:6]
	s_xor_b32 s45, exec_lo, s45
; %bb.83:                               ;   in Loop: Header=BB152_81 Depth=3
	v_add_nc_u32_e32 v5, 1, v49
	s_mov_b32 s44, -1
                                        ; implicit-def: $vgpr7
	s_delay_alu instid0(VALU_DEP_1)
	v_and_b32_e32 v49, 0xff, v5
; %bb.84:                               ;   in Loop: Header=BB152_81 Depth=3
	s_and_not1_saveexec_b32 s45, s45
	s_cbranch_execz .LBB152_92
; %bb.85:                               ;   in Loop: Header=BB152_81 Depth=3
	v_dual_mov_b32 v5, s28 :: v_dual_mov_b32 v6, s29
	s_mov_b32 s47, -1
	s_mov_b32 s46, exec_lo
	ds_cmpstore_rtn_b64 v[5:6], v7, v[47:48], v[5:6]
	s_waitcnt lgkmcnt(0)
	v_cmpx_eq_u64_e64 s[28:29], v[5:6]
	s_cbranch_execz .LBB152_91
; %bb.86:                               ;   in Loop: Header=BB152_81 Depth=3
	v_mul_lo_u32 v5, v49, 56
	s_mov_b32 s47, 0
	s_delay_alu instid0(VALU_DEP_1)
	v_add_nc_u32_e32 v7, v7, v5
	ds_load_b64 v[5:6], v7 offset:2096
.LBB152_87:                             ;   Parent Loop BB152_16 Depth=1
                                        ;     Parent Loop BB152_19 Depth=2
                                        ;       Parent Loop BB152_81 Depth=3
                                        ; =>      This Inner Loop Header: Depth=4
	s_waitcnt lgkmcnt(0)
	v_add_f64 v[8:9], v[5:6], v[1:2]
	ds_cmpstore_rtn_b64 v[8:9], v7, v[8:9], v[5:6] offset:2096
	s_waitcnt lgkmcnt(0)
	v_cmp_eq_u64_e32 vcc_lo, v[8:9], v[5:6]
	v_dual_mov_b32 v5, v8 :: v_dual_mov_b32 v6, v9
	s_or_b32 s47, vcc_lo, s47
	s_delay_alu instid0(SALU_CYCLE_1)
	s_and_not1_b32 exec_lo, exec_lo, s47
	s_cbranch_execnz .LBB152_87
; %bb.88:                               ;   in Loop: Header=BB152_81 Depth=3
	s_or_b32 exec_lo, exec_lo, s47
	ds_load_b64 v[5:6], v7 offset:2104
	s_mov_b32 s47, 0
.LBB152_89:                             ;   Parent Loop BB152_16 Depth=1
                                        ;     Parent Loop BB152_19 Depth=2
                                        ;       Parent Loop BB152_81 Depth=3
                                        ; =>      This Inner Loop Header: Depth=4
	s_waitcnt lgkmcnt(0)
	v_add_f64 v[8:9], v[5:6], v[3:4]
	ds_cmpstore_rtn_b64 v[8:9], v7, v[8:9], v[5:6] offset:2104
	s_waitcnt lgkmcnt(0)
	v_cmp_eq_u64_e32 vcc_lo, v[8:9], v[5:6]
	v_dual_mov_b32 v5, v8 :: v_dual_mov_b32 v6, v9
	s_or_b32 s47, vcc_lo, s47
	s_delay_alu instid0(SALU_CYCLE_1)
	s_and_not1_b32 exec_lo, exec_lo, s47
	s_cbranch_execnz .LBB152_89
; %bb.90:                               ;   in Loop: Header=BB152_81 Depth=3
	s_or_b32 exec_lo, exec_lo, s47
	s_delay_alu instid0(SALU_CYCLE_1)
	s_xor_b32 s47, exec_lo, -1
.LBB152_91:                             ;   in Loop: Header=BB152_81 Depth=3
	s_or_b32 exec_lo, exec_lo, s46
	s_delay_alu instid0(SALU_CYCLE_1) | instskip(SKIP_1) | instid1(SALU_CYCLE_1)
	s_and_not1_b32 s44, s44, exec_lo
	s_and_b32 s46, s47, exec_lo
	s_or_b32 s44, s44, s46
.LBB152_92:                             ;   in Loop: Header=BB152_81 Depth=3
	s_or_b32 exec_lo, exec_lo, s45
	s_delay_alu instid0(SALU_CYCLE_1)
	s_and_b32 s44, s44, exec_lo
                                        ; implicit-def: $vgpr7
.LBB152_93:                             ;   in Loop: Header=BB152_81 Depth=3
	s_and_not1_saveexec_b32 s43, s43
	s_cbranch_execz .LBB152_80
; %bb.94:                               ;   in Loop: Header=BB152_81 Depth=3
	v_mul_lo_u32 v5, v49, 56
	s_mov_b32 s45, 0
	s_delay_alu instid0(VALU_DEP_1)
	v_add_nc_u32_e32 v7, v7, v5
	ds_load_b64 v[5:6], v7 offset:2096
.LBB152_95:                             ;   Parent Loop BB152_16 Depth=1
                                        ;     Parent Loop BB152_19 Depth=2
                                        ;       Parent Loop BB152_81 Depth=3
                                        ; =>      This Inner Loop Header: Depth=4
	s_waitcnt lgkmcnt(0)
	v_add_f64 v[8:9], v[5:6], v[1:2]
	ds_cmpstore_rtn_b64 v[8:9], v7, v[8:9], v[5:6] offset:2096
	s_waitcnt lgkmcnt(0)
	v_cmp_eq_u64_e32 vcc_lo, v[8:9], v[5:6]
	v_dual_mov_b32 v5, v8 :: v_dual_mov_b32 v6, v9
	s_or_b32 s45, vcc_lo, s45
	s_delay_alu instid0(SALU_CYCLE_1)
	s_and_not1_b32 exec_lo, exec_lo, s45
	s_cbranch_execnz .LBB152_95
; %bb.96:                               ;   in Loop: Header=BB152_81 Depth=3
	s_or_b32 exec_lo, exec_lo, s45
	ds_load_b64 v[5:6], v7 offset:2104
	s_mov_b32 s45, 0
.LBB152_97:                             ;   Parent Loop BB152_16 Depth=1
                                        ;     Parent Loop BB152_19 Depth=2
                                        ;       Parent Loop BB152_81 Depth=3
                                        ; =>      This Inner Loop Header: Depth=4
	s_waitcnt lgkmcnt(0)
	v_add_f64 v[8:9], v[5:6], v[3:4]
	ds_cmpstore_rtn_b64 v[8:9], v7, v[8:9], v[5:6] offset:2104
	s_waitcnt lgkmcnt(0)
	v_cmp_eq_u64_e32 vcc_lo, v[8:9], v[5:6]
	v_dual_mov_b32 v5, v8 :: v_dual_mov_b32 v6, v9
	s_or_b32 s45, vcc_lo, s45
	s_delay_alu instid0(SALU_CYCLE_1)
	s_and_not1_b32 exec_lo, exec_lo, s45
	s_cbranch_execnz .LBB152_97
; %bb.98:                               ;   in Loop: Header=BB152_81 Depth=3
	s_or_b32 exec_lo, exec_lo, s45
	s_delay_alu instid0(SALU_CYCLE_1)
	s_and_not1_b32 s44, s44, exec_lo
	s_branch .LBB152_80
.LBB152_99:
	s_or_b32 exec_lo, exec_lo, s12
.LBB152_100:
	s_delay_alu instid0(SALU_CYCLE_1)
	s_and_not1_b32 vcc_lo, exec_lo, s33
	s_waitcnt lgkmcnt(0)
	s_barrier
	buffer_gl0_inv
	s_cbranch_vccnz .LBB152_185
; %bb.101:
	s_lshl_b64 s[0:1], s[34:35], 3
	s_delay_alu instid0(SALU_CYCLE_1) | instskip(SKIP_4) | instid1(VALU_DEP_1)
	s_add_u32 s0, s4, s0
	s_addc_u32 s1, s5, s1
	s_mov_b32 s4, 0
	s_load_b128 s[12:15], s[0:1], 0x0
	v_sub_co_u32 v1, s0, v0, s23
	v_sub_co_ci_u32_e64 v2, null, 0, 0, s0
	s_mov_b32 s5, exec_lo
	s_waitcnt lgkmcnt(0)
	s_delay_alu instid0(VALU_DEP_2) | instskip(NEXT) | instid1(VALU_DEP_2)
	v_add_co_u32 v13, vcc_lo, s12, v1
	v_add_co_ci_u32_e32 v14, vcc_lo, s13, v2, vcc_lo
	s_sub_u32 s0, s14, s23
	s_subb_u32 s1, s15, 0
	s_delay_alu instid0(VALU_DEP_1) | instid1(SALU_CYCLE_1)
	v_cmpx_gt_i64_e64 s[0:1], v[13:14]
	s_cbranch_execz .LBB152_184
; %bb.102:
	s_cmp_eq_u32 s3, 0
	s_mov_b32 s12, s23
	s_cselect_b32 s13, 1, 2
	s_cselect_b32 s14, 2, 1
	s_branch .LBB152_104
.LBB152_103:                            ;   in Loop: Header=BB152_104 Depth=1
	s_or_b32 exec_lo, exec_lo, s15
	v_add_co_u32 v13, vcc_lo, 0x100, v13
	v_add_co_ci_u32_e32 v14, vcc_lo, 0, v14, vcc_lo
	s_delay_alu instid0(VALU_DEP_1) | instskip(SKIP_1) | instid1(SALU_CYCLE_1)
	v_cmp_le_i64_e32 vcc_lo, s[0:1], v[13:14]
	s_or_b32 s4, vcc_lo, s4
	s_and_not1_b32 exec_lo, exec_lo, s4
	s_cbranch_execz .LBB152_184
.LBB152_104:                            ; =>This Loop Header: Depth=1
                                        ;     Child Loop BB152_106 Depth 2
                                        ;       Child Loop BB152_112 Depth 3
                                        ;       Child Loop BB152_114 Depth 3
                                        ;       Child Loop BB152_120 Depth 3
                                        ;       Child Loop BB152_122 Depth 3
                                        ;     Child Loop BB152_126 Depth 2
                                        ;       Child Loop BB152_132 Depth 3
                                        ;       Child Loop BB152_134 Depth 3
                                        ;       Child Loop BB152_140 Depth 3
                                        ;       Child Loop BB152_142 Depth 3
	;; [unrolled: 5-line block ×4, first 2 shown]
	v_lshlrev_b64 v[1:2], 6, v[13:14]
	v_lshlrev_b64 v[3:4], 3, v[13:14]
	;; [unrolled: 1-line block ×3, first 2 shown]
	s_mov_b32 s15, 0
	s_delay_alu instid0(VALU_DEP_3) | instskip(NEXT) | instid1(VALU_DEP_4)
	v_add_co_u32 v1, vcc_lo, s8, v1
	v_add_co_ci_u32_e32 v2, vcc_lo, s9, v2, vcc_lo
	s_delay_alu instid0(VALU_DEP_4)
	v_add_co_u32 v3, vcc_lo, s6, v3
	v_add_co_ci_u32_e32 v4, vcc_lo, s7, v4, vcc_lo
	global_load_b128 v[24:27], v[1:2], off
	v_or_b32_e32 v8, 0, v6
	v_or_b32_e32 v7, s13, v5
	global_load_b64 v[15:16], v[3:4], off
	v_or_b32_e32 v4, 0, v6
	v_or_b32_e32 v3, s14, v5
	v_lshlrev_b64 v[5:6], 4, v[7:8]
	s_delay_alu instid0(VALU_DEP_2) | instskip(NEXT) | instid1(VALU_DEP_2)
	v_lshlrev_b64 v[3:4], 4, v[3:4]
	v_add_co_u32 v5, vcc_lo, s8, v5
	s_delay_alu instid0(VALU_DEP_3) | instskip(NEXT) | instid1(VALU_DEP_3)
	v_add_co_ci_u32_e32 v6, vcc_lo, s9, v6, vcc_lo
	v_add_co_u32 v7, vcc_lo, s8, v3
	s_delay_alu instid0(VALU_DEP_4)
	v_add_co_ci_u32_e32 v8, vcc_lo, s9, v4, vcc_lo
	s_clause 0x2
	global_load_b128 v[1:4], v[1:2], off offset:48
	global_load_b128 v[9:12], v[5:6], off
	global_load_b128 v[5:8], v[7:8], off
	s_waitcnt vmcnt(4)
	v_mul_f64 v[21:22], v[26:27], -v[17:18]
	v_mul_f64 v[26:27], v[19:20], v[26:27]
	s_waitcnt vmcnt(3)
	v_sub_co_u32 v15, vcc_lo, v15, s12
	v_subrev_co_ci_u32_e32 v16, vcc_lo, 0, v16, vcc_lo
	s_delay_alu instid0(VALU_DEP_4) | instskip(NEXT) | instid1(VALU_DEP_4)
	v_fma_f64 v[22:23], v[19:20], v[24:25], v[21:22]
	v_fma_f64 v[24:25], v[17:18], v[24:25], v[26:27]
	s_delay_alu instid0(VALU_DEP_4) | instskip(NEXT) | instid1(VALU_DEP_1)
	v_mul_lo_u32 v21, 0x89, v15
	v_and_b32_e32 v21, 0xff, v21
	s_delay_alu instid0(VALU_DEP_1)
	v_dual_mov_b32 v27, v22 :: v_dual_mov_b32 v26, v21
	s_branch .LBB152_106
.LBB152_105:                            ;   in Loop: Header=BB152_106 Depth=2
	s_or_b32 exec_lo, exec_lo, s16
	s_xor_b32 s16, s17, -1
	s_delay_alu instid0(SALU_CYCLE_1) | instskip(NEXT) | instid1(SALU_CYCLE_1)
	s_and_b32 s16, exec_lo, s16
	s_or_b32 s15, s16, s15
	s_delay_alu instid0(SALU_CYCLE_1)
	s_and_not1_b32 exec_lo, exec_lo, s15
	s_cbranch_execz .LBB152_124
.LBB152_106:                            ;   Parent Loop BB152_104 Depth=1
                                        ; =>  This Loop Header: Depth=2
                                        ;       Child Loop BB152_112 Depth 3
                                        ;       Child Loop BB152_114 Depth 3
	;; [unrolled: 1-line block ×4, first 2 shown]
	s_delay_alu instid0(VALU_DEP_1)
	v_lshl_add_u32 v29, v26, 3, 0
	s_mov_b32 s16, exec_lo
                                        ; implicit-def: $sgpr17
	ds_load_b64 v[27:28], v29
	s_waitcnt lgkmcnt(0)
	v_cmpx_ne_u64_e64 v[27:28], v[15:16]
	s_xor_b32 s16, exec_lo, s16
	s_cbranch_execz .LBB152_118
; %bb.107:                              ;   in Loop: Header=BB152_106 Depth=2
	s_mov_b32 s18, exec_lo
                                        ; implicit-def: $sgpr17
	v_cmpx_ne_u64_e64 s[28:29], v[27:28]
	s_xor_b32 s18, exec_lo, s18
; %bb.108:                              ;   in Loop: Header=BB152_106 Depth=2
	v_add_nc_u32_e32 v26, 1, v26
	s_mov_b32 s17, -1
                                        ; implicit-def: $vgpr29
	s_delay_alu instid0(VALU_DEP_1)
	v_and_b32_e32 v26, 0xff, v26
; %bb.109:                              ;   in Loop: Header=BB152_106 Depth=2
	s_and_not1_saveexec_b32 s18, s18
	s_cbranch_execz .LBB152_117
; %bb.110:                              ;   in Loop: Header=BB152_106 Depth=2
	v_dual_mov_b32 v27, s28 :: v_dual_mov_b32 v28, s29
	s_mov_b32 s20, -1
	s_mov_b32 s19, exec_lo
	ds_cmpstore_rtn_b64 v[27:28], v29, v[15:16], v[27:28]
	s_waitcnt lgkmcnt(0)
	v_cmpx_eq_u64_e64 s[28:29], v[27:28]
	s_cbranch_execz .LBB152_116
; %bb.111:                              ;   in Loop: Header=BB152_106 Depth=2
	v_mul_lo_u32 v27, v26, 56
	s_mov_b32 s20, 0
	s_delay_alu instid0(VALU_DEP_1)
	v_add_nc_u32_e32 v29, v29, v27
	ds_load_b64 v[27:28], v29 offset:2048
.LBB152_112:                            ;   Parent Loop BB152_104 Depth=1
                                        ;     Parent Loop BB152_106 Depth=2
                                        ; =>    This Inner Loop Header: Depth=3
	s_waitcnt lgkmcnt(0)
	v_add_f64 v[30:31], v[27:28], v[22:23]
	ds_cmpstore_rtn_b64 v[30:31], v29, v[30:31], v[27:28] offset:2048
	s_waitcnt lgkmcnt(0)
	v_cmp_eq_u64_e32 vcc_lo, v[30:31], v[27:28]
	v_dual_mov_b32 v27, v30 :: v_dual_mov_b32 v28, v31
	s_or_b32 s20, vcc_lo, s20
	s_delay_alu instid0(SALU_CYCLE_1)
	s_and_not1_b32 exec_lo, exec_lo, s20
	s_cbranch_execnz .LBB152_112
; %bb.113:                              ;   in Loop: Header=BB152_106 Depth=2
	s_or_b32 exec_lo, exec_lo, s20
	ds_load_b64 v[27:28], v29 offset:2056
	s_mov_b32 s20, 0
.LBB152_114:                            ;   Parent Loop BB152_104 Depth=1
                                        ;     Parent Loop BB152_106 Depth=2
                                        ; =>    This Inner Loop Header: Depth=3
	s_waitcnt lgkmcnt(0)
	v_add_f64 v[30:31], v[27:28], v[24:25]
	ds_cmpstore_rtn_b64 v[30:31], v29, v[30:31], v[27:28] offset:2056
	s_waitcnt lgkmcnt(0)
	v_cmp_eq_u64_e32 vcc_lo, v[30:31], v[27:28]
	v_dual_mov_b32 v27, v30 :: v_dual_mov_b32 v28, v31
	s_or_b32 s20, vcc_lo, s20
	s_delay_alu instid0(SALU_CYCLE_1)
	s_and_not1_b32 exec_lo, exec_lo, s20
	s_cbranch_execnz .LBB152_114
; %bb.115:                              ;   in Loop: Header=BB152_106 Depth=2
	s_or_b32 exec_lo, exec_lo, s20
	s_delay_alu instid0(SALU_CYCLE_1)
	s_xor_b32 s20, exec_lo, -1
.LBB152_116:                            ;   in Loop: Header=BB152_106 Depth=2
	s_or_b32 exec_lo, exec_lo, s19
	s_delay_alu instid0(SALU_CYCLE_1) | instskip(SKIP_1) | instid1(SALU_CYCLE_1)
	s_and_not1_b32 s17, s17, exec_lo
	s_and_b32 s19, s20, exec_lo
	s_or_b32 s17, s17, s19
.LBB152_117:                            ;   in Loop: Header=BB152_106 Depth=2
	s_or_b32 exec_lo, exec_lo, s18
	s_delay_alu instid0(SALU_CYCLE_1)
	s_and_b32 s17, s17, exec_lo
                                        ; implicit-def: $vgpr29
.LBB152_118:                            ;   in Loop: Header=BB152_106 Depth=2
	s_and_not1_saveexec_b32 s16, s16
	s_cbranch_execz .LBB152_105
; %bb.119:                              ;   in Loop: Header=BB152_106 Depth=2
	v_mul_lo_u32 v27, v26, 56
	s_mov_b32 s18, 0
	s_delay_alu instid0(VALU_DEP_1)
	v_add_nc_u32_e32 v29, v29, v27
	ds_load_b64 v[27:28], v29 offset:2048
.LBB152_120:                            ;   Parent Loop BB152_104 Depth=1
                                        ;     Parent Loop BB152_106 Depth=2
                                        ; =>    This Inner Loop Header: Depth=3
	s_waitcnt lgkmcnt(0)
	v_add_f64 v[30:31], v[27:28], v[22:23]
	ds_cmpstore_rtn_b64 v[30:31], v29, v[30:31], v[27:28] offset:2048
	s_waitcnt lgkmcnt(0)
	v_cmp_eq_u64_e32 vcc_lo, v[30:31], v[27:28]
	v_dual_mov_b32 v27, v30 :: v_dual_mov_b32 v28, v31
	s_or_b32 s18, vcc_lo, s18
	s_delay_alu instid0(SALU_CYCLE_1)
	s_and_not1_b32 exec_lo, exec_lo, s18
	s_cbranch_execnz .LBB152_120
; %bb.121:                              ;   in Loop: Header=BB152_106 Depth=2
	s_or_b32 exec_lo, exec_lo, s18
	ds_load_b64 v[27:28], v29 offset:2056
	s_mov_b32 s18, 0
.LBB152_122:                            ;   Parent Loop BB152_104 Depth=1
                                        ;     Parent Loop BB152_106 Depth=2
                                        ; =>    This Inner Loop Header: Depth=3
	s_waitcnt lgkmcnt(0)
	v_add_f64 v[30:31], v[27:28], v[24:25]
	ds_cmpstore_rtn_b64 v[30:31], v29, v[30:31], v[27:28] offset:2056
	s_waitcnt lgkmcnt(0)
	v_cmp_eq_u64_e32 vcc_lo, v[30:31], v[27:28]
	v_dual_mov_b32 v27, v30 :: v_dual_mov_b32 v28, v31
	s_or_b32 s18, vcc_lo, s18
	s_delay_alu instid0(SALU_CYCLE_1)
	s_and_not1_b32 exec_lo, exec_lo, s18
	s_cbranch_execnz .LBB152_122
; %bb.123:                              ;   in Loop: Header=BB152_106 Depth=2
	s_or_b32 exec_lo, exec_lo, s18
	s_delay_alu instid0(SALU_CYCLE_1)
	s_and_not1_b32 s17, s17, exec_lo
	s_branch .LBB152_105
.LBB152_124:                            ;   in Loop: Header=BB152_104 Depth=1
	s_or_b32 exec_lo, exec_lo, s15
	s_waitcnt vmcnt(1)
	v_mul_f64 v[22:23], v[11:12], -v[17:18]
	v_mul_f64 v[24:25], v[19:20], v[11:12]
	s_mov_b32 s15, 0
	s_delay_alu instid0(VALU_DEP_2) | instskip(NEXT) | instid1(VALU_DEP_2)
	v_fma_f64 v[11:12], v[19:20], v[9:10], v[22:23]
	v_fma_f64 v[9:10], v[17:18], v[9:10], v[24:25]
	v_mov_b32_e32 v23, v22
	v_mov_b32_e32 v22, v21
	s_branch .LBB152_126
.LBB152_125:                            ;   in Loop: Header=BB152_126 Depth=2
	s_or_b32 exec_lo, exec_lo, s16
	s_xor_b32 s16, s17, -1
	s_delay_alu instid0(SALU_CYCLE_1) | instskip(NEXT) | instid1(SALU_CYCLE_1)
	s_and_b32 s16, exec_lo, s16
	s_or_b32 s15, s16, s15
	s_delay_alu instid0(SALU_CYCLE_1)
	s_and_not1_b32 exec_lo, exec_lo, s15
	s_cbranch_execz .LBB152_144
.LBB152_126:                            ;   Parent Loop BB152_104 Depth=1
                                        ; =>  This Loop Header: Depth=2
                                        ;       Child Loop BB152_132 Depth 3
                                        ;       Child Loop BB152_134 Depth 3
	;; [unrolled: 1-line block ×4, first 2 shown]
	s_delay_alu instid0(VALU_DEP_1)
	v_lshl_add_u32 v25, v22, 3, 0
	s_mov_b32 s16, exec_lo
                                        ; implicit-def: $sgpr17
	ds_load_b64 v[23:24], v25
	s_waitcnt lgkmcnt(0)
	v_cmpx_ne_u64_e64 v[23:24], v[15:16]
	s_xor_b32 s16, exec_lo, s16
	s_cbranch_execz .LBB152_138
; %bb.127:                              ;   in Loop: Header=BB152_126 Depth=2
	s_mov_b32 s18, exec_lo
                                        ; implicit-def: $sgpr17
	v_cmpx_ne_u64_e64 s[28:29], v[23:24]
	s_xor_b32 s18, exec_lo, s18
; %bb.128:                              ;   in Loop: Header=BB152_126 Depth=2
	v_add_nc_u32_e32 v22, 1, v22
	s_mov_b32 s17, -1
                                        ; implicit-def: $vgpr25
	s_delay_alu instid0(VALU_DEP_1)
	v_and_b32_e32 v22, 0xff, v22
; %bb.129:                              ;   in Loop: Header=BB152_126 Depth=2
	s_and_not1_saveexec_b32 s18, s18
	s_cbranch_execz .LBB152_137
; %bb.130:                              ;   in Loop: Header=BB152_126 Depth=2
	v_dual_mov_b32 v23, s28 :: v_dual_mov_b32 v24, s29
	s_mov_b32 s20, -1
	s_mov_b32 s19, exec_lo
	ds_cmpstore_rtn_b64 v[23:24], v25, v[15:16], v[23:24]
	s_waitcnt lgkmcnt(0)
	v_cmpx_eq_u64_e64 s[28:29], v[23:24]
	s_cbranch_execz .LBB152_136
; %bb.131:                              ;   in Loop: Header=BB152_126 Depth=2
	v_mul_lo_u32 v23, v22, 56
	s_mov_b32 s20, 0
	s_delay_alu instid0(VALU_DEP_1)
	v_add_nc_u32_e32 v25, v25, v23
	ds_load_b64 v[23:24], v25 offset:2064
.LBB152_132:                            ;   Parent Loop BB152_104 Depth=1
                                        ;     Parent Loop BB152_126 Depth=2
                                        ; =>    This Inner Loop Header: Depth=3
	s_waitcnt lgkmcnt(0)
	v_add_f64 v[26:27], v[23:24], v[11:12]
	ds_cmpstore_rtn_b64 v[26:27], v25, v[26:27], v[23:24] offset:2064
	s_waitcnt lgkmcnt(0)
	v_cmp_eq_u64_e32 vcc_lo, v[26:27], v[23:24]
	v_dual_mov_b32 v23, v26 :: v_dual_mov_b32 v24, v27
	s_or_b32 s20, vcc_lo, s20
	s_delay_alu instid0(SALU_CYCLE_1)
	s_and_not1_b32 exec_lo, exec_lo, s20
	s_cbranch_execnz .LBB152_132
; %bb.133:                              ;   in Loop: Header=BB152_126 Depth=2
	s_or_b32 exec_lo, exec_lo, s20
	ds_load_b64 v[23:24], v25 offset:2072
	s_mov_b32 s20, 0
.LBB152_134:                            ;   Parent Loop BB152_104 Depth=1
                                        ;     Parent Loop BB152_126 Depth=2
                                        ; =>    This Inner Loop Header: Depth=3
	s_waitcnt lgkmcnt(0)
	v_add_f64 v[26:27], v[23:24], v[9:10]
	ds_cmpstore_rtn_b64 v[26:27], v25, v[26:27], v[23:24] offset:2072
	s_waitcnt lgkmcnt(0)
	v_cmp_eq_u64_e32 vcc_lo, v[26:27], v[23:24]
	v_dual_mov_b32 v23, v26 :: v_dual_mov_b32 v24, v27
	s_or_b32 s20, vcc_lo, s20
	s_delay_alu instid0(SALU_CYCLE_1)
	s_and_not1_b32 exec_lo, exec_lo, s20
	s_cbranch_execnz .LBB152_134
; %bb.135:                              ;   in Loop: Header=BB152_126 Depth=2
	s_or_b32 exec_lo, exec_lo, s20
	s_delay_alu instid0(SALU_CYCLE_1)
	s_xor_b32 s20, exec_lo, -1
.LBB152_136:                            ;   in Loop: Header=BB152_126 Depth=2
	s_or_b32 exec_lo, exec_lo, s19
	s_delay_alu instid0(SALU_CYCLE_1) | instskip(SKIP_1) | instid1(SALU_CYCLE_1)
	s_and_not1_b32 s17, s17, exec_lo
	s_and_b32 s19, s20, exec_lo
	s_or_b32 s17, s17, s19
.LBB152_137:                            ;   in Loop: Header=BB152_126 Depth=2
	s_or_b32 exec_lo, exec_lo, s18
	s_delay_alu instid0(SALU_CYCLE_1)
	s_and_b32 s17, s17, exec_lo
                                        ; implicit-def: $vgpr25
.LBB152_138:                            ;   in Loop: Header=BB152_126 Depth=2
	s_and_not1_saveexec_b32 s16, s16
	s_cbranch_execz .LBB152_125
; %bb.139:                              ;   in Loop: Header=BB152_126 Depth=2
	v_mul_lo_u32 v23, v22, 56
	s_mov_b32 s18, 0
	s_delay_alu instid0(VALU_DEP_1)
	v_add_nc_u32_e32 v25, v25, v23
	ds_load_b64 v[23:24], v25 offset:2064
.LBB152_140:                            ;   Parent Loop BB152_104 Depth=1
                                        ;     Parent Loop BB152_126 Depth=2
                                        ; =>    This Inner Loop Header: Depth=3
	s_waitcnt lgkmcnt(0)
	v_add_f64 v[26:27], v[23:24], v[11:12]
	ds_cmpstore_rtn_b64 v[26:27], v25, v[26:27], v[23:24] offset:2064
	s_waitcnt lgkmcnt(0)
	v_cmp_eq_u64_e32 vcc_lo, v[26:27], v[23:24]
	v_dual_mov_b32 v23, v26 :: v_dual_mov_b32 v24, v27
	s_or_b32 s18, vcc_lo, s18
	s_delay_alu instid0(SALU_CYCLE_1)
	s_and_not1_b32 exec_lo, exec_lo, s18
	s_cbranch_execnz .LBB152_140
; %bb.141:                              ;   in Loop: Header=BB152_126 Depth=2
	s_or_b32 exec_lo, exec_lo, s18
	ds_load_b64 v[23:24], v25 offset:2072
	s_mov_b32 s18, 0
.LBB152_142:                            ;   Parent Loop BB152_104 Depth=1
                                        ;     Parent Loop BB152_126 Depth=2
                                        ; =>    This Inner Loop Header: Depth=3
	s_waitcnt lgkmcnt(0)
	v_add_f64 v[26:27], v[23:24], v[9:10]
	ds_cmpstore_rtn_b64 v[26:27], v25, v[26:27], v[23:24] offset:2072
	s_waitcnt lgkmcnt(0)
	v_cmp_eq_u64_e32 vcc_lo, v[26:27], v[23:24]
	v_dual_mov_b32 v23, v26 :: v_dual_mov_b32 v24, v27
	s_or_b32 s18, vcc_lo, s18
	s_delay_alu instid0(SALU_CYCLE_1)
	s_and_not1_b32 exec_lo, exec_lo, s18
	s_cbranch_execnz .LBB152_142
; %bb.143:                              ;   in Loop: Header=BB152_126 Depth=2
	s_or_b32 exec_lo, exec_lo, s18
	s_delay_alu instid0(SALU_CYCLE_1)
	s_and_not1_b32 s17, s17, exec_lo
	s_branch .LBB152_125
.LBB152_144:                            ;   in Loop: Header=BB152_104 Depth=1
	s_or_b32 exec_lo, exec_lo, s15
	s_waitcnt vmcnt(0)
	v_mul_f64 v[9:10], v[7:8], -v[17:18]
	v_mul_f64 v[11:12], v[19:20], v[7:8]
	s_mov_b32 s15, 0
	s_delay_alu instid0(VALU_DEP_2) | instskip(NEXT) | instid1(VALU_DEP_2)
	v_fma_f64 v[7:8], v[19:20], v[5:6], v[9:10]
	v_fma_f64 v[5:6], v[17:18], v[5:6], v[11:12]
	v_dual_mov_b32 v9, v21 :: v_dual_mov_b32 v10, v22
	s_branch .LBB152_146
.LBB152_145:                            ;   in Loop: Header=BB152_146 Depth=2
	s_or_b32 exec_lo, exec_lo, s16
	s_xor_b32 s16, s17, -1
	s_delay_alu instid0(SALU_CYCLE_1) | instskip(NEXT) | instid1(SALU_CYCLE_1)
	s_and_b32 s16, exec_lo, s16
	s_or_b32 s15, s16, s15
	s_delay_alu instid0(SALU_CYCLE_1)
	s_and_not1_b32 exec_lo, exec_lo, s15
	s_cbranch_execz .LBB152_164
.LBB152_146:                            ;   Parent Loop BB152_104 Depth=1
                                        ; =>  This Loop Header: Depth=2
                                        ;       Child Loop BB152_152 Depth 3
                                        ;       Child Loop BB152_154 Depth 3
	;; [unrolled: 1-line block ×4, first 2 shown]
	s_delay_alu instid0(VALU_DEP_1)
	v_lshl_add_u32 v12, v9, 3, 0
	s_mov_b32 s16, exec_lo
                                        ; implicit-def: $sgpr17
	ds_load_b64 v[10:11], v12
	s_waitcnt lgkmcnt(0)
	v_cmpx_ne_u64_e64 v[10:11], v[15:16]
	s_xor_b32 s16, exec_lo, s16
	s_cbranch_execz .LBB152_158
; %bb.147:                              ;   in Loop: Header=BB152_146 Depth=2
	s_mov_b32 s18, exec_lo
                                        ; implicit-def: $sgpr17
	v_cmpx_ne_u64_e64 s[28:29], v[10:11]
	s_xor_b32 s18, exec_lo, s18
; %bb.148:                              ;   in Loop: Header=BB152_146 Depth=2
	v_add_nc_u32_e32 v9, 1, v9
	s_mov_b32 s17, -1
                                        ; implicit-def: $vgpr12
	s_delay_alu instid0(VALU_DEP_1)
	v_and_b32_e32 v9, 0xff, v9
; %bb.149:                              ;   in Loop: Header=BB152_146 Depth=2
	s_and_not1_saveexec_b32 s18, s18
	s_cbranch_execz .LBB152_157
; %bb.150:                              ;   in Loop: Header=BB152_146 Depth=2
	v_dual_mov_b32 v10, s28 :: v_dual_mov_b32 v11, s29
	s_mov_b32 s20, -1
	s_mov_b32 s19, exec_lo
	ds_cmpstore_rtn_b64 v[10:11], v12, v[15:16], v[10:11]
	s_waitcnt lgkmcnt(0)
	v_cmpx_eq_u64_e64 s[28:29], v[10:11]
	s_cbranch_execz .LBB152_156
; %bb.151:                              ;   in Loop: Header=BB152_146 Depth=2
	v_mul_lo_u32 v10, v9, 56
	s_mov_b32 s20, 0
	s_delay_alu instid0(VALU_DEP_1)
	v_add_nc_u32_e32 v12, v12, v10
	ds_load_b64 v[10:11], v12 offset:2080
.LBB152_152:                            ;   Parent Loop BB152_104 Depth=1
                                        ;     Parent Loop BB152_146 Depth=2
                                        ; =>    This Inner Loop Header: Depth=3
	s_waitcnt lgkmcnt(0)
	v_add_f64 v[22:23], v[10:11], v[7:8]
	ds_cmpstore_rtn_b64 v[22:23], v12, v[22:23], v[10:11] offset:2080
	s_waitcnt lgkmcnt(0)
	v_cmp_eq_u64_e32 vcc_lo, v[22:23], v[10:11]
	v_dual_mov_b32 v10, v22 :: v_dual_mov_b32 v11, v23
	s_or_b32 s20, vcc_lo, s20
	s_delay_alu instid0(SALU_CYCLE_1)
	s_and_not1_b32 exec_lo, exec_lo, s20
	s_cbranch_execnz .LBB152_152
; %bb.153:                              ;   in Loop: Header=BB152_146 Depth=2
	s_or_b32 exec_lo, exec_lo, s20
	ds_load_b64 v[10:11], v12 offset:2088
	s_mov_b32 s20, 0
.LBB152_154:                            ;   Parent Loop BB152_104 Depth=1
                                        ;     Parent Loop BB152_146 Depth=2
                                        ; =>    This Inner Loop Header: Depth=3
	s_waitcnt lgkmcnt(0)
	v_add_f64 v[22:23], v[10:11], v[5:6]
	ds_cmpstore_rtn_b64 v[22:23], v12, v[22:23], v[10:11] offset:2088
	s_waitcnt lgkmcnt(0)
	v_cmp_eq_u64_e32 vcc_lo, v[22:23], v[10:11]
	v_dual_mov_b32 v10, v22 :: v_dual_mov_b32 v11, v23
	s_or_b32 s20, vcc_lo, s20
	s_delay_alu instid0(SALU_CYCLE_1)
	s_and_not1_b32 exec_lo, exec_lo, s20
	s_cbranch_execnz .LBB152_154
; %bb.155:                              ;   in Loop: Header=BB152_146 Depth=2
	s_or_b32 exec_lo, exec_lo, s20
	s_delay_alu instid0(SALU_CYCLE_1)
	s_xor_b32 s20, exec_lo, -1
.LBB152_156:                            ;   in Loop: Header=BB152_146 Depth=2
	s_or_b32 exec_lo, exec_lo, s19
	s_delay_alu instid0(SALU_CYCLE_1) | instskip(SKIP_1) | instid1(SALU_CYCLE_1)
	s_and_not1_b32 s17, s17, exec_lo
	s_and_b32 s19, s20, exec_lo
	s_or_b32 s17, s17, s19
.LBB152_157:                            ;   in Loop: Header=BB152_146 Depth=2
	s_or_b32 exec_lo, exec_lo, s18
	s_delay_alu instid0(SALU_CYCLE_1)
	s_and_b32 s17, s17, exec_lo
                                        ; implicit-def: $vgpr12
.LBB152_158:                            ;   in Loop: Header=BB152_146 Depth=2
	s_and_not1_saveexec_b32 s16, s16
	s_cbranch_execz .LBB152_145
; %bb.159:                              ;   in Loop: Header=BB152_146 Depth=2
	v_mul_lo_u32 v10, v9, 56
	s_mov_b32 s18, 0
	s_delay_alu instid0(VALU_DEP_1)
	v_add_nc_u32_e32 v12, v12, v10
	ds_load_b64 v[10:11], v12 offset:2080
.LBB152_160:                            ;   Parent Loop BB152_104 Depth=1
                                        ;     Parent Loop BB152_146 Depth=2
                                        ; =>    This Inner Loop Header: Depth=3
	s_waitcnt lgkmcnt(0)
	v_add_f64 v[22:23], v[10:11], v[7:8]
	ds_cmpstore_rtn_b64 v[22:23], v12, v[22:23], v[10:11] offset:2080
	s_waitcnt lgkmcnt(0)
	v_cmp_eq_u64_e32 vcc_lo, v[22:23], v[10:11]
	v_dual_mov_b32 v10, v22 :: v_dual_mov_b32 v11, v23
	s_or_b32 s18, vcc_lo, s18
	s_delay_alu instid0(SALU_CYCLE_1)
	s_and_not1_b32 exec_lo, exec_lo, s18
	s_cbranch_execnz .LBB152_160
; %bb.161:                              ;   in Loop: Header=BB152_146 Depth=2
	s_or_b32 exec_lo, exec_lo, s18
	ds_load_b64 v[10:11], v12 offset:2088
	s_mov_b32 s18, 0
.LBB152_162:                            ;   Parent Loop BB152_104 Depth=1
                                        ;     Parent Loop BB152_146 Depth=2
                                        ; =>    This Inner Loop Header: Depth=3
	s_waitcnt lgkmcnt(0)
	v_add_f64 v[22:23], v[10:11], v[5:6]
	ds_cmpstore_rtn_b64 v[22:23], v12, v[22:23], v[10:11] offset:2088
	s_waitcnt lgkmcnt(0)
	v_cmp_eq_u64_e32 vcc_lo, v[22:23], v[10:11]
	v_dual_mov_b32 v10, v22 :: v_dual_mov_b32 v11, v23
	s_or_b32 s18, vcc_lo, s18
	s_delay_alu instid0(SALU_CYCLE_1)
	s_and_not1_b32 exec_lo, exec_lo, s18
	s_cbranch_execnz .LBB152_162
; %bb.163:                              ;   in Loop: Header=BB152_146 Depth=2
	s_or_b32 exec_lo, exec_lo, s18
	s_delay_alu instid0(SALU_CYCLE_1)
	s_and_not1_b32 s17, s17, exec_lo
	s_branch .LBB152_145
.LBB152_164:                            ;   in Loop: Header=BB152_104 Depth=1
	s_or_b32 exec_lo, exec_lo, s15
	v_mul_f64 v[5:6], v[3:4], -v[17:18]
	v_mul_f64 v[7:8], v[19:20], v[3:4]
	s_mov_b32 s15, 0
	s_delay_alu instid0(VALU_DEP_2) | instskip(NEXT) | instid1(VALU_DEP_2)
	v_fma_f64 v[3:4], v[19:20], v[1:2], v[5:6]
	v_fma_f64 v[1:2], v[17:18], v[1:2], v[7:8]
	s_branch .LBB152_166
.LBB152_165:                            ;   in Loop: Header=BB152_166 Depth=2
	s_or_b32 exec_lo, exec_lo, s16
	s_xor_b32 s16, s17, -1
	s_delay_alu instid0(SALU_CYCLE_1) | instskip(NEXT) | instid1(SALU_CYCLE_1)
	s_and_b32 s16, exec_lo, s16
	s_or_b32 s15, s16, s15
	s_delay_alu instid0(SALU_CYCLE_1)
	s_and_not1_b32 exec_lo, exec_lo, s15
	s_cbranch_execz .LBB152_103
.LBB152_166:                            ;   Parent Loop BB152_104 Depth=1
                                        ; =>  This Loop Header: Depth=2
                                        ;       Child Loop BB152_172 Depth 3
                                        ;       Child Loop BB152_174 Depth 3
	;; [unrolled: 1-line block ×4, first 2 shown]
	v_lshl_add_u32 v7, v21, 3, 0
	s_mov_b32 s16, exec_lo
                                        ; implicit-def: $sgpr17
	ds_load_b64 v[5:6], v7
	s_waitcnt lgkmcnt(0)
	v_cmpx_ne_u64_e64 v[5:6], v[15:16]
	s_xor_b32 s16, exec_lo, s16
	s_cbranch_execz .LBB152_178
; %bb.167:                              ;   in Loop: Header=BB152_166 Depth=2
	s_mov_b32 s18, exec_lo
                                        ; implicit-def: $sgpr17
	v_cmpx_ne_u64_e64 s[28:29], v[5:6]
	s_xor_b32 s18, exec_lo, s18
; %bb.168:                              ;   in Loop: Header=BB152_166 Depth=2
	v_add_nc_u32_e32 v5, 1, v21
	s_mov_b32 s17, -1
                                        ; implicit-def: $vgpr7
	s_delay_alu instid0(VALU_DEP_1)
	v_and_b32_e32 v21, 0xff, v5
; %bb.169:                              ;   in Loop: Header=BB152_166 Depth=2
	s_and_not1_saveexec_b32 s18, s18
	s_cbranch_execz .LBB152_177
; %bb.170:                              ;   in Loop: Header=BB152_166 Depth=2
	v_dual_mov_b32 v5, s28 :: v_dual_mov_b32 v6, s29
	s_mov_b32 s20, -1
	s_mov_b32 s19, exec_lo
	ds_cmpstore_rtn_b64 v[5:6], v7, v[15:16], v[5:6]
	s_waitcnt lgkmcnt(0)
	v_cmpx_eq_u64_e64 s[28:29], v[5:6]
	s_cbranch_execz .LBB152_176
; %bb.171:                              ;   in Loop: Header=BB152_166 Depth=2
	v_mul_lo_u32 v5, v21, 56
	s_mov_b32 s20, 0
	s_delay_alu instid0(VALU_DEP_1)
	v_add_nc_u32_e32 v7, v7, v5
	ds_load_b64 v[5:6], v7 offset:2096
.LBB152_172:                            ;   Parent Loop BB152_104 Depth=1
                                        ;     Parent Loop BB152_166 Depth=2
                                        ; =>    This Inner Loop Header: Depth=3
	s_waitcnt lgkmcnt(0)
	v_add_f64 v[8:9], v[5:6], v[3:4]
	ds_cmpstore_rtn_b64 v[8:9], v7, v[8:9], v[5:6] offset:2096
	s_waitcnt lgkmcnt(0)
	v_cmp_eq_u64_e32 vcc_lo, v[8:9], v[5:6]
	v_dual_mov_b32 v5, v8 :: v_dual_mov_b32 v6, v9
	s_or_b32 s20, vcc_lo, s20
	s_delay_alu instid0(SALU_CYCLE_1)
	s_and_not1_b32 exec_lo, exec_lo, s20
	s_cbranch_execnz .LBB152_172
; %bb.173:                              ;   in Loop: Header=BB152_166 Depth=2
	s_or_b32 exec_lo, exec_lo, s20
	ds_load_b64 v[5:6], v7 offset:2104
	s_mov_b32 s20, 0
.LBB152_174:                            ;   Parent Loop BB152_104 Depth=1
                                        ;     Parent Loop BB152_166 Depth=2
                                        ; =>    This Inner Loop Header: Depth=3
	s_waitcnt lgkmcnt(0)
	v_add_f64 v[8:9], v[5:6], v[1:2]
	ds_cmpstore_rtn_b64 v[8:9], v7, v[8:9], v[5:6] offset:2104
	s_waitcnt lgkmcnt(0)
	v_cmp_eq_u64_e32 vcc_lo, v[8:9], v[5:6]
	v_dual_mov_b32 v5, v8 :: v_dual_mov_b32 v6, v9
	s_or_b32 s20, vcc_lo, s20
	s_delay_alu instid0(SALU_CYCLE_1)
	s_and_not1_b32 exec_lo, exec_lo, s20
	s_cbranch_execnz .LBB152_174
; %bb.175:                              ;   in Loop: Header=BB152_166 Depth=2
	s_or_b32 exec_lo, exec_lo, s20
	s_delay_alu instid0(SALU_CYCLE_1)
	s_xor_b32 s20, exec_lo, -1
.LBB152_176:                            ;   in Loop: Header=BB152_166 Depth=2
	s_or_b32 exec_lo, exec_lo, s19
	s_delay_alu instid0(SALU_CYCLE_1) | instskip(SKIP_1) | instid1(SALU_CYCLE_1)
	s_and_not1_b32 s17, s17, exec_lo
	s_and_b32 s19, s20, exec_lo
	s_or_b32 s17, s17, s19
.LBB152_177:                            ;   in Loop: Header=BB152_166 Depth=2
	s_or_b32 exec_lo, exec_lo, s18
	s_delay_alu instid0(SALU_CYCLE_1)
	s_and_b32 s17, s17, exec_lo
                                        ; implicit-def: $vgpr7
.LBB152_178:                            ;   in Loop: Header=BB152_166 Depth=2
	s_and_not1_saveexec_b32 s16, s16
	s_cbranch_execz .LBB152_165
; %bb.179:                              ;   in Loop: Header=BB152_166 Depth=2
	v_mul_lo_u32 v5, v21, 56
	s_mov_b32 s18, 0
	s_delay_alu instid0(VALU_DEP_1)
	v_add_nc_u32_e32 v7, v7, v5
	ds_load_b64 v[5:6], v7 offset:2096
.LBB152_180:                            ;   Parent Loop BB152_104 Depth=1
                                        ;     Parent Loop BB152_166 Depth=2
                                        ; =>    This Inner Loop Header: Depth=3
	s_waitcnt lgkmcnt(0)
	v_add_f64 v[8:9], v[5:6], v[3:4]
	ds_cmpstore_rtn_b64 v[8:9], v7, v[8:9], v[5:6] offset:2096
	s_waitcnt lgkmcnt(0)
	v_cmp_eq_u64_e32 vcc_lo, v[8:9], v[5:6]
	v_dual_mov_b32 v5, v8 :: v_dual_mov_b32 v6, v9
	s_or_b32 s18, vcc_lo, s18
	s_delay_alu instid0(SALU_CYCLE_1)
	s_and_not1_b32 exec_lo, exec_lo, s18
	s_cbranch_execnz .LBB152_180
; %bb.181:                              ;   in Loop: Header=BB152_166 Depth=2
	s_or_b32 exec_lo, exec_lo, s18
	ds_load_b64 v[5:6], v7 offset:2104
	s_mov_b32 s18, 0
.LBB152_182:                            ;   Parent Loop BB152_104 Depth=1
                                        ;     Parent Loop BB152_166 Depth=2
                                        ; =>    This Inner Loop Header: Depth=3
	s_waitcnt lgkmcnt(0)
	v_add_f64 v[8:9], v[5:6], v[1:2]
	ds_cmpstore_rtn_b64 v[8:9], v7, v[8:9], v[5:6] offset:2104
	s_waitcnt lgkmcnt(0)
	v_cmp_eq_u64_e32 vcc_lo, v[8:9], v[5:6]
	v_dual_mov_b32 v5, v8 :: v_dual_mov_b32 v6, v9
	s_or_b32 s18, vcc_lo, s18
	s_delay_alu instid0(SALU_CYCLE_1)
	s_and_not1_b32 exec_lo, exec_lo, s18
	s_cbranch_execnz .LBB152_182
; %bb.183:                              ;   in Loop: Header=BB152_166 Depth=2
	s_or_b32 exec_lo, exec_lo, s18
	s_delay_alu instid0(SALU_CYCLE_1)
	s_and_not1_b32 s17, s17, exec_lo
	s_branch .LBB152_165
.LBB152_184:
	s_or_b32 exec_lo, exec_lo, s5
.LBB152_185:
	s_barrier
	buffer_gl0_inv
	s_and_saveexec_b32 s0, s2
	s_cbranch_execz .LBB152_190
; %bb.186:
	ds_load_b64 v[1:2], v57
	s_mov_b32 s1, 0
	s_waitcnt lgkmcnt(0)
	v_cmp_gt_i64_e32 vcc_lo, s[28:29], v[1:2]
	s_and_b32 exec_lo, exec_lo, vcc_lo
	s_cbranch_execz .LBB152_190
; %bb.187:
	s_lshl_b64 s[4:5], s[34:35], 3
	s_delay_alu instid0(SALU_CYCLE_1)
	s_add_u32 s4, s10, s4
	s_addc_u32 s5, s11, s5
	s_load_b64 s[4:5], s[4:5], 0x0
	s_waitcnt lgkmcnt(0)
	s_sub_u32 s4, s4, s22
	s_subb_u32 s5, s5, 0
	s_delay_alu instid0(SALU_CYCLE_1)
	v_dual_mov_b32 v3, s4 :: v_dual_mov_b32 v4, s5
.LBB152_188:                            ; =>This Inner Loop Header: Depth=1
	s_add_i32 s0, s1, 0
	s_addk_i32 s1, 0x80
	v_mov_b32_e32 v33, s0
	s_cmpk_lg_i32 s1, 0x800
	ds_load_2addr_b64 v[5:8], v33 offset1:1
	ds_load_2addr_b64 v[9:12], v33 offset0:2 offset1:3
	ds_load_2addr_b64 v[13:16], v33 offset0:4 offset1:5
	;; [unrolled: 1-line block ×7, first 2 shown]
	s_waitcnt lgkmcnt(7)
	v_cmp_gt_i64_e32 vcc_lo, v[1:2], v[5:6]
	v_cndmask_b32_e64 v5, 0, 1, vcc_lo
	v_cmp_gt_i64_e32 vcc_lo, v[1:2], v[7:8]
	v_cndmask_b32_e64 v6, 0, 1, vcc_lo
	s_waitcnt lgkmcnt(6)
	v_cmp_gt_i64_e32 vcc_lo, v[1:2], v[9:10]
	v_cndmask_b32_e64 v7, 0, 1, vcc_lo
	v_cmp_gt_i64_e32 vcc_lo, v[1:2], v[11:12]
	v_cndmask_b32_e64 v8, 0, 1, vcc_lo
	;; [unrolled: 5-line block ×4, first 2 shown]
	s_waitcnt lgkmcnt(3)
	v_cmp_gt_i64_e32 vcc_lo, v[1:2], v[21:22]
	v_cndmask_b32_e64 v13, 0, 1, vcc_lo
	v_add_co_u32 v3, vcc_lo, v3, v5
	v_add_co_ci_u32_e32 v4, vcc_lo, 0, v4, vcc_lo
	v_cmp_gt_i64_e32 vcc_lo, v[1:2], v[23:24]
	s_delay_alu instid0(VALU_DEP_3) | instskip(NEXT) | instid1(VALU_DEP_1)
	v_add_co_u32 v3, s0, v3, v6
	v_add_co_ci_u32_e64 v4, s0, 0, v4, s0
	v_cndmask_b32_e64 v5, 0, 1, vcc_lo
	s_delay_alu instid0(VALU_DEP_3) | instskip(NEXT) | instid1(VALU_DEP_3)
	v_add_co_u32 v3, vcc_lo, v3, v7
	v_add_co_ci_u32_e32 v4, vcc_lo, 0, v4, vcc_lo
	s_waitcnt lgkmcnt(2)
	v_cmp_gt_i64_e32 vcc_lo, v[1:2], v[25:26]
	s_delay_alu instid0(VALU_DEP_3) | instskip(NEXT) | instid1(VALU_DEP_1)
	v_add_co_u32 v3, s0, v3, v8
	v_add_co_ci_u32_e64 v4, s0, 0, v4, s0
	v_cndmask_b32_e64 v6, 0, 1, vcc_lo
	s_delay_alu instid0(VALU_DEP_3) | instskip(NEXT) | instid1(VALU_DEP_3)
	v_add_co_u32 v3, vcc_lo, v3, v9
	v_add_co_ci_u32_e32 v4, vcc_lo, 0, v4, vcc_lo
	v_cmp_gt_i64_e32 vcc_lo, v[1:2], v[27:28]
	s_delay_alu instid0(VALU_DEP_3) | instskip(NEXT) | instid1(VALU_DEP_1)
	v_add_co_u32 v3, s0, v3, v10
	v_add_co_ci_u32_e64 v4, s0, 0, v4, s0
	v_cndmask_b32_e64 v7, 0, 1, vcc_lo
	s_delay_alu instid0(VALU_DEP_3) | instskip(NEXT) | instid1(VALU_DEP_3)
	v_add_co_u32 v3, vcc_lo, v3, v11
	v_add_co_ci_u32_e32 v4, vcc_lo, 0, v4, vcc_lo
	s_waitcnt lgkmcnt(1)
	v_cmp_gt_i64_e32 vcc_lo, v[1:2], v[29:30]
	s_delay_alu instid0(VALU_DEP_3) | instskip(NEXT) | instid1(VALU_DEP_1)
	v_add_co_u32 v3, s0, v3, v12
	v_add_co_ci_u32_e64 v4, s0, 0, v4, s0
	v_cndmask_b32_e64 v8, 0, 1, vcc_lo
	s_delay_alu instid0(VALU_DEP_3) | instskip(NEXT) | instid1(VALU_DEP_3)
	;; [unrolled: 17-line block ×3, first 2 shown]
	v_add_co_u32 v3, vcc_lo, v3, v8
	v_add_co_ci_u32_e32 v4, vcc_lo, 0, v4, vcc_lo
	v_cmp_gt_i64_e32 vcc_lo, v[1:2], v[35:36]
	s_delay_alu instid0(VALU_DEP_3) | instskip(NEXT) | instid1(VALU_DEP_1)
	v_add_co_u32 v3, s0, v3, v5
	v_add_co_ci_u32_e64 v4, s0, 0, v4, s0
	v_cndmask_b32_e64 v5, 0, 1, vcc_lo
	s_delay_alu instid0(VALU_DEP_3) | instskip(NEXT) | instid1(VALU_DEP_3)
	v_add_co_u32 v3, vcc_lo, v3, v6
	v_add_co_ci_u32_e32 v4, vcc_lo, 0, v4, vcc_lo
	s_delay_alu instid0(VALU_DEP_2) | instskip(NEXT) | instid1(VALU_DEP_2)
	v_add_co_u32 v3, vcc_lo, v3, v5
	v_add_co_ci_u32_e32 v4, vcc_lo, 0, v4, vcc_lo
	s_cbranch_scc1 .LBB152_188
; %bb.189:
	v_lshlrev_b32_e32 v5, 2, v0
	s_cmp_eq_u32 s3, 0
	v_lshlrev_b32_e32 v0, 6, v0
	s_cselect_b32 s0, 1, 2
	s_cselect_b32 s1, 2, 1
	v_or_b32_e32 v6, s0, v5
	v_or_b32_e32 v5, s1, v5
	v_add3_u32 v7, 0, v0, 0x800
	v_add3_u32 v0, 0, 0x800, v0
	v_lshlrev_b64 v[21:22], 3, v[3:4]
	v_lshlrev_b32_e32 v6, 4, v6
	v_lshlrev_b32_e32 v5, 4, v5
	s_delay_alu instid0(VALU_DEP_2) | instskip(NEXT) | instid1(VALU_DEP_2)
	v_add3_u32 v13, 0, v6, 0x800
	v_add3_u32 v17, 0, v5, 0x800
	ds_load_2addr_b64 v[5:8], v7 offset1:1
	ds_load_2addr_b64 v[9:12], v0 offset0:6 offset1:7
	ds_load_2addr_b64 v[13:16], v13 offset1:1
	ds_load_2addr_b64 v[17:20], v17 offset1:1
	v_add_co_u32 v0, vcc_lo, v1, s22
	v_add_co_ci_u32_e32 v1, vcc_lo, 0, v2, vcc_lo
	v_lshlrev_b64 v[2:3], 6, v[3:4]
	v_add_co_u32 v21, vcc_lo, s24, v21
	v_add_co_ci_u32_e32 v22, vcc_lo, s25, v22, vcc_lo
	s_delay_alu instid0(VALU_DEP_3) | instskip(NEXT) | instid1(VALU_DEP_4)
	v_add_co_u32 v2, vcc_lo, s26, v2
	v_add_co_ci_u32_e32 v3, vcc_lo, s27, v3, vcc_lo
	global_store_b64 v[21:22], v[0:1], off
	s_waitcnt lgkmcnt(3)
	global_store_b128 v[2:3], v[5:8], off
	s_waitcnt lgkmcnt(1)
	global_store_b128 v[2:3], v[13:16], off offset:16
	s_waitcnt lgkmcnt(0)
	s_clause 0x1
	global_store_b128 v[2:3], v[17:20], off offset:32
	global_store_b128 v[2:3], v[9:12], off offset:48
.LBB152_190:
	s_nop 0
	s_sendmsg sendmsg(MSG_DEALLOC_VGPRS)
	s_endpgm
	.section	.rodata,"a",@progbits
	.p2align	6, 0x0
	.amdhsa_kernel _ZN9rocsparseL30bsrgemm_fill_block_per_row_2x2ILj256ELj16ELj256ELj137Ell21rocsparse_complex_numIdEEEv20rocsparse_direction_T4_S4_PKS4_S6_NS_24const_host_device_scalarIT5_EEPKT3_S6_PKS8_SC_S6_SE_S9_SC_S6_SE_SC_PS4_PS8_21rocsparse_index_base_SH_SH_SH_bbb
		.amdhsa_group_segment_fixed_size 0
		.amdhsa_private_segment_fixed_size 24
		.amdhsa_kernarg_size 188
		.amdhsa_user_sgpr_count 15
		.amdhsa_user_sgpr_dispatch_ptr 0
		.amdhsa_user_sgpr_queue_ptr 0
		.amdhsa_user_sgpr_kernarg_segment_ptr 1
		.amdhsa_user_sgpr_dispatch_id 0
		.amdhsa_user_sgpr_private_segment_size 0
		.amdhsa_wavefront_size32 1
		.amdhsa_uses_dynamic_stack 0
		.amdhsa_enable_private_segment 1
		.amdhsa_system_sgpr_workgroup_id_x 1
		.amdhsa_system_sgpr_workgroup_id_y 0
		.amdhsa_system_sgpr_workgroup_id_z 0
		.amdhsa_system_sgpr_workgroup_info 0
		.amdhsa_system_vgpr_workitem_id 0
		.amdhsa_next_free_vgpr 63
		.amdhsa_next_free_sgpr 48
		.amdhsa_reserve_vcc 1
		.amdhsa_float_round_mode_32 0
		.amdhsa_float_round_mode_16_64 0
		.amdhsa_float_denorm_mode_32 3
		.amdhsa_float_denorm_mode_16_64 3
		.amdhsa_dx10_clamp 1
		.amdhsa_ieee_mode 1
		.amdhsa_fp16_overflow 0
		.amdhsa_workgroup_processor_mode 1
		.amdhsa_memory_ordered 1
		.amdhsa_forward_progress 0
		.amdhsa_shared_vgpr_count 0
		.amdhsa_exception_fp_ieee_invalid_op 0
		.amdhsa_exception_fp_denorm_src 0
		.amdhsa_exception_fp_ieee_div_zero 0
		.amdhsa_exception_fp_ieee_overflow 0
		.amdhsa_exception_fp_ieee_underflow 0
		.amdhsa_exception_fp_ieee_inexact 0
		.amdhsa_exception_int_div_zero 0
	.end_amdhsa_kernel
	.section	.text._ZN9rocsparseL30bsrgemm_fill_block_per_row_2x2ILj256ELj16ELj256ELj137Ell21rocsparse_complex_numIdEEEv20rocsparse_direction_T4_S4_PKS4_S6_NS_24const_host_device_scalarIT5_EEPKT3_S6_PKS8_SC_S6_SE_S9_SC_S6_SE_SC_PS4_PS8_21rocsparse_index_base_SH_SH_SH_bbb,"axG",@progbits,_ZN9rocsparseL30bsrgemm_fill_block_per_row_2x2ILj256ELj16ELj256ELj137Ell21rocsparse_complex_numIdEEEv20rocsparse_direction_T4_S4_PKS4_S6_NS_24const_host_device_scalarIT5_EEPKT3_S6_PKS8_SC_S6_SE_S9_SC_S6_SE_SC_PS4_PS8_21rocsparse_index_base_SH_SH_SH_bbb,comdat
.Lfunc_end152:
	.size	_ZN9rocsparseL30bsrgemm_fill_block_per_row_2x2ILj256ELj16ELj256ELj137Ell21rocsparse_complex_numIdEEEv20rocsparse_direction_T4_S4_PKS4_S6_NS_24const_host_device_scalarIT5_EEPKT3_S6_PKS8_SC_S6_SE_S9_SC_S6_SE_SC_PS4_PS8_21rocsparse_index_base_SH_SH_SH_bbb, .Lfunc_end152-_ZN9rocsparseL30bsrgemm_fill_block_per_row_2x2ILj256ELj16ELj256ELj137Ell21rocsparse_complex_numIdEEEv20rocsparse_direction_T4_S4_PKS4_S6_NS_24const_host_device_scalarIT5_EEPKT3_S6_PKS8_SC_S6_SE_S9_SC_S6_SE_SC_PS4_PS8_21rocsparse_index_base_SH_SH_SH_bbb
                                        ; -- End function
	.section	.AMDGPU.csdata,"",@progbits
; Kernel info:
; codeLenInByte = 7592
; NumSgprs: 50
; NumVgprs: 63
; ScratchSize: 24
; MemoryBound: 0
; FloatMode: 240
; IeeeMode: 1
; LDSByteSize: 0 bytes/workgroup (compile time only)
; SGPRBlocks: 6
; VGPRBlocks: 7
; NumSGPRsForWavesPerEU: 50
; NumVGPRsForWavesPerEU: 63
; Occupancy: 16
; WaveLimiterHint : 1
; COMPUTE_PGM_RSRC2:SCRATCH_EN: 1
; COMPUTE_PGM_RSRC2:USER_SGPR: 15
; COMPUTE_PGM_RSRC2:TRAP_HANDLER: 0
; COMPUTE_PGM_RSRC2:TGID_X_EN: 1
; COMPUTE_PGM_RSRC2:TGID_Y_EN: 0
; COMPUTE_PGM_RSRC2:TGID_Z_EN: 0
; COMPUTE_PGM_RSRC2:TIDIG_COMP_CNT: 0
	.section	.text._ZN9rocsparseL38bsrgemm_block_per_row_atomic_multipassILj256ELj256ELj2Ell21rocsparse_complex_numIdEEEv20rocsparse_direction_T3_S4_PKS4_S6_NS_24const_host_device_scalarIT4_EEPKT2_S6_PKS8_SC_S6_SE_S9_SC_S6_SE_SC_PS4_PS8_PSA_21rocsparse_index_base_SI_SI_SI_bbb,"axG",@progbits,_ZN9rocsparseL38bsrgemm_block_per_row_atomic_multipassILj256ELj256ELj2Ell21rocsparse_complex_numIdEEEv20rocsparse_direction_T3_S4_PKS4_S6_NS_24const_host_device_scalarIT4_EEPKT2_S6_PKS8_SC_S6_SE_S9_SC_S6_SE_SC_PS4_PS8_PSA_21rocsparse_index_base_SI_SI_SI_bbb,comdat
	.globl	_ZN9rocsparseL38bsrgemm_block_per_row_atomic_multipassILj256ELj256ELj2Ell21rocsparse_complex_numIdEEEv20rocsparse_direction_T3_S4_PKS4_S6_NS_24const_host_device_scalarIT4_EEPKT2_S6_PKS8_SC_S6_SE_S9_SC_S6_SE_SC_PS4_PS8_PSA_21rocsparse_index_base_SI_SI_SI_bbb ; -- Begin function _ZN9rocsparseL38bsrgemm_block_per_row_atomic_multipassILj256ELj256ELj2Ell21rocsparse_complex_numIdEEEv20rocsparse_direction_T3_S4_PKS4_S6_NS_24const_host_device_scalarIT4_EEPKT2_S6_PKS8_SC_S6_SE_S9_SC_S6_SE_SC_PS4_PS8_PSA_21rocsparse_index_base_SI_SI_SI_bbb
	.p2align	8
	.type	_ZN9rocsparseL38bsrgemm_block_per_row_atomic_multipassILj256ELj256ELj2Ell21rocsparse_complex_numIdEEEv20rocsparse_direction_T3_S4_PKS4_S6_NS_24const_host_device_scalarIT4_EEPKT2_S6_PKS8_SC_S6_SE_S9_SC_S6_SE_SC_PS4_PS8_PSA_21rocsparse_index_base_SI_SI_SI_bbb,@function
_ZN9rocsparseL38bsrgemm_block_per_row_atomic_multipassILj256ELj256ELj2Ell21rocsparse_complex_numIdEEEv20rocsparse_direction_T3_S4_PKS4_S6_NS_24const_host_device_scalarIT4_EEPKT2_S6_PKS8_SC_S6_SE_S9_SC_S6_SE_SC_PS4_PS8_PSA_21rocsparse_index_base_SI_SI_SI_bbb: ; @_ZN9rocsparseL38bsrgemm_block_per_row_atomic_multipassILj256ELj256ELj2Ell21rocsparse_complex_numIdEEEv20rocsparse_direction_T3_S4_PKS4_S6_NS_24const_host_device_scalarIT4_EEPKT2_S6_PKS8_SC_S6_SE_S9_SC_S6_SE_SC_PS4_PS8_PSA_21rocsparse_index_base_SI_SI_SI_bbb
; %bb.0:
	s_clause 0x3
	s_load_b32 s12, s[0:1], 0xc0
	s_load_b128 s[8:11], s[0:1], 0x28
	s_load_b128 s[4:7], s[0:1], 0x68
	;; [unrolled: 1-line block ×3, first 2 shown]
	v_mov_b32_e32 v10, 0
	v_mov_b32_e32 v11, 0
	s_mov_b32 s48, s15
	s_waitcnt lgkmcnt(0)
	s_bitcmp1_b32 s12, 0
	v_dual_mov_b32 v1, s8 :: v_dual_mov_b32 v2, s9
	s_cselect_b32 s55, -1, 0
	s_bitcmp1_b32 s12, 16
	v_dual_mov_b32 v8, v10 :: v_dual_mov_b32 v9, v11
	s_cselect_b32 s2, -1, 0
	v_dual_mov_b32 v13, v11 :: v_dual_mov_b32 v12, v10
	s_xor_b32 s3, s2, -1
	v_dual_mov_b32 v3, s4 :: v_dual_mov_b32 v4, s5
	v_cndmask_b32_e64 v5, 0, 1, s3
	s_bitcmp0_b32 s12, 0
	s_clause 0x1
	scratch_store_b64 off, v[1:2], off
	scratch_store_b64 off, v[3:4], off offset:8
	v_cmp_ne_u32_e32 vcc_lo, 1, v5
	s_cbranch_scc1 .LBB153_3
; %bb.1:
	s_mov_b64 s[14:15], src_private_base
	s_and_b32 s13, s2, exec_lo
	s_cselect_b32 s13, s15, s9
	s_delay_alu instid0(SALU_CYCLE_1) | instskip(SKIP_2) | instid1(VALU_DEP_2)
	v_dual_mov_b32 v1, 0 :: v_dual_mov_b32 v2, s13
	v_dual_mov_b32 v13, s11 :: v_dual_mov_b32 v12, s10
	s_and_b32 vcc_lo, exec_lo, vcc_lo
	v_cndmask_b32_e64 v1, s8, v1, s2
	flat_load_b64 v[8:9], v[1:2]
	s_cbranch_vccnz .LBB153_3
; %bb.2:
	v_dual_mov_b32 v1, s8 :: v_dual_mov_b32 v2, s9
	flat_load_b64 v[12:13], v[1:2] offset:8
.LBB153_3:
	s_load_b64 s[8:9], s[0:1], 0x20
	s_bitcmp1_b32 s12, 8
	v_dual_mov_b32 v15, v11 :: v_dual_mov_b32 v14, v10
	s_cselect_b32 s33, -1, 0
	s_bfe_u32 s10, s12, 0x10008
	s_delay_alu instid0(SALU_CYCLE_1)
	s_cmp_eq_u32 s10, 0
	s_cbranch_scc1 .LBB153_6
; %bb.4:
	s_mov_b64 s[10:11], src_private_base
	s_and_b32 s10, s2, exec_lo
	s_cselect_b32 s10, s11, s5
	s_delay_alu instid0(SALU_CYCLE_1) | instskip(SKIP_2) | instid1(VALU_DEP_2)
	v_dual_mov_b32 v1, 8 :: v_dual_mov_b32 v2, s10
	v_dual_mov_b32 v11, s7 :: v_dual_mov_b32 v10, s6
	s_and_not1_b32 vcc_lo, exec_lo, s3
	v_cndmask_b32_e64 v1, s4, v1, s2
	flat_load_b64 v[14:15], v[1:2]
	s_cbranch_vccnz .LBB153_6
; %bb.5:
	v_dual_mov_b32 v1, s4 :: v_dual_mov_b32 v2, s5
	flat_load_b64 v[10:11], v[1:2] offset:8
.LBB153_6:
	s_load_b64 s[2:3], s[0:1], 0x38
	s_waitcnt lgkmcnt(0)
	s_cmp_eq_u64 s[8:9], 0
	s_mov_b32 s49, 0
	s_cbranch_scc1 .LBB153_8
; %bb.7:
	s_load_b64 s[4:5], s[0:1], 0x18
	s_waitcnt lgkmcnt(0)
	s_load_b64 s[4:5], s[4:5], 0x0
	s_waitcnt lgkmcnt(0)
	s_lshl_b64 s[4:5], s[4:5], 3
	s_delay_alu instid0(SALU_CYCLE_1) | instskip(SKIP_2) | instid1(SALU_CYCLE_1)
	s_add_u32 s6, s8, s4
	s_addc_u32 s7, s9, s5
	s_lshl_b64 s[4:5], s[48:49], 3
	s_add_u32 s4, s6, s4
	s_addc_u32 s5, s7, s5
	s_load_b64 s[48:49], s[4:5], 0x0
.LBB153_8:
	s_mov_b64 s[34:35], 0
	s_and_not1_b32 vcc_lo, exec_lo, s55
	s_mov_b64 s[44:45], 0
	s_cbranch_vccz .LBB153_11
; %bb.9:
	s_and_not1_b32 vcc_lo, exec_lo, s55
	s_cbranch_vccz .LBB153_12
.LBB153_10:
	s_load_b128 s[36:39], s[0:1], 0x8
	s_waitcnt lgkmcnt(0)
	v_cmp_lt_i64_e64 s2, s[36:37], 1
	s_delay_alu instid0(VALU_DEP_1)
	s_and_b32 vcc_lo, exec_lo, s2
	s_cbranch_vccz .LBB153_13
	s_branch .LBB153_105
.LBB153_11:
	s_waitcnt lgkmcnt(0)
	s_lshl_b64 s[4:5], s[48:49], 3
	s_delay_alu instid0(SALU_CYCLE_1)
	s_add_u32 s4, s2, s4
	s_addc_u32 s5, s3, s5
	s_load_b64 s[4:5], s[4:5], 0x0
	s_waitcnt lgkmcnt(0)
	s_sub_u32 s44, s4, s28
	s_subb_u32 s45, s5, 0
	s_and_not1_b32 vcc_lo, exec_lo, s55
	s_cbranch_vccnz .LBB153_10
.LBB153_12:
	s_waitcnt lgkmcnt(0)
	s_lshl_b64 s[4:5], s[48:49], 3
	s_delay_alu instid0(SALU_CYCLE_1)
	s_add_u32 s2, s2, s4
	s_addc_u32 s3, s3, s5
	s_load_b64 s[2:3], s[2:3], 0x8
	s_waitcnt lgkmcnt(0)
	s_sub_u32 s34, s2, s28
	s_subb_u32 s35, s3, 0
	s_load_b128 s[36:39], s[0:1], 0x8
	s_waitcnt lgkmcnt(0)
	v_cmp_lt_i64_e64 s2, s[36:37], 1
	s_delay_alu instid0(VALU_DEP_1)
	s_and_b32 vcc_lo, exec_lo, s2
	s_cbranch_vccnz .LBB153_105
.LBB153_13:
	s_clause 0x4
	s_load_b256 s[12:19], s[0:1], 0x78
	s_load_b64 s[46:47], s[0:1], 0xa8
	s_load_b128 s[40:43], s[0:1], 0x98
	s_load_b64 s[50:51], s[0:1], 0x60
	s_load_b256 s[20:27], s[0:1], 0x40
	v_bfe_u32 v1, v0, 1, 1
	s_lshl_b64 s[6:7], s[48:49], 3
	v_dual_mov_b32 v17, 0 :: v_dual_and_b32 v18, 1, v0
	v_lshlrev_b32_e32 v48, 4, v0
	s_delay_alu instid0(VALU_DEP_3) | instskip(SKIP_1) | instid1(VALU_DEP_4)
	v_mad_u64_u32 v[3:4], null, v1, s38, 0
	v_and_b32_e32 v7, 3, v0
	v_mul_lo_u32 v6, v18, s39
	v_dual_mov_b32 v19, v17 :: v_dual_lshlrev_b32 v20, 4, v18
	v_mov_b32_e32 v21, v17
	s_load_b32 s8, s[0:1], 0x0
	v_mov_b32_e32 v2, v4
	v_lshrrev_b32_e32 v16, 2, v0
	s_waitcnt lgkmcnt(0)
	s_add_u32 s2, s18, s6
	s_addc_u32 s3, s19, s7
	v_and_b32_e32 v51, 2, v0
	s_load_b64 s[4:5], s[2:3], 0x0
	v_mad_u64_u32 v[4:5], null, v1, s39, v[2:3]
	v_mul_lo_u32 v5, v18, s38
	v_mov_b32_e32 v2, v17
	v_cmp_gt_i64_e64 s3, s[38:39], v[18:19]
	s_mul_i32 s10, s38, s39
	s_mul_hi_u32 s11, s38, s38
	v_cmp_lt_i64_e64 s9, s[44:45], s[34:35]
	v_lshlrev_b64 v[3:4], 4, v[3:4]
	v_cmp_gt_i64_e64 s2, s[38:39], v[1:2]
	v_lshlrev_b64 v[5:6], 4, v[5:6]
	v_cmp_gt_u64_e32 vcc_lo, s[38:39], v[1:2]
	v_cmp_gt_u32_e64 s0, 0x100, v0
	v_cmp_eq_u32_e64 s1, 0, v0
	v_or_b32_e32 v67, 0xffffff00, v0
	v_mov_b32_e32 v28, 0x100
	v_or_b32_e32 v49, 0x4000, v48
	v_mov_b32_e32 v72, 1
	s_mul_i32 s18, s38, s38
	s_waitcnt lgkmcnt(0)
	s_sub_u32 s48, s4, s30
	v_add_co_u32 v19, s4, s22, v3
	s_delay_alu instid0(VALU_DEP_1) | instskip(SKIP_1) | instid1(VALU_DEP_2)
	v_add_co_ci_u32_e64 v22, s4, s23, v4, s4
	s_subb_u32 s49, s5, 0
	v_add_co_u32 v19, s4, v19, v20
	s_delay_alu instid0(VALU_DEP_1) | instskip(SKIP_3) | instid1(VALU_DEP_1)
	v_add_co_ci_u32_e64 v50, s4, 0, v22, s4
	s_and_b32 s52, s3, s2
	v_lshlrev_b64 v[22:23], 4, v[1:2]
	v_add_co_u32 v2, s2, s42, v5
	v_add_co_ci_u32_e64 v24, s2, s43, v6, s2
	v_add_co_u32 v25, s2, s42, v3
	s_delay_alu instid0(VALU_DEP_1) | instskip(NEXT) | instid1(VALU_DEP_4)
	v_add_co_ci_u32_e64 v26, s2, s43, v4, s2
	v_add_co_u32 v2, s2, v2, v22
	s_delay_alu instid0(VALU_DEP_1) | instskip(NEXT) | instid1(VALU_DEP_4)
	v_add_co_ci_u32_e64 v24, s2, v24, v23, s2
	v_add_co_u32 v25, s2, v25, v20
	s_delay_alu instid0(VALU_DEP_1) | instskip(SKIP_1) | instid1(VALU_DEP_1)
	v_add_co_ci_u32_e64 v26, s2, 0, v26, s2
	v_add_co_u32 v5, s2, s16, v5
	v_add_co_ci_u32_e64 v6, s2, s17, v6, s2
	v_sub_co_u32 v52, s2, v16, s31
	s_add_i32 s5, s11, s10
	v_sub_co_ci_u32_e64 v53, null, 0, 0, s2
	v_add_co_u32 v5, s2, v5, v22
	s_add_i32 s19, s5, s10
	s_cmp_eq_u32 s8, 0
	v_add_co_ci_u32_e64 v6, s2, v6, v23, s2
	v_lshlrev_b32_e32 v1, 4, v1
	v_add_co_u32 v3, s2, s16, v3
	s_cselect_b32 s11, -1, 0
	s_cmp_lg_u32 s8, 0
	v_add_co_ci_u32_e64 v4, s2, s17, v4, s2
	s_cselect_b32 s53, -1, 0
	s_add_u32 s22, s12, s6
	s_addc_u32 s23, s13, s7
	v_lshlrev_b32_e32 v22, 2, v0
	v_add_co_u32 v23, s54, v0, -1
	s_and_b32 s55, s55, s9
	s_and_b32 s56, s3, vcc_lo
	v_cmp_ne_u32_e64 s3, 0, v0
	v_cmp_lt_u32_e64 s4, 1, v0
	v_cmp_lt_u32_e64 s5, 3, v0
	;; [unrolled: 1-line block ×7, first 2 shown]
	v_cndmask_b32_e64 v63, v24, v26, s11
	v_and_b32_e32 v0, 0xfc, v0
	v_mov_b32_e32 v26, 0
	v_mov_b32_e32 v27, 0
	v_lshl_or_b32 v1, v16, 6, v1
	v_add_co_u32 v3, s2, v3, v20
	s_add_u32 s57, s24, 8
	v_add_co_ci_u32_e64 v4, s2, 0, v4, s2
	s_addc_u32 s58, s25, 0
	s_add_u32 s59, s40, -8
	s_addc_u32 s60, s41, -1
	v_add_nc_u32_e32 v68, 0x4000, v1
	v_or3_b32 v1, v0, v51, v18
	s_add_u32 s16, s50, 8
	v_or_b32_e32 v54, 0x5000, v22
	v_dual_mov_b32 v29, 0 :: v_dual_add_nc_u32 v56, 0x4ff8, v22
	v_add_nc_u32_e32 v57, 0x4ff0, v22
	v_add_nc_u32_e32 v58, 0x4fe0, v22
	;; [unrolled: 1-line block ×6, first 2 shown]
	v_cndmask_b32_e64 v64, v2, v25, s11
	v_cndmask_b32_e64 v65, v6, v4, s11
	;; [unrolled: 1-line block ×3, first 2 shown]
	v_mov_b32_e32 v3, v17
	s_addc_u32 s17, s51, 0
	s_movk_i32 s11, 0xfe0
	v_add_co_u32 v22, s12, s16, v20
	v_mov_b32_e32 v24, s48
	v_cmp_eq_u32_e64 s2, 3, v7
	v_lshl_add_u32 v55, v23, 2, 0x5000
	v_add_co_ci_u32_e64 v23, null, s17, 0, s12
	v_and_or_b32 v69, v48, s11, 0x4000
	v_lshlrev_b32_e32 v70, 4, v1
	v_or_b32_e32 v71, 0x5000, v0
	v_dual_mov_b32 v25, s49 :: v_dual_mov_b32 v0, v17
	v_mov_b32_e32 v1, v17
	v_mov_b32_e32 v2, v17
	s_lshl_b64 s[40:41], s[38:39], 4
	s_lshl_b64 s[42:43], s[18:19], 4
	s_branch .LBB153_15
.LBB153_14:                             ;   in Loop: Header=BB153_15 Depth=1
	s_or_b32 exec_lo, exec_lo, s11
	s_waitcnt_vscnt null, 0x0
	s_barrier
	buffer_gl0_inv
	ds_load_b64 v[26:27], v17 offset:21504
	v_ashrrev_i32_e32 v4, 31, v6
	v_add_co_u32 v24, vcc_lo, v24, v6
	s_waitcnt lgkmcnt(0)
	s_barrier
	s_delay_alu instid0(VALU_DEP_2) | instskip(SKIP_3) | instid1(VALU_DEP_1)
	v_add_co_ci_u32_e32 v25, vcc_lo, v25, v4, vcc_lo
	buffer_gl0_inv
	v_cmp_le_i64_e32 vcc_lo, s[36:37], v[26:27]
	v_add_co_u32 v28, s11, 0x100, v26
	v_add_co_ci_u32_e64 v29, s11, 0, v27, s11
	s_cbranch_vccnz .LBB153_105
.LBB153_15:                             ; =>This Loop Header: Depth=1
                                        ;     Child Loop BB153_18 Depth 2
                                        ;     Child Loop BB153_24 Depth 2
                                        ;       Child Loop BB153_39 Depth 3
                                        ;         Child Loop BB153_51 Depth 4
                                        ;         Child Loop BB153_47 Depth 4
	;; [unrolled: 1-line block ×4, first 2 shown]
                                        ;     Child Loop BB153_65 Depth 2
                                        ;       Child Loop BB153_70 Depth 3
                                        ;       Child Loop BB153_72 Depth 3
                                        ;     Child Loop BB153_77 Depth 2
                                        ;     Child Loop BB153_102 Depth 2
	s_and_saveexec_b32 s11, s0
	s_cbranch_execz .LBB153_17
; %bb.16:                               ;   in Loop: Header=BB153_15 Depth=1
	ds_store_b32 v54, v17
.LBB153_17:                             ;   in Loop: Header=BB153_15 Depth=1
	s_or_b32 exec_lo, exec_lo, s11
	v_dual_mov_b32 v4, v48 :: v_dual_mov_b32 v5, v67
	s_mov_b32 s11, 0
.LBB153_18:                             ;   Parent Loop BB153_15 Depth=1
                                        ; =>  This Inner Loop Header: Depth=2
	s_delay_alu instid0(VALU_DEP_1) | instskip(SKIP_4) | instid1(SALU_CYCLE_1)
	v_add_nc_u32_e32 v5, 0x100, v5
	ds_store_b128 v4, v[0:3]
	v_add_nc_u32_e32 v4, 0x1000, v4
	v_cmp_lt_u32_e32 vcc_lo, 0x2ff, v5
	s_or_b32 s11, vcc_lo, s11
	s_and_not1_b32 exec_lo, exec_lo, s11
	s_cbranch_execnz .LBB153_18
; %bb.19:                               ;   in Loop: Header=BB153_15 Depth=1
	s_or_b32 exec_lo, exec_lo, s11
	s_and_saveexec_b32 s11, s1
	s_cbranch_execz .LBB153_21
; %bb.20:                               ;   in Loop: Header=BB153_15 Depth=1
	v_dual_mov_b32 v4, s36 :: v_dual_mov_b32 v5, s37
	ds_store_b64 v17, v[4:5] offset:21504
.LBB153_21:                             ;   in Loop: Header=BB153_15 Depth=1
	s_or_b32 exec_lo, exec_lo, s11
	v_dual_mov_b32 v30, s36 :: v_dual_mov_b32 v31, s37
	s_and_not1_b32 vcc_lo, exec_lo, s55
	s_waitcnt vmcnt(0) lgkmcnt(0)
	s_waitcnt_vscnt null, 0x0
	s_barrier
	buffer_gl0_inv
	s_cbranch_vccnz .LBB153_60
; %bb.22:                               ;   in Loop: Header=BB153_15 Depth=1
	v_cmp_ne_u64_e64 s11, 0, v[26:27]
	v_dual_mov_b32 v30, s36 :: v_dual_mov_b32 v31, s37
	s_mov_b64 s[48:49], s[44:45]
	s_branch .LBB153_24
.LBB153_23:                             ;   in Loop: Header=BB153_24 Depth=2
	s_or_b32 exec_lo, exec_lo, s13
	s_add_u32 s48, s48, 64
	s_addc_u32 s49, s49, 0
	s_delay_alu instid0(SALU_CYCLE_1) | instskip(NEXT) | instid1(VALU_DEP_1)
	v_cmp_lt_i64_e64 s12, s[48:49], s[34:35]
	s_and_b32 vcc_lo, exec_lo, s12
	s_cbranch_vccz .LBB153_60
.LBB153_24:                             ;   Parent Loop BB153_15 Depth=1
                                        ; =>  This Loop Header: Depth=2
                                        ;       Child Loop BB153_39 Depth 3
                                        ;         Child Loop BB153_51 Depth 4
                                        ;         Child Loop BB153_47 Depth 4
	;; [unrolled: 1-line block ×4, first 2 shown]
	v_add_co_u32 v4, s12, s48, v16
	s_delay_alu instid0(VALU_DEP_1) | instskip(NEXT) | instid1(VALU_DEP_1)
	v_add_co_ci_u32_e64 v5, null, s49, 0, s12
	s_waitcnt_vscnt null, 0x0
	s_barrier
	buffer_gl0_inv
	v_cmp_gt_i64_e64 s12, s[34:35], v[4:5]
	s_delay_alu instid0(VALU_DEP_1)
	s_and_saveexec_b32 s13, s12
	s_cbranch_execz .LBB153_29
; %bb.25:                               ;   in Loop: Header=BB153_24 Depth=2
	s_and_saveexec_b32 s50, s56
	s_delay_alu instid0(SALU_CYCLE_1)
	s_xor_b32 s50, exec_lo, s50
	s_cbranch_execz .LBB153_27
; %bb.26:                               ;   in Loop: Header=BB153_24 Depth=2
	v_mul_lo_u32 v32, v5, s18
	v_mul_lo_u32 v33, v4, s19
	v_mad_u64_u32 v[6:7], null, v4, s18, 0
	s_delay_alu instid0(VALU_DEP_1) | instskip(NEXT) | instid1(VALU_DEP_1)
	v_add3_u32 v7, v7, v33, v32
	v_lshlrev_b64 v[6:7], 4, v[6:7]
	s_delay_alu instid0(VALU_DEP_1) | instskip(NEXT) | instid1(VALU_DEP_2)
	v_add_co_u32 v6, vcc_lo, v19, v6
	v_add_co_ci_u32_e32 v7, vcc_lo, v50, v7, vcc_lo
	global_load_b128 v[32:35], v[6:7], off
	s_waitcnt vmcnt(0)
	ds_store_2addr_b64 v49, v[32:33], v[34:35] offset1:1
.LBB153_27:                             ;   in Loop: Header=BB153_24 Depth=2
	s_and_not1_saveexec_b32 s50, s50
	s_cbranch_execz .LBB153_29
; %bb.28:                               ;   in Loop: Header=BB153_24 Depth=2
	ds_store_b128 v49, v[0:3]
.LBB153_29:                             ;   in Loop: Header=BB153_24 Depth=2
	s_or_b32 exec_lo, exec_lo, s13
	v_mov_b32_e32 v6, 0
	v_lshlrev_b64 v[4:5], 3, v[4:5]
	v_mov_b32_e32 v7, 0
	s_waitcnt lgkmcnt(0)
	s_barrier
	buffer_gl0_inv
	s_and_saveexec_b32 s61, s12
	s_cbranch_execz .LBB153_58
; %bb.30:                               ;   in Loop: Header=BB153_24 Depth=2
	v_add_co_u32 v6, vcc_lo, s20, v4
	v_add_co_ci_u32_e32 v7, vcc_lo, s21, v5, vcc_lo
	s_and_b32 vcc_lo, exec_lo, s11
	global_load_b64 v[32:33], v[6:7], off
	s_cbranch_vccz .LBB153_32
; %bb.31:                               ;   in Loop: Header=BB153_24 Depth=2
	v_add_co_u32 v6, vcc_lo, s46, v4
	v_add_co_ci_u32_e32 v7, vcc_lo, s47, v5, vcc_lo
	s_mov_b32 s13, 0
	global_load_b64 v[6:7], v[6:7], off
	s_branch .LBB153_33
.LBB153_32:                             ;   in Loop: Header=BB153_24 Depth=2
	s_mov_b32 s13, -1
                                        ; implicit-def: $vgpr6_vgpr7
.LBB153_33:                             ;   in Loop: Header=BB153_24 Depth=2
	s_waitcnt vmcnt(0)
	v_sub_co_u32 v32, vcc_lo, v32, s28
	v_subrev_co_ci_u32_e32 v33, vcc_lo, 0, v33, vcc_lo
	s_and_not1_b32 vcc_lo, exec_lo, s13
	s_delay_alu instid0(VALU_DEP_1)
	v_lshlrev_b64 v[32:33], 3, v[32:33]
	s_cbranch_vccnz .LBB153_35
; %bb.34:                               ;   in Loop: Header=BB153_24 Depth=2
	s_delay_alu instid0(VALU_DEP_1) | instskip(NEXT) | instid1(VALU_DEP_2)
	v_add_co_u32 v6, vcc_lo, s24, v32
	v_add_co_ci_u32_e32 v7, vcc_lo, s25, v33, vcc_lo
	global_load_b64 v[6:7], v[6:7], off
	s_waitcnt vmcnt(0)
	v_sub_co_u32 v6, vcc_lo, v6, s29
	v_subrev_co_ci_u32_e32 v7, vcc_lo, 0, v7, vcc_lo
.LBB153_35:                             ;   in Loop: Header=BB153_24 Depth=2
	s_delay_alu instid0(VALU_DEP_1) | instskip(NEXT) | instid1(VALU_DEP_2)
	v_add_co_u32 v32, vcc_lo, s57, v32
	v_add_co_ci_u32_e32 v33, vcc_lo, s58, v33, vcc_lo
	s_mov_b32 s62, exec_lo
	global_load_b64 v[32:33], v[32:33], off
	s_waitcnt vmcnt(0)
	v_sub_co_u32 v32, vcc_lo, v32, s29
	v_subrev_co_ci_u32_e32 v33, vcc_lo, 0, v33, vcc_lo
	s_delay_alu instid0(VALU_DEP_1)
	v_cmpx_lt_i64_e64 v[6:7], v[32:33]
	s_cbranch_execz .LBB153_57
; %bb.36:                               ;   in Loop: Header=BB153_24 Depth=2
	v_mad_u64_u32 v[38:39], null, s40, v6, v[20:21]
	v_mul_lo_u32 v36, s40, v7
	v_mul_lo_u32 v37, s41, v6
	v_mad_u64_u32 v[34:35], null, s42, v6, v[22:23]
	v_mul_lo_u32 v40, s42, v7
	v_mul_lo_u32 v41, s43, v6
	;; [unrolled: 1-line block ×3, first 2 shown]
	s_mov_b32 s63, 0
	v_add3_u32 v39, v37, v39, v36
	v_mad_u64_u32 v[36:37], null, s38, v38, s[16:17]
	s_delay_alu instid0(VALU_DEP_4) | instskip(NEXT) | instid1(VALU_DEP_3)
	v_add3_u32 v35, v41, v35, v40
	v_mul_lo_u32 v38, s38, v39
	s_delay_alu instid0(VALU_DEP_1)
	v_add3_u32 v37, v42, v37, v38
	v_dual_mov_b32 v39, v7 :: v_dual_mov_b32 v38, v6
	s_branch .LBB153_39
.LBB153_37:                             ;   in Loop: Header=BB153_39 Depth=3
	s_or_b32 exec_lo, exec_lo, s65
	s_delay_alu instid0(SALU_CYCLE_1)
	s_or_b32 s13, s13, exec_lo
.LBB153_38:                             ;   in Loop: Header=BB153_39 Depth=3
	s_or_b32 exec_lo, exec_lo, s64
	v_add_co_u32 v38, vcc_lo, v38, 1
	v_add_co_ci_u32_e32 v39, vcc_lo, 0, v39, vcc_lo
	s_xor_b32 s50, s13, -1
	v_add_co_u32 v36, s13, v36, s42
	s_delay_alu instid0(VALU_DEP_2)
	v_cmp_ge_i64_e32 vcc_lo, v[38:39], v[32:33]
	v_add_co_ci_u32_e64 v37, s13, s43, v37, s13
	s_or_b32 s13, s50, vcc_lo
	v_add_co_u32 v34, vcc_lo, v34, s42
	v_add_co_ci_u32_e32 v35, vcc_lo, s43, v35, vcc_lo
	s_and_b32 s13, exec_lo, s13
	s_delay_alu instid0(SALU_CYCLE_1) | instskip(NEXT) | instid1(SALU_CYCLE_1)
	s_or_b32 s63, s13, s63
	s_and_not1_b32 exec_lo, exec_lo, s63
	s_cbranch_execz .LBB153_56
.LBB153_39:                             ;   Parent Loop BB153_15 Depth=1
                                        ;     Parent Loop BB153_24 Depth=2
                                        ; =>    This Loop Header: Depth=3
                                        ;         Child Loop BB153_51 Depth 4
                                        ;         Child Loop BB153_47 Depth 4
	;; [unrolled: 1-line block ×4, first 2 shown]
	s_delay_alu instid0(VALU_DEP_1) | instskip(NEXT) | instid1(VALU_DEP_1)
	v_lshlrev_b64 v[40:41], 3, v[38:39]
	v_add_co_u32 v40, vcc_lo, s26, v40
	s_delay_alu instid0(VALU_DEP_2) | instskip(SKIP_4) | instid1(VALU_DEP_1)
	v_add_co_ci_u32_e32 v41, vcc_lo, s27, v41, vcc_lo
	global_load_b64 v[40:41], v[40:41], off
	s_waitcnt vmcnt(0)
	v_sub_co_u32 v40, vcc_lo, v40, s29
	v_subrev_co_ci_u32_e32 v41, vcc_lo, 0, v41, vcc_lo
	v_cmp_lt_i64_e64 s13, v[40:41], v[26:27]
	v_cmp_ge_i64_e32 vcc_lo, v[40:41], v[28:29]
	s_delay_alu instid0(VALU_DEP_2) | instskip(NEXT) | instid1(SALU_CYCLE_1)
	s_or_b32 s50, s13, vcc_lo
                                        ; implicit-def: $sgpr13
	s_and_saveexec_b32 s51, s50
	s_delay_alu instid0(SALU_CYCLE_1)
	s_xor_b32 s50, exec_lo, s51
	s_cbranch_execz .LBB153_43
; %bb.40:                               ;   in Loop: Header=BB153_39 Depth=3
	s_mov_b32 s51, -1
	s_and_saveexec_b32 s13, vcc_lo
; %bb.41:                               ;   in Loop: Header=BB153_39 Depth=3
	v_cmp_lt_i64_e32 vcc_lo, v[40:41], v[30:31]
	v_dual_mov_b32 v6, v38 :: v_dual_mov_b32 v7, v39
	s_xor_b32 s51, exec_lo, -1
	v_dual_cndmask_b32 v31, v31, v41 :: v_dual_cndmask_b32 v30, v30, v40
; %bb.42:                               ;   in Loop: Header=BB153_39 Depth=3
	s_or_b32 exec_lo, exec_lo, s13
	s_delay_alu instid0(SALU_CYCLE_1)
	s_and_b32 s13, s51, exec_lo
                                        ; implicit-def: $vgpr40_vgpr41
.LBB153_43:                             ;   in Loop: Header=BB153_39 Depth=3
	s_and_not1_saveexec_b32 s64, s50
	s_cbranch_execz .LBB153_38
; %bb.44:                               ;   in Loop: Header=BB153_39 Depth=3
	v_sub_nc_u32_e32 v40, v40, v26
	s_delay_alu instid0(VALU_DEP_1)
	v_lshlrev_b32_e32 v46, 2, v40
	ds_store_b32 v46, v72 offset:20480
	s_and_saveexec_b32 s65, s52
	s_cbranch_execz .LBB153_37
; %bb.45:                               ;   in Loop: Header=BB153_39 Depth=3
	s_and_not1_b32 vcc_lo, exec_lo, s53
	s_cbranch_vccnz .LBB153_49
; %bb.46:                               ;   in Loop: Header=BB153_39 Depth=3
	v_dual_mov_b32 v40, 0 :: v_dual_mov_b32 v47, v68
	v_mov_b32_e32 v41, 0
	v_dual_mov_b32 v45, v37 :: v_dual_mov_b32 v44, v36
	s_mov_b64 s[50:51], s[38:39]
	s_delay_alu instid0(VALU_DEP_2)
	v_dual_mov_b32 v43, v41 :: v_dual_mov_b32 v42, v40
	.p2align	6
.LBB153_47:                             ;   Parent Loop BB153_15 Depth=1
                                        ;     Parent Loop BB153_24 Depth=2
                                        ;       Parent Loop BB153_39 Depth=3
                                        ; =>      This Inner Loop Header: Depth=4
	global_load_b128 v[73:76], v[44:45], off offset:-8
	ds_load_b128 v[77:80], v47
	v_add_co_u32 v44, vcc_lo, v44, 16
	v_add_co_ci_u32_e32 v45, vcc_lo, 0, v45, vcc_lo
	s_add_u32 s50, s50, -1
	v_add_nc_u32_e32 v47, 32, v47
	s_addc_u32 s51, s51, -1
	s_delay_alu instid0(SALU_CYCLE_1) | instskip(SKIP_3) | instid1(VALU_DEP_2)
	s_cmp_lg_u64 s[50:51], 0
	s_waitcnt vmcnt(0) lgkmcnt(0)
	v_fma_f64 v[40:41], v[77:78], v[73:74], v[40:41]
	v_fma_f64 v[42:43], v[79:80], v[73:74], v[42:43]
	v_fma_f64 v[40:41], -v[79:80], v[75:76], v[40:41]
	s_delay_alu instid0(VALU_DEP_2)
	v_fma_f64 v[42:43], v[77:78], v[75:76], v[42:43]
	s_cbranch_scc1 .LBB153_47
; %bb.48:                               ;   in Loop: Header=BB153_39 Depth=3
	s_branch .LBB153_52
.LBB153_49:                             ;   in Loop: Header=BB153_39 Depth=3
                                        ; implicit-def: $vgpr40_vgpr41
                                        ; implicit-def: $vgpr42_vgpr43
	s_cbranch_execz .LBB153_52
; %bb.50:                               ;   in Loop: Header=BB153_39 Depth=3
	v_dual_mov_b32 v40, 0 :: v_dual_mov_b32 v47, v69
	v_mov_b32_e32 v41, 0
	v_dual_mov_b32 v45, v35 :: v_dual_mov_b32 v44, v34
	s_mov_b64 s[50:51], s[38:39]
	s_delay_alu instid0(VALU_DEP_2)
	v_dual_mov_b32 v43, v41 :: v_dual_mov_b32 v42, v40
	.p2align	6
.LBB153_51:                             ;   Parent Loop BB153_15 Depth=1
                                        ;     Parent Loop BB153_24 Depth=2
                                        ;       Parent Loop BB153_39 Depth=3
                                        ; =>      This Inner Loop Header: Depth=4
	global_load_b128 v[73:76], v[44:45], off offset:-8
	ds_load_b128 v[77:80], v47
	v_add_co_u32 v44, vcc_lo, v44, s40
	s_add_u32 s50, s50, -1
	v_add_co_ci_u32_e32 v45, vcc_lo, s41, v45, vcc_lo
	v_add_nc_u32_e32 v47, 16, v47
	s_addc_u32 s51, s51, -1
	s_delay_alu instid0(SALU_CYCLE_1) | instskip(SKIP_3) | instid1(VALU_DEP_2)
	s_cmp_eq_u64 s[50:51], 0
	s_waitcnt vmcnt(0) lgkmcnt(0)
	v_fma_f64 v[40:41], v[77:78], v[73:74], v[40:41]
	v_fma_f64 v[42:43], v[79:80], v[73:74], v[42:43]
	v_fma_f64 v[40:41], -v[79:80], v[75:76], v[40:41]
	s_delay_alu instid0(VALU_DEP_2)
	v_fma_f64 v[42:43], v[77:78], v[75:76], v[42:43]
	s_cbranch_scc0 .LBB153_51
.LBB153_52:                             ;   in Loop: Header=BB153_39 Depth=3
	s_delay_alu instid0(VALU_DEP_1) | instskip(SKIP_2) | instid1(VALU_DEP_1)
	v_mul_f64 v[44:45], v[42:43], -v[12:13]
	v_or3_b32 v46, v46, v51, v18
	s_mov_b32 s50, 0
	v_lshlrev_b32_e32 v73, 4, v46
	ds_load_b64 v[46:47], v73
	v_fma_f64 v[44:45], v[8:9], v[40:41], v[44:45]
.LBB153_53:                             ;   Parent Loop BB153_15 Depth=1
                                        ;     Parent Loop BB153_24 Depth=2
                                        ;       Parent Loop BB153_39 Depth=3
                                        ; =>      This Inner Loop Header: Depth=4
	s_waitcnt lgkmcnt(0)
	s_delay_alu instid0(VALU_DEP_1)
	v_add_f64 v[74:75], v[46:47], v[44:45]
	ds_cmpstore_rtn_b64 v[74:75], v73, v[74:75], v[46:47]
	s_waitcnt lgkmcnt(0)
	v_cmp_eq_u64_e32 vcc_lo, v[74:75], v[46:47]
	v_dual_mov_b32 v46, v74 :: v_dual_mov_b32 v47, v75
	s_or_b32 s50, vcc_lo, s50
	s_delay_alu instid0(SALU_CYCLE_1)
	s_and_not1_b32 exec_lo, exec_lo, s50
	s_cbranch_execnz .LBB153_53
; %bb.54:                               ;   in Loop: Header=BB153_39 Depth=3
	s_or_b32 exec_lo, exec_lo, s50
	v_mul_f64 v[42:43], v[8:9], v[42:43]
	s_mov_b32 s50, 0
	s_delay_alu instid0(VALU_DEP_1)
	v_fma_f64 v[40:41], v[12:13], v[40:41], v[42:43]
	ds_load_b64 v[42:43], v73 offset:8
.LBB153_55:                             ;   Parent Loop BB153_15 Depth=1
                                        ;     Parent Loop BB153_24 Depth=2
                                        ;       Parent Loop BB153_39 Depth=3
                                        ; =>      This Inner Loop Header: Depth=4
	s_waitcnt lgkmcnt(0)
	v_add_f64 v[44:45], v[42:43], v[40:41]
	ds_cmpstore_rtn_b64 v[44:45], v73, v[44:45], v[42:43] offset:8
	s_waitcnt lgkmcnt(0)
	v_cmp_eq_u64_e32 vcc_lo, v[44:45], v[42:43]
	v_dual_mov_b32 v42, v44 :: v_dual_mov_b32 v43, v45
	s_or_b32 s50, vcc_lo, s50
	s_delay_alu instid0(SALU_CYCLE_1)
	s_and_not1_b32 exec_lo, exec_lo, s50
	s_cbranch_execnz .LBB153_55
	s_branch .LBB153_37
.LBB153_56:                             ;   in Loop: Header=BB153_24 Depth=2
	s_or_b32 exec_lo, exec_lo, s63
.LBB153_57:                             ;   in Loop: Header=BB153_24 Depth=2
	s_delay_alu instid0(SALU_CYCLE_1)
	s_or_b32 exec_lo, exec_lo, s62
.LBB153_58:                             ;   in Loop: Header=BB153_24 Depth=2
	s_delay_alu instid0(SALU_CYCLE_1)
	s_or_b32 exec_lo, exec_lo, s61
	s_waitcnt lgkmcnt(0)
	s_barrier
	buffer_gl0_inv
	s_and_saveexec_b32 s13, s12
	s_cbranch_execz .LBB153_23
; %bb.59:                               ;   in Loop: Header=BB153_24 Depth=2
	v_add_co_u32 v4, vcc_lo, s46, v4
	v_add_co_ci_u32_e32 v5, vcc_lo, s47, v5, vcc_lo
	global_store_b64 v[4:5], v[6:7], off
	s_branch .LBB153_23
.LBB153_60:                             ;   in Loop: Header=BB153_15 Depth=1
	s_and_not1_b32 vcc_lo, exec_lo, s33
	s_cbranch_vccnz .LBB153_75
; %bb.61:                               ;   in Loop: Header=BB153_15 Depth=1
	s_load_b128 s[48:51], s[22:23], 0x0
	s_waitcnt lgkmcnt(0)
	v_add_co_u32 v32, vcc_lo, s48, v52
	v_add_co_ci_u32_e32 v33, vcc_lo, s49, v53, vcc_lo
	s_sub_u32 s12, s50, s31
	s_subb_u32 s13, s51, 0
	s_mov_b32 s48, exec_lo
	s_delay_alu instid0(VALU_DEP_1)
	v_cmpx_gt_i64_e64 s[12:13], v[32:33]
	s_cbranch_execz .LBB153_74
; %bb.62:                               ;   in Loop: Header=BB153_15 Depth=1
	s_mov_b32 s49, 0
	s_branch .LBB153_65
.LBB153_63:                             ;   in Loop: Header=BB153_65 Depth=2
	s_or_b32 exec_lo, exec_lo, s51
	s_delay_alu instid0(SALU_CYCLE_1)
	s_or_b32 s11, s11, exec_lo
.LBB153_64:                             ;   in Loop: Header=BB153_65 Depth=2
	s_or_b32 exec_lo, exec_lo, s50
	v_add_co_u32 v32, vcc_lo, v32, 64
	v_add_co_ci_u32_e32 v33, vcc_lo, 0, v33, vcc_lo
	s_xor_b32 s11, s11, -1
	s_delay_alu instid0(VALU_DEP_1) | instskip(SKIP_1) | instid1(SALU_CYCLE_1)
	v_cmp_le_i64_e32 vcc_lo, s[12:13], v[32:33]
	s_or_b32 s11, s11, vcc_lo
	s_and_b32 s11, exec_lo, s11
	s_delay_alu instid0(SALU_CYCLE_1) | instskip(NEXT) | instid1(SALU_CYCLE_1)
	s_or_b32 s49, s11, s49
	s_and_not1_b32 exec_lo, exec_lo, s49
	s_cbranch_execz .LBB153_73
.LBB153_65:                             ;   Parent Loop BB153_15 Depth=1
                                        ; =>  This Loop Header: Depth=2
                                        ;       Child Loop BB153_70 Depth 3
                                        ;       Child Loop BB153_72 Depth 3
	v_lshlrev_b64 v[4:5], 3, v[32:33]
	s_delay_alu instid0(VALU_DEP_1) | instskip(NEXT) | instid1(VALU_DEP_2)
	v_add_co_u32 v4, vcc_lo, s14, v4
	v_add_co_ci_u32_e32 v5, vcc_lo, s15, v5, vcc_lo
	global_load_b64 v[4:5], v[4:5], off
	s_waitcnt vmcnt(0)
	v_sub_co_u32 v4, vcc_lo, v4, s31
	v_subrev_co_ci_u32_e32 v5, vcc_lo, 0, v5, vcc_lo
	s_delay_alu instid0(VALU_DEP_1)
	v_cmp_lt_i64_e32 vcc_lo, v[4:5], v[28:29]
	v_cmp_lt_i64_e64 s11, v[4:5], v[26:27]
	s_xor_b32 s50, vcc_lo, -1
	s_delay_alu instid0(VALU_DEP_1) | instid1(SALU_CYCLE_1)
	s_or_b32 s50, s11, s50
                                        ; implicit-def: $sgpr11
	s_delay_alu instid0(SALU_CYCLE_1) | instskip(NEXT) | instid1(SALU_CYCLE_1)
	s_and_saveexec_b32 s51, s50
	s_xor_b32 s50, exec_lo, s51
; %bb.66:                               ;   in Loop: Header=BB153_65 Depth=2
	v_cmp_lt_i64_e64 s11, v[4:5], v[30:31]
	s_delay_alu instid0(VALU_DEP_1) | instskip(SKIP_2) | instid1(VALU_DEP_1)
	v_cndmask_b32_e64 v4, v30, v4, s11
	v_cndmask_b32_e64 v5, v31, v5, s11
	s_and_b32 s11, vcc_lo, exec_lo
	v_dual_cndmask_b32 v30, v4, v30 :: v_dual_cndmask_b32 v31, v5, v31
                                        ; implicit-def: $vgpr4
; %bb.67:                               ;   in Loop: Header=BB153_65 Depth=2
	s_and_not1_saveexec_b32 s50, s50
	s_cbranch_execz .LBB153_64
; %bb.68:                               ;   in Loop: Header=BB153_65 Depth=2
	v_sub_nc_u32_e32 v4, v4, v26
	s_delay_alu instid0(VALU_DEP_1)
	v_lshlrev_b32_e32 v36, 2, v4
	ds_store_b32 v36, v72 offset:20480
	s_and_saveexec_b32 s51, s56
	s_cbranch_execz .LBB153_63
; %bb.69:                               ;   in Loop: Header=BB153_65 Depth=2
	v_mul_lo_u32 v6, v33, s18
	v_mul_lo_u32 v7, v32, s19
	v_mad_u64_u32 v[4:5], null, v32, s18, 0
	v_or3_b32 v36, v36, v51, v18
	s_mov_b32 s61, 0
	s_delay_alu instid0(VALU_DEP_1) | instskip(NEXT) | instid1(VALU_DEP_3)
	v_lshlrev_b32_e32 v38, 4, v36
	v_add3_u32 v5, v5, v7, v6
	ds_load_b64 v[36:37], v38
	v_lshlrev_b64 v[4:5], 4, v[4:5]
	s_delay_alu instid0(VALU_DEP_1) | instskip(NEXT) | instid1(VALU_DEP_2)
	v_add_co_u32 v4, vcc_lo, v66, v4
	v_add_co_ci_u32_e32 v5, vcc_lo, v65, v5, vcc_lo
	global_load_b128 v[4:7], v[4:5], off
	s_waitcnt vmcnt(0)
	v_mul_f64 v[34:35], v[6:7], -v[10:11]
	s_delay_alu instid0(VALU_DEP_1)
	v_fma_f64 v[34:35], v[14:15], v[4:5], v[34:35]
.LBB153_70:                             ;   Parent Loop BB153_15 Depth=1
                                        ;     Parent Loop BB153_65 Depth=2
                                        ; =>    This Inner Loop Header: Depth=3
	s_waitcnt lgkmcnt(0)
	s_delay_alu instid0(VALU_DEP_1)
	v_add_f64 v[39:40], v[36:37], v[34:35]
	ds_cmpstore_rtn_b64 v[39:40], v38, v[39:40], v[36:37]
	s_waitcnt lgkmcnt(0)
	v_cmp_eq_u64_e32 vcc_lo, v[39:40], v[36:37]
	v_dual_mov_b32 v36, v39 :: v_dual_mov_b32 v37, v40
	s_or_b32 s61, vcc_lo, s61
	s_delay_alu instid0(SALU_CYCLE_1)
	s_and_not1_b32 exec_lo, exec_lo, s61
	s_cbranch_execnz .LBB153_70
; %bb.71:                               ;   in Loop: Header=BB153_65 Depth=2
	s_or_b32 exec_lo, exec_lo, s61
	v_mul_f64 v[6:7], v[14:15], v[6:7]
	s_mov_b32 s61, 0
	s_delay_alu instid0(VALU_DEP_1)
	v_fma_f64 v[4:5], v[10:11], v[4:5], v[6:7]
	ds_load_b64 v[6:7], v38 offset:8
.LBB153_72:                             ;   Parent Loop BB153_15 Depth=1
                                        ;     Parent Loop BB153_65 Depth=2
                                        ; =>    This Inner Loop Header: Depth=3
	s_waitcnt lgkmcnt(0)
	v_add_f64 v[34:35], v[6:7], v[4:5]
	ds_cmpstore_rtn_b64 v[34:35], v38, v[34:35], v[6:7] offset:8
	s_waitcnt lgkmcnt(0)
	v_cmp_eq_u64_e32 vcc_lo, v[34:35], v[6:7]
	v_dual_mov_b32 v6, v34 :: v_dual_mov_b32 v7, v35
	s_or_b32 s61, vcc_lo, s61
	s_delay_alu instid0(SALU_CYCLE_1)
	s_and_not1_b32 exec_lo, exec_lo, s61
	s_cbranch_execnz .LBB153_72
	s_branch .LBB153_63
.LBB153_73:                             ;   in Loop: Header=BB153_15 Depth=1
	s_or_b32 exec_lo, exec_lo, s49
.LBB153_74:                             ;   in Loop: Header=BB153_15 Depth=1
	s_delay_alu instid0(SALU_CYCLE_1)
	s_or_b32 exec_lo, exec_lo, s48
.LBB153_75:                             ;   in Loop: Header=BB153_15 Depth=1
	s_and_saveexec_b32 s11, s2
	s_cbranch_execz .LBB153_80
; %bb.76:                               ;   in Loop: Header=BB153_15 Depth=1
	s_mov_b32 s48, exec_lo
	s_mov_b64 s[12:13], -1
.LBB153_77:                             ;   Parent Loop BB153_15 Depth=1
                                        ; =>  This Inner Loop Header: Depth=2
	s_ctz_i32_b32 s49, s48
	s_delay_alu instid0(SALU_CYCLE_1) | instskip(SKIP_1) | instid1(VALU_DEP_1)
	v_readlane_b32 s51, v31, s49
	v_readlane_b32 s50, v30, s49
	v_cmp_lt_u64_e64 s61, s[12:13], s[50:51]
	s_delay_alu instid0(VALU_DEP_1) | instskip(SKIP_3) | instid1(SALU_CYCLE_1)
	s_and_b32 s61, s61, exec_lo
	s_cselect_b32 s13, s13, s51
	s_cselect_b32 s12, s12, s50
	s_lshl_b32 s49, 1, s49
	s_and_not1_b32 s48, s48, s49
	s_delay_alu instid0(SALU_CYCLE_1)
	s_cmp_lg_u32 s48, 0
	s_cbranch_scc1 .LBB153_77
; %bb.78:                               ;   in Loop: Header=BB153_15 Depth=1
	v_mbcnt_lo_u32_b32 v4, exec_lo, 0
	s_mov_b32 s48, exec_lo
	s_delay_alu instid0(VALU_DEP_1)
	v_cmpx_eq_u32_e32 0, v4
	s_xor_b32 s48, exec_lo, s48
	s_cbranch_execz .LBB153_80
; %bb.79:                               ;   in Loop: Header=BB153_15 Depth=1
	v_dual_mov_b32 v4, s12 :: v_dual_mov_b32 v5, s13
	ds_min_u64 v17, v[4:5] offset:21504
.LBB153_80:                             ;   in Loop: Header=BB153_15 Depth=1
	s_or_b32 exec_lo, exec_lo, s11
	s_waitcnt lgkmcnt(0)
	s_waitcnt_vscnt null, 0x0
	s_barrier
	buffer_gl0_inv
	ds_load_b32 v4, v54
	s_waitcnt lgkmcnt(0)
	s_barrier
	buffer_gl0_inv
	s_and_saveexec_b32 s11, s3
	s_cbranch_execz .LBB153_82
; %bb.81:                               ;   in Loop: Header=BB153_15 Depth=1
	ds_load_b32 v5, v55
	s_waitcnt lgkmcnt(0)
	v_add_nc_u32_e32 v4, v5, v4
.LBB153_82:                             ;   in Loop: Header=BB153_15 Depth=1
	s_or_b32 exec_lo, exec_lo, s11
	s_barrier
	buffer_gl0_inv
	ds_store_b32 v54, v4
	s_waitcnt lgkmcnt(0)
	s_barrier
	buffer_gl0_inv
	s_and_saveexec_b32 s11, s4
	s_cbranch_execz .LBB153_84
; %bb.83:                               ;   in Loop: Header=BB153_15 Depth=1
	ds_load_b32 v5, v56
	s_waitcnt lgkmcnt(0)
	v_add_nc_u32_e32 v4, v5, v4
.LBB153_84:                             ;   in Loop: Header=BB153_15 Depth=1
	s_or_b32 exec_lo, exec_lo, s11
	s_barrier
	buffer_gl0_inv
	ds_store_b32 v54, v4
	;; [unrolled: 14-line block ×8, first 2 shown]
	s_waitcnt lgkmcnt(0)
	s_barrier
	buffer_gl0_inv
	ds_load_b32 v6, v17 offset:21500
	v_mov_b32_e32 v5, 0
	s_and_saveexec_b32 s11, s54
	s_cbranch_execz .LBB153_98
; %bb.97:                               ;   in Loop: Header=BB153_15 Depth=1
	ds_load_b32 v5, v55
.LBB153_98:                             ;   in Loop: Header=BB153_15 Depth=1
	s_or_b32 exec_lo, exec_lo, s11
	s_waitcnt lgkmcnt(0)
	v_cmp_eq_u32_e32 vcc_lo, v4, v5
	s_barrier
	buffer_gl0_inv
	s_and_b32 s12, s54, vcc_lo
	s_delay_alu instid0(SALU_CYCLE_1)
	s_and_saveexec_b32 s11, s12
	s_cbranch_execz .LBB153_100
; %bb.99:                               ;   in Loop: Header=BB153_15 Depth=1
	ds_store_b32 v54, v17
.LBB153_100:                            ;   in Loop: Header=BB153_15 Depth=1
	s_or_b32 exec_lo, exec_lo, s11
	v_add_co_u32 v7, vcc_lo, v24, -1
	v_add_co_ci_u32_e32 v28, vcc_lo, -1, v25, vcc_lo
	v_add_co_u32 v26, vcc_lo, s30, v26
	v_add_co_ci_u32_e32 v27, vcc_lo, 0, v27, vcc_lo
	v_dual_mov_b32 v29, v71 :: v_dual_mov_b32 v30, v70
	v_dual_mov_b32 v4, v16 :: v_dual_mov_b32 v5, v17
	s_mov_b32 s11, 0
	s_waitcnt lgkmcnt(0)
	s_barrier
	buffer_gl0_inv
	s_branch .LBB153_102
.LBB153_101:                            ;   in Loop: Header=BB153_102 Depth=2
	s_or_b32 exec_lo, exec_lo, s12
	v_add_co_u32 v4, vcc_lo, v4, 64
	v_add_co_ci_u32_e32 v5, vcc_lo, 0, v5, vcc_lo
	v_add_nc_u32_e32 v30, 0x1000, v30
	s_delay_alu instid0(VALU_DEP_3) | instskip(SKIP_1) | instid1(VALU_DEP_2)
	v_subrev_nc_u32_e32 v31, 64, v4
	v_add_nc_u32_e32 v29, 0x100, v29
	v_cmp_lt_u32_e32 vcc_lo, 0xbf, v31
	s_or_b32 s11, vcc_lo, s11
	s_delay_alu instid0(SALU_CYCLE_1)
	s_and_not1_b32 exec_lo, exec_lo, s11
	s_cbranch_execz .LBB153_14
.LBB153_102:                            ;   Parent Loop BB153_15 Depth=1
                                        ; =>  This Inner Loop Header: Depth=2
	ds_load_b32 v31, v29
	s_mov_b32 s12, exec_lo
	s_waitcnt lgkmcnt(0)
	v_cmpx_ne_u32_e32 0, v31
	s_cbranch_execz .LBB153_101
; %bb.103:                              ;   in Loop: Header=BB153_102 Depth=2
	v_ashrrev_i32_e32 v32, 31, v31
	v_add_co_u32 v33, vcc_lo, v24, v31
	s_delay_alu instid0(VALU_DEP_2) | instskip(SKIP_2) | instid1(VALU_DEP_3)
	v_add_co_ci_u32_e32 v34, vcc_lo, v25, v32, vcc_lo
	v_add_co_u32 v35, vcc_lo, v26, v4
	v_add_co_ci_u32_e32 v36, vcc_lo, v27, v5, vcc_lo
	v_lshlrev_b64 v[33:34], 3, v[33:34]
	s_delay_alu instid0(VALU_DEP_1) | instskip(NEXT) | instid1(VALU_DEP_2)
	v_add_co_u32 v33, vcc_lo, s59, v33
	v_add_co_ci_u32_e32 v34, vcc_lo, s60, v34, vcc_lo
	global_store_b64 v[33:34], v[35:36], off
	s_and_b32 exec_lo, exec_lo, s56
	s_cbranch_execz .LBB153_101
; %bb.104:                              ;   in Loop: Header=BB153_102 Depth=2
	v_add_co_u32 v31, vcc_lo, v7, v31
	v_add_co_ci_u32_e32 v32, vcc_lo, v28, v32, vcc_lo
	s_delay_alu instid0(VALU_DEP_2) | instskip(SKIP_1) | instid1(VALU_DEP_3)
	v_mul_lo_u32 v38, v31, s19
	v_mad_u64_u32 v[35:36], null, v31, s18, 0
	v_mul_lo_u32 v37, v32, s18
	ds_load_2addr_b64 v[31:34], v30 offset1:1
	v_add3_u32 v36, v36, v38, v37
	s_delay_alu instid0(VALU_DEP_1) | instskip(NEXT) | instid1(VALU_DEP_1)
	v_lshlrev_b64 v[35:36], 4, v[35:36]
	v_add_co_u32 v35, vcc_lo, v64, v35
	s_delay_alu instid0(VALU_DEP_2)
	v_add_co_ci_u32_e32 v36, vcc_lo, v63, v36, vcc_lo
	s_waitcnt lgkmcnt(0)
	global_store_b128 v[35:36], v[31:34], off
	s_branch .LBB153_101
.LBB153_105:
	s_endpgm
	.section	.rodata,"a",@progbits
	.p2align	6, 0x0
	.amdhsa_kernel _ZN9rocsparseL38bsrgemm_block_per_row_atomic_multipassILj256ELj256ELj2Ell21rocsparse_complex_numIdEEEv20rocsparse_direction_T3_S4_PKS4_S6_NS_24const_host_device_scalarIT4_EEPKT2_S6_PKS8_SC_S6_SE_S9_SC_S6_SE_SC_PS4_PS8_PSA_21rocsparse_index_base_SI_SI_SI_bbb
		.amdhsa_group_segment_fixed_size 21512
		.amdhsa_private_segment_fixed_size 24
		.amdhsa_kernarg_size 196
		.amdhsa_user_sgpr_count 15
		.amdhsa_user_sgpr_dispatch_ptr 0
		.amdhsa_user_sgpr_queue_ptr 0
		.amdhsa_user_sgpr_kernarg_segment_ptr 1
		.amdhsa_user_sgpr_dispatch_id 0
		.amdhsa_user_sgpr_private_segment_size 0
		.amdhsa_wavefront_size32 1
		.amdhsa_uses_dynamic_stack 0
		.amdhsa_enable_private_segment 1
		.amdhsa_system_sgpr_workgroup_id_x 1
		.amdhsa_system_sgpr_workgroup_id_y 0
		.amdhsa_system_sgpr_workgroup_id_z 0
		.amdhsa_system_sgpr_workgroup_info 0
		.amdhsa_system_vgpr_workitem_id 0
		.amdhsa_next_free_vgpr 81
		.amdhsa_next_free_sgpr 66
		.amdhsa_reserve_vcc 1
		.amdhsa_float_round_mode_32 0
		.amdhsa_float_round_mode_16_64 0
		.amdhsa_float_denorm_mode_32 3
		.amdhsa_float_denorm_mode_16_64 3
		.amdhsa_dx10_clamp 1
		.amdhsa_ieee_mode 1
		.amdhsa_fp16_overflow 0
		.amdhsa_workgroup_processor_mode 1
		.amdhsa_memory_ordered 1
		.amdhsa_forward_progress 0
		.amdhsa_shared_vgpr_count 0
		.amdhsa_exception_fp_ieee_invalid_op 0
		.amdhsa_exception_fp_denorm_src 0
		.amdhsa_exception_fp_ieee_div_zero 0
		.amdhsa_exception_fp_ieee_overflow 0
		.amdhsa_exception_fp_ieee_underflow 0
		.amdhsa_exception_fp_ieee_inexact 0
		.amdhsa_exception_int_div_zero 0
	.end_amdhsa_kernel
	.section	.text._ZN9rocsparseL38bsrgemm_block_per_row_atomic_multipassILj256ELj256ELj2Ell21rocsparse_complex_numIdEEEv20rocsparse_direction_T3_S4_PKS4_S6_NS_24const_host_device_scalarIT4_EEPKT2_S6_PKS8_SC_S6_SE_S9_SC_S6_SE_SC_PS4_PS8_PSA_21rocsparse_index_base_SI_SI_SI_bbb,"axG",@progbits,_ZN9rocsparseL38bsrgemm_block_per_row_atomic_multipassILj256ELj256ELj2Ell21rocsparse_complex_numIdEEEv20rocsparse_direction_T3_S4_PKS4_S6_NS_24const_host_device_scalarIT4_EEPKT2_S6_PKS8_SC_S6_SE_S9_SC_S6_SE_SC_PS4_PS8_PSA_21rocsparse_index_base_SI_SI_SI_bbb,comdat
.Lfunc_end153:
	.size	_ZN9rocsparseL38bsrgemm_block_per_row_atomic_multipassILj256ELj256ELj2Ell21rocsparse_complex_numIdEEEv20rocsparse_direction_T3_S4_PKS4_S6_NS_24const_host_device_scalarIT4_EEPKT2_S6_PKS8_SC_S6_SE_S9_SC_S6_SE_SC_PS4_PS8_PSA_21rocsparse_index_base_SI_SI_SI_bbb, .Lfunc_end153-_ZN9rocsparseL38bsrgemm_block_per_row_atomic_multipassILj256ELj256ELj2Ell21rocsparse_complex_numIdEEEv20rocsparse_direction_T3_S4_PKS4_S6_NS_24const_host_device_scalarIT4_EEPKT2_S6_PKS8_SC_S6_SE_S9_SC_S6_SE_SC_PS4_PS8_PSA_21rocsparse_index_base_SI_SI_SI_bbb
                                        ; -- End function
	.section	.AMDGPU.csdata,"",@progbits
; Kernel info:
; codeLenInByte = 4756
; NumSgprs: 68
; NumVgprs: 81
; ScratchSize: 24
; MemoryBound: 0
; FloatMode: 240
; IeeeMode: 1
; LDSByteSize: 21512 bytes/workgroup (compile time only)
; SGPRBlocks: 8
; VGPRBlocks: 10
; NumSGPRsForWavesPerEU: 68
; NumVGPRsForWavesPerEU: 81
; Occupancy: 12
; WaveLimiterHint : 1
; COMPUTE_PGM_RSRC2:SCRATCH_EN: 1
; COMPUTE_PGM_RSRC2:USER_SGPR: 15
; COMPUTE_PGM_RSRC2:TRAP_HANDLER: 0
; COMPUTE_PGM_RSRC2:TGID_X_EN: 1
; COMPUTE_PGM_RSRC2:TGID_Y_EN: 0
; COMPUTE_PGM_RSRC2:TGID_Z_EN: 0
; COMPUTE_PGM_RSRC2:TIDIG_COMP_CNT: 0
	.section	.text._ZN9rocsparseL23bsrgemm_fill_wf_per_rowILj256ELj64ELj8ELj137ELj4Ell21rocsparse_complex_numIdEEEv20rocsparse_direction_T5_S4_S4_PKS4_S6_NS_24const_host_device_scalarIT6_EEPKT4_S6_PKS8_SC_S6_SE_S9_SC_S6_SE_SC_PS4_PS8_21rocsparse_index_base_SH_SH_SH_bbb,"axG",@progbits,_ZN9rocsparseL23bsrgemm_fill_wf_per_rowILj256ELj64ELj8ELj137ELj4Ell21rocsparse_complex_numIdEEEv20rocsparse_direction_T5_S4_S4_PKS4_S6_NS_24const_host_device_scalarIT6_EEPKT4_S6_PKS8_SC_S6_SE_S9_SC_S6_SE_SC_PS4_PS8_21rocsparse_index_base_SH_SH_SH_bbb,comdat
	.globl	_ZN9rocsparseL23bsrgemm_fill_wf_per_rowILj256ELj64ELj8ELj137ELj4Ell21rocsparse_complex_numIdEEEv20rocsparse_direction_T5_S4_S4_PKS4_S6_NS_24const_host_device_scalarIT6_EEPKT4_S6_PKS8_SC_S6_SE_S9_SC_S6_SE_SC_PS4_PS8_21rocsparse_index_base_SH_SH_SH_bbb ; -- Begin function _ZN9rocsparseL23bsrgemm_fill_wf_per_rowILj256ELj64ELj8ELj137ELj4Ell21rocsparse_complex_numIdEEEv20rocsparse_direction_T5_S4_S4_PKS4_S6_NS_24const_host_device_scalarIT6_EEPKT4_S6_PKS8_SC_S6_SE_S9_SC_S6_SE_SC_PS4_PS8_21rocsparse_index_base_SH_SH_SH_bbb
	.p2align	8
	.type	_ZN9rocsparseL23bsrgemm_fill_wf_per_rowILj256ELj64ELj8ELj137ELj4Ell21rocsparse_complex_numIdEEEv20rocsparse_direction_T5_S4_S4_PKS4_S6_NS_24const_host_device_scalarIT6_EEPKT4_S6_PKS8_SC_S6_SE_S9_SC_S6_SE_SC_PS4_PS8_21rocsparse_index_base_SH_SH_SH_bbb,@function
_ZN9rocsparseL23bsrgemm_fill_wf_per_rowILj256ELj64ELj8ELj137ELj4Ell21rocsparse_complex_numIdEEEv20rocsparse_direction_T5_S4_S4_PKS4_S6_NS_24const_host_device_scalarIT6_EEPKT4_S6_PKS8_SC_S6_SE_S9_SC_S6_SE_SC_PS4_PS8_21rocsparse_index_base_SH_SH_SH_bbb: ; @_ZN9rocsparseL23bsrgemm_fill_wf_per_rowILj256ELj64ELj8ELj137ELj4Ell21rocsparse_complex_numIdEEEv20rocsparse_direction_T5_S4_S4_PKS4_S6_NS_24const_host_device_scalarIT6_EEPKT4_S6_PKS8_SC_S6_SE_S9_SC_S6_SE_SC_PS4_PS8_21rocsparse_index_base_SH_SH_SH_bbb
; %bb.0:
	s_load_b32 s13, s[2:3], 0xc0
	s_load_b64 s[16:17], s[0:1], 0x4
	v_and_b32_e32 v8, 0x3ff, v0
	s_clause 0x1
	s_load_b128 s[8:11], s[2:3], 0x30
	s_load_b128 s[4:7], s[2:3], 0x70
	v_mov_b32_e32 v4, 0
	v_mov_b32_e32 v5, 0
	v_bfe_u32 v2, v0, 10, 10
	v_bfe_u32 v0, v0, 20, 10
	s_delay_alu instid0(VALU_DEP_3)
	v_dual_mov_b32 v15, v5 :: v_dual_mov_b32 v14, v4
	v_dual_mov_b32 v17, v5 :: v_dual_mov_b32 v16, v4
	s_waitcnt lgkmcnt(0)
	s_bitcmp1_b32 s13, 0
	s_cselect_b32 s12, -1, 0
	s_bitcmp1_b32 s13, 16
	v_mov_b32_e32 v7, s5
	s_cselect_b32 s0, -1, 0
	s_lshr_b32 s1, s16, 16
	s_delay_alu instid0(SALU_CYCLE_1) | instskip(NEXT) | instid1(SALU_CYCLE_1)
	s_mul_i32 s1, s1, s17
	v_mul_lo_u32 v1, s1, v8
	s_xor_b32 s1, s0, -1
	s_bitcmp0_b32 s13, 0
	v_cndmask_b32_e64 v3, 0, 1, s1
	s_delay_alu instid0(VALU_DEP_2) | instskip(NEXT) | instid1(VALU_DEP_2)
	v_mad_u32_u24 v1, v2, s17, v1
	v_cmp_ne_u32_e32 vcc_lo, 1, v3
	s_delay_alu instid0(VALU_DEP_2) | instskip(SKIP_1) | instid1(VALU_DEP_2)
	v_add_lshl_u32 v0, v1, v0, 3
	v_dual_mov_b32 v1, s8 :: v_dual_mov_b32 v2, s9
	v_dual_mov_b32 v6, s4 :: v_dual_add_nc_u32 v3, 0x100, v0
	ds_store_2addr_stride64_b64 v3, v[6:7], v[1:2] offset0:16 offset1:20
	s_cbranch_scc1 .LBB154_3
; %bb.1:
	s_mov_b64 s[16:17], src_shared_base
	s_and_b32 s14, s0, exec_lo
	s_cselect_b32 s14, s17, s9
	s_delay_alu instid0(SALU_CYCLE_1) | instskip(SKIP_2) | instid1(VALU_DEP_2)
	v_dual_mov_b32 v2, s14 :: v_dual_add_nc_u32 v1, 0x2900, v0
	v_dual_mov_b32 v17, s11 :: v_dual_mov_b32 v16, s10
	s_and_b32 vcc_lo, exec_lo, vcc_lo
	v_cndmask_b32_e64 v1, s8, v1, s0
	flat_load_b64 v[14:15], v[1:2]
	s_cbranch_vccnz .LBB154_3
; %bb.2:
	v_dual_mov_b32 v1, s8 :: v_dual_mov_b32 v2, s9
	flat_load_b64 v[16:17], v[1:2] offset:8
.LBB154_3:
	s_load_b128 s[36:39], s[2:3], 0xb0
	s_bitcmp1_b32 s13, 8
	v_dual_mov_b32 v7, v5 :: v_dual_mov_b32 v6, v4
	s_cselect_b32 s48, -1, 0
	s_bfe_u32 s8, s13, 0x10008
	s_delay_alu instid0(SALU_CYCLE_1)
	s_cmp_eq_u32 s8, 0
	s_cbranch_scc1 .LBB154_6
; %bb.4:
	s_mov_b64 s[8:9], src_shared_base
	s_and_b32 s8, s0, exec_lo
	s_cselect_b32 s8, s9, s5
	s_delay_alu instid0(SALU_CYCLE_1) | instskip(SKIP_2) | instid1(VALU_DEP_2)
	v_dual_mov_b32 v1, s8 :: v_dual_add_nc_u32 v0, 0x2100, v0
	v_dual_mov_b32 v4, s6 :: v_dual_mov_b32 v5, s7
	s_and_not1_b32 vcc_lo, exec_lo, s1
	v_cndmask_b32_e64 v0, s4, v0, s0
	flat_load_b64 v[6:7], v[0:1]
	s_cbranch_vccnz .LBB154_6
; %bb.5:
	v_dual_mov_b32 v0, s4 :: v_dual_mov_b32 v1, s5
	flat_load_b64 v[4:5], v[0:1] offset:8
.LBB154_6:
	s_clause 0x5
	s_load_b128 s[40:43], s[2:3], 0xa0
	s_load_b256 s[16:23], s[2:3], 0x80
	s_load_b128 s[44:47], s[2:3], 0x60
	s_load_b256 s[4:11], s[2:3], 0x8
	s_load_b64 s[0:1], s[2:3], 0x28
	s_load_b256 s[24:31], s[2:3], 0x40
	s_movk_i32 s13, 0xc0
	v_and_b32_e32 v9, 63, v8
	v_lshrrev_b32_e32 v45, 6, v8
	v_and_or_b32 v44, v8, s13, 0x2000
	s_mov_b32 s13, exec_lo
	s_delay_alu instid0(VALU_DEP_3)
	v_cmpx_gt_u32_e32 8, v9
	s_cbranch_execz .LBB154_8
; %bb.7:
	s_delay_alu instid0(VALU_DEP_2)
	v_lshl_add_u32 v2, v9, 3, v44
	s_waitcnt lgkmcnt(0)
	v_dual_mov_b32 v0, s6 :: v_dual_mov_b32 v1, s7
	ds_store_b64 v2, v[0:1]
.LBB154_8:
	s_or_b32 exec_lo, exec_lo, s13
	v_mov_b32_e32 v0, 0
	v_lshlrev_b32_e32 v46, 11, v45
	v_or_b32_e32 v10, 0xffffffc0, v9
	s_mov_b32 s13, 0
	s_delay_alu instid0(VALU_DEP_3) | instskip(NEXT) | instid1(VALU_DEP_3)
	v_mov_b32_e32 v1, v0
	v_lshl_or_b32 v11, v9, 4, v46
	v_mov_b32_e32 v2, v0
	v_mov_b32_e32 v3, v0
.LBB154_9:                              ; =>This Inner Loop Header: Depth=1
	v_add_co_u32 v10, s14, v10, 64
	s_delay_alu instid0(VALU_DEP_1) | instskip(SKIP_3) | instid1(SALU_CYCLE_1)
	s_xor_b32 s14, s14, -1
	ds_store_b128 v11, v[0:3]
	v_add_nc_u32_e32 v11, 0x400, v11
	s_and_b32 s14, exec_lo, s14
	s_or_b32 s13, s14, s13
	s_delay_alu instid0(SALU_CYCLE_1)
	s_and_not1_b32 exec_lo, exec_lo, s13
	s_cbranch_execnz .LBB154_9
; %bb.10:
	s_or_b32 exec_lo, exec_lo, s13
	v_lshl_or_b32 v0, s15, 2, v45
	v_mov_b32_e32 v1, 0
	s_waitcnt vmcnt(0) lgkmcnt(0)
	s_barrier
	buffer_gl0_inv
	v_cmp_gt_i64_e32 vcc_lo, s[4:5], v[0:1]
	s_and_saveexec_b32 s4, vcc_lo
	s_cbranch_execz .LBB154_80
; %bb.11:
	s_cmp_eq_u64 s[0:1], 0
	s_cbranch_scc1 .LBB154_13
; %bb.12:
	s_load_b64 s[4:5], s[10:11], 0x0
	v_lshlrev_b64 v[0:1], 3, v[0:1]
	s_waitcnt lgkmcnt(0)
	s_lshl_b64 s[4:5], s[4:5], 3
	s_delay_alu instid0(SALU_CYCLE_1) | instskip(SKIP_1) | instid1(VALU_DEP_1)
	s_add_u32 s0, s0, s4
	s_addc_u32 s1, s1, s5
	v_add_co_u32 v0, vcc_lo, s0, v0
	v_add_co_ci_u32_e32 v1, vcc_lo, s1, v1, vcc_lo
	global_load_b64 v[0:1], v[0:1], off
.LBB154_13:
	s_load_b32 s35, s[2:3], 0x0
	s_waitcnt vmcnt(0)
	v_lshlrev_b64 v[12:13], 3, v[0:1]
	v_lshrrev_b32_e32 v47, 4, v9
	v_and_b32_e32 v10, 3, v8
	v_bfe_u32 v8, v8, 2, 2
	s_and_not1_b32 vcc_lo, exec_lo, s12
	s_mul_i32 s33, s8, s9
	s_mul_hi_u32 s34, s8, s8
	s_mul_i32 s2, s8, s8
	s_cbranch_vccnz .LBB154_49
; %bb.14:
	v_add_co_u32 v0, vcc_lo, s24, v12
	v_add_co_ci_u32_e32 v1, vcc_lo, s25, v13, vcc_lo
	v_sub_co_u32 v9, s0, v47, s36
	s_delay_alu instid0(VALU_DEP_1)
	v_sub_co_ci_u32_e64 v11, null, 0, 0, s0
	global_load_b128 v[0:3], v[0:1], off
	s_mov_b32 s25, 0
	s_mov_b32 s24, exec_lo
	s_waitcnt vmcnt(0)
	v_sub_co_u32 v18, vcc_lo, v2, s36
	v_subrev_co_ci_u32_e32 v19, vcc_lo, 0, v3, vcc_lo
	v_add_co_u32 v20, vcc_lo, v0, v9
	v_add_co_ci_u32_e32 v21, vcc_lo, v1, v11, vcc_lo
	s_delay_alu instid0(VALU_DEP_1)
	v_cmpx_lt_i64_e64 v[20:21], v[18:19]
	s_cbranch_execz .LBB154_48
; %bb.15:
	s_waitcnt lgkmcnt(0)
	s_cmp_lg_u32 s35, 0
	v_mul_lo_u32 v24, s2, v21
	s_cselect_b32 s49, -1, 0
	s_add_i32 s0, s34, s33
	v_mad_u64_u32 v[0:1], null, s2, v20, 0
	s_add_i32 s3, s0, s33
	v_dual_mov_b32 v11, 0 :: v_dual_lshlrev_b32 v22, 4, v10
	v_mul_lo_u32 v23, s3, v20
	v_mul_lo_u32 v25, s9, v20
	;; [unrolled: 1-line block ×3, first 2 shown]
	v_mad_u64_u32 v[2:3], null, s8, v20, 0
	v_mov_b32_e32 v9, v11
	v_cmp_gt_i64_e32 vcc_lo, s[8:9], v[10:11]
	s_lshl_b64 s[4:5], s[2:3], 6
	v_add3_u32 v1, v1, v24, v23
	v_lshlrev_b32_e32 v23, 4, v8
	v_cmp_gt_u64_e64 s0, s[8:9], v[8:9]
	v_add3_u32 v3, v3, v26, v25
	v_lshlrev_b32_e32 v9, 6, v8
	v_lshlrev_b64 v[0:1], 4, v[0:1]
	s_lshl_b64 s[10:11], s[8:9], 4
	s_delay_alu instid0(VALU_DEP_3) | instskip(SKIP_2) | instid1(VALU_DEP_2)
	v_lshlrev_b64 v[2:3], 4, v[2:3]
	s_and_b32 s50, vcc_lo, s0
	s_add_u32 s12, s46, 8
	v_add_co_u32 v0, vcc_lo, v0, v23
	v_add_co_ci_u32_e32 v1, vcc_lo, 0, v1, vcc_lo
	s_delay_alu instid0(VALU_DEP_3) | instskip(SKIP_1) | instid1(VALU_DEP_4)
	v_add_co_u32 v2, vcc_lo, v2, v23
	v_add_co_ci_u32_e32 v3, vcc_lo, 0, v3, vcc_lo
	v_add_co_u32 v23, vcc_lo, v0, s28
	s_delay_alu instid0(VALU_DEP_4) | instskip(NEXT) | instid1(VALU_DEP_3)
	v_add_co_ci_u32_e32 v25, vcc_lo, s29, v1, vcc_lo
	v_mul_lo_u32 v3, s8, v3
	v_mul_lo_u32 v26, s9, v2
	v_mad_u64_u32 v[0:1], null, s8, v2, s[28:29]
	v_add_co_u32 v24, vcc_lo, v23, 8
	v_add_co_ci_u32_e32 v25, vcc_lo, 0, v25, vcc_lo
	s_addc_u32 s13, s47, 0
	v_add3_u32 v9, v46, v22, v9
	s_delay_alu instid0(VALU_DEP_4)
	v_add3_u32 v1, v26, v1, v3
	v_add_co_u32 v26, s0, s12, v22
	v_add_co_u32 v28, vcc_lo, v0, 8
	v_mov_b32_e32 v23, v11
	v_add_co_ci_u32_e64 v27, null, s13, 0, s0
	v_add_co_ci_u32_e32 v29, vcc_lo, 0, v1, vcc_lo
	s_mov_b32 s28, s37
	s_lshl_b64 s[14:15], s[2:3], 4
	s_branch .LBB154_17
.LBB154_16:                             ;   in Loop: Header=BB154_17 Depth=1
	s_or_b32 exec_lo, exec_lo, s3
	v_add_co_u32 v20, vcc_lo, v20, 4
	v_add_co_ci_u32_e32 v21, vcc_lo, 0, v21, vcc_lo
	v_add_co_u32 v24, vcc_lo, v24, s4
	v_add_co_ci_u32_e32 v25, vcc_lo, s5, v25, vcc_lo
	s_delay_alu instid0(VALU_DEP_3) | instskip(SKIP_1) | instid1(VALU_DEP_1)
	v_cmp_ge_i64_e32 vcc_lo, v[20:21], v[18:19]
	v_add_co_u32 v28, s0, v28, s4
	v_add_co_ci_u32_e64 v29, s0, s5, v29, s0
	s_or_b32 s25, vcc_lo, s25
	s_delay_alu instid0(SALU_CYCLE_1)
	s_and_not1_b32 exec_lo, exec_lo, s25
	s_cbranch_execz .LBB154_48
.LBB154_17:                             ; =>This Loop Header: Depth=1
                                        ;     Child Loop BB154_20 Depth 2
                                        ;       Child Loop BB154_27 Depth 3
                                        ;       Child Loop BB154_23 Depth 3
	;; [unrolled: 1-line block ×3, first 2 shown]
                                        ;         Child Loop BB154_36 Depth 4
                                        ;         Child Loop BB154_38 Depth 4
	;; [unrolled: 1-line block ×4, first 2 shown]
	v_lshlrev_b64 v[0:1], 3, v[20:21]
	s_mov_b32 s3, exec_lo
	s_delay_alu instid0(VALU_DEP_1) | instskip(NEXT) | instid1(VALU_DEP_2)
	v_add_co_u32 v0, vcc_lo, s26, v0
	v_add_co_ci_u32_e32 v1, vcc_lo, s27, v1, vcc_lo
	global_load_b64 v[0:1], v[0:1], off
	s_waitcnt vmcnt(0)
	v_sub_co_u32 v0, vcc_lo, v0, s36
	v_subrev_co_ci_u32_e32 v1, vcc_lo, 0, v1, vcc_lo
	s_delay_alu instid0(VALU_DEP_1) | instskip(NEXT) | instid1(VALU_DEP_1)
	v_lshlrev_b64 v[0:1], 3, v[0:1]
	v_add_co_u32 v0, vcc_lo, s30, v0
	s_delay_alu instid0(VALU_DEP_2)
	v_add_co_ci_u32_e32 v1, vcc_lo, s31, v1, vcc_lo
	global_load_b128 v[0:3], v[0:1], off
	s_waitcnt vmcnt(0)
	v_cmpx_lt_i64_e64 v[0:1], v[2:3]
	s_cbranch_execz .LBB154_16
; %bb.18:                               ;   in Loop: Header=BB154_17 Depth=1
	v_sub_co_u32 v0, vcc_lo, v0, s28
	v_subrev_co_ci_u32_e32 v1, vcc_lo, 0, v1, vcc_lo
	v_sub_co_u32 v2, vcc_lo, v2, s28
	s_delay_alu instid0(VALU_DEP_3) | instskip(NEXT) | instid1(VALU_DEP_3)
	v_mul_lo_u32 v30, s11, v0
	v_mul_lo_u32 v11, s10, v1
	v_mad_u64_u32 v[32:33], null, s10, v0, v[22:23]
	v_mul_lo_u32 v34, s14, v1
	v_mul_lo_u32 v35, s15, v0
	v_subrev_co_ci_u32_e32 v3, vcc_lo, 0, v3, vcc_lo
	s_mov_b32 s29, 0
	s_delay_alu instid0(VALU_DEP_4) | instskip(SKIP_3) | instid1(VALU_DEP_4)
	v_add3_u32 v11, v30, v33, v11
	v_mul_lo_u32 v36, s9, v32
	v_mad_u64_u32 v[30:31], null, s8, v32, s[12:13]
	v_mad_u64_u32 v[32:33], null, s14, v0, v[26:27]
	v_mul_lo_u32 v11, s8, v11
	s_delay_alu instid0(VALU_DEP_2) | instskip(NEXT) | instid1(VALU_DEP_2)
	v_add3_u32 v33, v35, v33, v34
	v_add3_u32 v31, v36, v31, v11
	s_branch .LBB154_20
.LBB154_19:                             ;   in Loop: Header=BB154_20 Depth=2
	s_or_b32 exec_lo, exec_lo, s37
	v_add_co_u32 v0, vcc_lo, v0, 1
	v_add_co_ci_u32_e32 v1, vcc_lo, 0, v1, vcc_lo
	v_add_co_u32 v30, vcc_lo, v30, s14
	v_add_co_ci_u32_e32 v31, vcc_lo, s15, v31, vcc_lo
	s_delay_alu instid0(VALU_DEP_3) | instskip(SKIP_1) | instid1(VALU_DEP_1)
	v_cmp_ge_i64_e32 vcc_lo, v[0:1], v[2:3]
	v_add_co_u32 v32, s0, v32, s14
	v_add_co_ci_u32_e64 v33, s0, s15, v33, s0
	s_or_b32 s29, vcc_lo, s29
	s_delay_alu instid0(SALU_CYCLE_1)
	s_and_not1_b32 exec_lo, exec_lo, s29
	s_cbranch_execz .LBB154_16
.LBB154_20:                             ;   Parent Loop BB154_17 Depth=1
                                        ; =>  This Loop Header: Depth=2
                                        ;       Child Loop BB154_27 Depth 3
                                        ;       Child Loop BB154_23 Depth 3
	;; [unrolled: 1-line block ×3, first 2 shown]
                                        ;         Child Loop BB154_36 Depth 4
                                        ;         Child Loop BB154_38 Depth 4
	;; [unrolled: 1-line block ×4, first 2 shown]
	s_and_saveexec_b32 s37, s50
	s_cbranch_execz .LBB154_19
; %bb.21:                               ;   in Loop: Header=BB154_20 Depth=2
	v_lshlrev_b64 v[34:35], 3, v[0:1]
	s_delay_alu instid0(VALU_DEP_1) | instskip(NEXT) | instid1(VALU_DEP_2)
	v_add_co_u32 v34, vcc_lo, s44, v34
	v_add_co_ci_u32_e32 v35, vcc_lo, s45, v35, vcc_lo
	s_and_not1_b32 vcc_lo, exec_lo, s49
	global_load_b64 v[38:39], v[34:35], off
	s_cbranch_vccnz .LBB154_25
; %bb.22:                               ;   in Loop: Header=BB154_20 Depth=2
	v_dual_mov_b32 v36, 0 :: v_dual_mov_b32 v41, v31
	v_dual_mov_b32 v37, 0 :: v_dual_mov_b32 v40, v30
	;; [unrolled: 1-line block ×3, first 2 shown]
	s_delay_alu instid0(VALU_DEP_2)
	v_dual_mov_b32 v34, v36 :: v_dual_mov_b32 v35, v37
	s_mov_b64 s[0:1], s[8:9]
	.p2align	6
.LBB154_23:                             ;   Parent Loop BB154_17 Depth=1
                                        ;     Parent Loop BB154_20 Depth=2
                                        ; =>    This Inner Loop Header: Depth=3
	global_load_b128 v[48:51], v[42:43], off offset:-8
	global_load_b128 v[52:55], v[40:41], off offset:-8
	v_add_co_u32 v42, vcc_lo, v42, s10
	v_add_co_ci_u32_e32 v43, vcc_lo, s11, v43, vcc_lo
	v_add_co_u32 v40, vcc_lo, v40, 16
	v_add_co_ci_u32_e32 v41, vcc_lo, 0, v41, vcc_lo
	s_add_u32 s0, s0, -1
	s_addc_u32 s1, s1, -1
	s_delay_alu instid0(SALU_CYCLE_1) | instskip(SKIP_3) | instid1(VALU_DEP_2)
	s_cmp_lg_u64 s[0:1], 0
	s_waitcnt vmcnt(0)
	v_fma_f64 v[36:37], v[48:49], v[52:53], v[36:37]
	v_fma_f64 v[34:35], v[50:51], v[52:53], v[34:35]
	v_fma_f64 v[36:37], -v[50:51], v[54:55], v[36:37]
	s_delay_alu instid0(VALU_DEP_2)
	v_fma_f64 v[34:35], v[48:49], v[54:55], v[34:35]
	s_cbranch_scc1 .LBB154_23
; %bb.24:                               ;   in Loop: Header=BB154_20 Depth=2
	s_branch .LBB154_28
.LBB154_25:                             ;   in Loop: Header=BB154_20 Depth=2
                                        ; implicit-def: $vgpr36_vgpr37
                                        ; implicit-def: $vgpr34_vgpr35
	s_cbranch_execz .LBB154_28
; %bb.26:                               ;   in Loop: Header=BB154_20 Depth=2
	v_dual_mov_b32 v36, 0 :: v_dual_mov_b32 v41, v29
	v_dual_mov_b32 v37, 0 :: v_dual_mov_b32 v40, v28
	;; [unrolled: 1-line block ×3, first 2 shown]
	s_delay_alu instid0(VALU_DEP_2)
	v_dual_mov_b32 v34, v36 :: v_dual_mov_b32 v35, v37
	s_mov_b64 s[0:1], s[8:9]
	.p2align	6
.LBB154_27:                             ;   Parent Loop BB154_17 Depth=1
                                        ;     Parent Loop BB154_20 Depth=2
                                        ; =>    This Inner Loop Header: Depth=3
	global_load_b128 v[48:51], v[40:41], off offset:-8
	global_load_b128 v[52:55], v[42:43], off offset:-8
	v_add_co_u32 v42, vcc_lo, v42, s10
	v_add_co_ci_u32_e32 v43, vcc_lo, s11, v43, vcc_lo
	v_add_co_u32 v40, vcc_lo, v40, 16
	v_add_co_ci_u32_e32 v41, vcc_lo, 0, v41, vcc_lo
	s_add_u32 s0, s0, -1
	s_addc_u32 s1, s1, -1
	s_delay_alu instid0(SALU_CYCLE_1) | instskip(SKIP_3) | instid1(VALU_DEP_2)
	s_cmp_eq_u64 s[0:1], 0
	s_waitcnt vmcnt(0)
	v_fma_f64 v[36:37], v[48:49], v[52:53], v[36:37]
	v_fma_f64 v[34:35], v[50:51], v[52:53], v[34:35]
	v_fma_f64 v[36:37], -v[50:51], v[54:55], v[36:37]
	s_delay_alu instid0(VALU_DEP_2)
	v_fma_f64 v[34:35], v[48:49], v[54:55], v[34:35]
	s_cbranch_scc0 .LBB154_27
.LBB154_28:                             ;   in Loop: Header=BB154_20 Depth=2
	s_delay_alu instid0(VALU_DEP_1)
	v_mul_f64 v[40:41], v[34:35], -v[16:17]
	v_mul_f64 v[42:43], v[14:15], v[34:35]
	s_waitcnt vmcnt(0)
	v_sub_co_u32 v38, vcc_lo, v38, s28
	v_subrev_co_ci_u32_e32 v39, vcc_lo, 0, v39, vcc_lo
	s_mov_b32 s0, 0
	s_delay_alu instid0(VALU_DEP_2)
	v_and_b32_e32 v11, 7, v38
	v_fma_f64 v[34:35], v[14:15], v[36:37], v[40:41]
	v_fma_f64 v[36:37], v[16:17], v[36:37], v[42:43]
	s_branch .LBB154_30
.LBB154_29:                             ;   in Loop: Header=BB154_30 Depth=3
	s_or_b32 exec_lo, exec_lo, s1
	s_xor_b32 s1, s46, -1
	s_delay_alu instid0(SALU_CYCLE_1) | instskip(NEXT) | instid1(SALU_CYCLE_1)
	s_and_b32 s1, exec_lo, s1
	s_or_b32 s0, s1, s0
	s_delay_alu instid0(SALU_CYCLE_1)
	s_and_not1_b32 exec_lo, exec_lo, s0
	s_cbranch_execz .LBB154_19
.LBB154_30:                             ;   Parent Loop BB154_17 Depth=1
                                        ;     Parent Loop BB154_20 Depth=2
                                        ; =>    This Loop Header: Depth=3
                                        ;         Child Loop BB154_36 Depth 4
                                        ;         Child Loop BB154_38 Depth 4
	;; [unrolled: 1-line block ×4, first 2 shown]
	s_delay_alu instid0(VALU_DEP_3)
	v_lshl_add_u32 v42, v11, 3, v44
	s_mov_b32 s1, exec_lo
                                        ; implicit-def: $sgpr46
	ds_load_b64 v[40:41], v42
	s_waitcnt lgkmcnt(0)
	v_cmpx_ne_u64_e64 v[40:41], v[38:39]
	s_xor_b32 s1, exec_lo, s1
	s_cbranch_execz .LBB154_42
; %bb.31:                               ;   in Loop: Header=BB154_30 Depth=3
	s_mov_b32 s47, exec_lo
                                        ; implicit-def: $sgpr46
	v_cmpx_ne_u64_e64 s[6:7], v[40:41]
	s_xor_b32 s47, exec_lo, s47
; %bb.32:                               ;   in Loop: Header=BB154_30 Depth=3
	v_add_nc_u32_e32 v11, 1, v11
	s_mov_b32 s46, -1
                                        ; implicit-def: $vgpr42
	s_delay_alu instid0(VALU_DEP_1)
	v_and_b32_e32 v11, 7, v11
; %bb.33:                               ;   in Loop: Header=BB154_30 Depth=3
	s_and_not1_saveexec_b32 s47, s47
	s_cbranch_execz .LBB154_41
; %bb.34:                               ;   in Loop: Header=BB154_30 Depth=3
	v_dual_mov_b32 v41, s7 :: v_dual_mov_b32 v40, s6
	s_mov_b32 s52, -1
	s_mov_b32 s51, exec_lo
	ds_cmpstore_rtn_b64 v[40:41], v42, v[38:39], v[40:41]
	s_waitcnt lgkmcnt(0)
	v_cmpx_eq_u64_e64 s[6:7], v[40:41]
	s_cbranch_execz .LBB154_40
; %bb.35:                               ;   in Loop: Header=BB154_30 Depth=3
	v_lshlrev_b32_e32 v40, 8, v11
	s_mov_b32 s52, 0
	s_delay_alu instid0(VALU_DEP_1)
	v_add_nc_u32_e32 v42, v9, v40
	ds_load_b64 v[40:41], v42
.LBB154_36:                             ;   Parent Loop BB154_17 Depth=1
                                        ;     Parent Loop BB154_20 Depth=2
                                        ;       Parent Loop BB154_30 Depth=3
                                        ; =>      This Inner Loop Header: Depth=4
	s_waitcnt lgkmcnt(0)
	v_add_f64 v[48:49], v[40:41], v[34:35]
	ds_cmpstore_rtn_b64 v[48:49], v42, v[48:49], v[40:41]
	s_waitcnt lgkmcnt(0)
	v_cmp_eq_u64_e32 vcc_lo, v[48:49], v[40:41]
	v_dual_mov_b32 v40, v48 :: v_dual_mov_b32 v41, v49
	s_or_b32 s52, vcc_lo, s52
	s_delay_alu instid0(SALU_CYCLE_1)
	s_and_not1_b32 exec_lo, exec_lo, s52
	s_cbranch_execnz .LBB154_36
; %bb.37:                               ;   in Loop: Header=BB154_30 Depth=3
	s_or_b32 exec_lo, exec_lo, s52
	ds_load_b64 v[40:41], v42 offset:8
	s_mov_b32 s52, 0
.LBB154_38:                             ;   Parent Loop BB154_17 Depth=1
                                        ;     Parent Loop BB154_20 Depth=2
                                        ;       Parent Loop BB154_30 Depth=3
                                        ; =>      This Inner Loop Header: Depth=4
	s_waitcnt lgkmcnt(0)
	v_add_f64 v[48:49], v[40:41], v[36:37]
	ds_cmpstore_rtn_b64 v[48:49], v42, v[48:49], v[40:41] offset:8
	s_waitcnt lgkmcnt(0)
	v_cmp_eq_u64_e32 vcc_lo, v[48:49], v[40:41]
	v_dual_mov_b32 v40, v48 :: v_dual_mov_b32 v41, v49
	s_or_b32 s52, vcc_lo, s52
	s_delay_alu instid0(SALU_CYCLE_1)
	s_and_not1_b32 exec_lo, exec_lo, s52
	s_cbranch_execnz .LBB154_38
; %bb.39:                               ;   in Loop: Header=BB154_30 Depth=3
	s_or_b32 exec_lo, exec_lo, s52
	s_delay_alu instid0(SALU_CYCLE_1)
	s_xor_b32 s52, exec_lo, -1
.LBB154_40:                             ;   in Loop: Header=BB154_30 Depth=3
	s_or_b32 exec_lo, exec_lo, s51
	s_delay_alu instid0(SALU_CYCLE_1) | instskip(SKIP_1) | instid1(SALU_CYCLE_1)
	s_and_not1_b32 s46, s46, exec_lo
	s_and_b32 s51, s52, exec_lo
	s_or_b32 s46, s46, s51
.LBB154_41:                             ;   in Loop: Header=BB154_30 Depth=3
	s_or_b32 exec_lo, exec_lo, s47
	s_delay_alu instid0(SALU_CYCLE_1)
	s_and_b32 s46, s46, exec_lo
.LBB154_42:                             ;   in Loop: Header=BB154_30 Depth=3
	s_and_not1_saveexec_b32 s1, s1
	s_cbranch_execz .LBB154_29
; %bb.43:                               ;   in Loop: Header=BB154_30 Depth=3
	v_lshlrev_b32_e32 v40, 8, v11
	s_mov_b32 s47, 0
	s_delay_alu instid0(VALU_DEP_1)
	v_add_nc_u32_e32 v42, v9, v40
	ds_load_b64 v[40:41], v42
.LBB154_44:                             ;   Parent Loop BB154_17 Depth=1
                                        ;     Parent Loop BB154_20 Depth=2
                                        ;       Parent Loop BB154_30 Depth=3
                                        ; =>      This Inner Loop Header: Depth=4
	s_waitcnt lgkmcnt(0)
	v_add_f64 v[48:49], v[40:41], v[34:35]
	ds_cmpstore_rtn_b64 v[48:49], v42, v[48:49], v[40:41]
	s_waitcnt lgkmcnt(0)
	v_cmp_eq_u64_e32 vcc_lo, v[48:49], v[40:41]
	v_dual_mov_b32 v40, v48 :: v_dual_mov_b32 v41, v49
	s_or_b32 s47, vcc_lo, s47
	s_delay_alu instid0(SALU_CYCLE_1)
	s_and_not1_b32 exec_lo, exec_lo, s47
	s_cbranch_execnz .LBB154_44
; %bb.45:                               ;   in Loop: Header=BB154_30 Depth=3
	s_or_b32 exec_lo, exec_lo, s47
	ds_load_b64 v[40:41], v42 offset:8
	s_mov_b32 s47, 0
.LBB154_46:                             ;   Parent Loop BB154_17 Depth=1
                                        ;     Parent Loop BB154_20 Depth=2
                                        ;       Parent Loop BB154_30 Depth=3
                                        ; =>      This Inner Loop Header: Depth=4
	s_waitcnt lgkmcnt(0)
	v_add_f64 v[48:49], v[40:41], v[36:37]
	ds_cmpstore_rtn_b64 v[48:49], v42, v[48:49], v[40:41] offset:8
	s_waitcnt lgkmcnt(0)
	v_cmp_eq_u64_e32 vcc_lo, v[48:49], v[40:41]
	v_dual_mov_b32 v40, v48 :: v_dual_mov_b32 v41, v49
	s_or_b32 s47, vcc_lo, s47
	s_delay_alu instid0(SALU_CYCLE_1)
	s_and_not1_b32 exec_lo, exec_lo, s47
	s_cbranch_execnz .LBB154_46
; %bb.47:                               ;   in Loop: Header=BB154_30 Depth=3
	s_or_b32 exec_lo, exec_lo, s47
	s_delay_alu instid0(SALU_CYCLE_1)
	s_and_not1_b32 s46, s46, exec_lo
	s_branch .LBB154_29
.LBB154_48:
	s_or_b32 exec_lo, exec_lo, s24
.LBB154_49:
	s_delay_alu instid0(SALU_CYCLE_1)
	s_and_not1_b32 vcc_lo, exec_lo, s48
	s_waitcnt lgkmcnt(0)
	s_barrier
	buffer_gl0_inv
	s_cbranch_vccnz .LBB154_75
; %bb.50:
	v_add_co_u32 v0, vcc_lo, s16, v12
	v_add_co_ci_u32_e32 v1, vcc_lo, s17, v13, vcc_lo
	v_sub_co_u32 v2, s0, v47, s39
	s_delay_alu instid0(VALU_DEP_1)
	v_sub_co_ci_u32_e64 v3, null, 0, 0, s0
	global_load_b128 v[14:17], v[0:1], off
	s_mov_b32 s3, 0
	s_mov_b32 s4, exec_lo
	s_waitcnt vmcnt(0)
	v_sub_co_u32 v0, vcc_lo, v16, s39
	v_subrev_co_ci_u32_e32 v1, vcc_lo, 0, v17, vcc_lo
	v_add_co_u32 v2, vcc_lo, v14, v2
	v_add_co_ci_u32_e32 v3, vcc_lo, v15, v3, vcc_lo
	s_delay_alu instid0(VALU_DEP_1)
	v_cmpx_lt_i64_e64 v[2:3], v[0:1]
	s_cbranch_execz .LBB154_74
; %bb.51:
	v_mad_u64_u32 v[14:15], null, v10, s8, 0
	v_mad_u64_u32 v[16:17], null, v8, s8, 0
	v_lshlrev_b32_e32 v21, 6, v8
	s_cmp_eq_u32 s35, 0
	s_mov_b32 s5, s39
	s_cselect_b32 s1, -1, 0
	s_delay_alu instid0(VALU_DEP_3) | instskip(NEXT) | instid1(VALU_DEP_3)
	v_dual_mov_b32 v9, v15 :: v_dual_lshlrev_b32 v20, 4, v10
	v_mov_b32_e32 v11, v17
	s_add_i32 s10, s34, s33
	s_delay_alu instid0(VALU_DEP_2) | instskip(NEXT) | instid1(VALU_DEP_2)
	v_mad_u64_u32 v[17:18], null, v10, s9, v[9:10]
	v_mad_u64_u32 v[18:19], null, v8, s9, v[11:12]
	v_mov_b32_e32 v11, 0
	s_delay_alu instid0(VALU_DEP_3) | instskip(NEXT) | instid1(VALU_DEP_2)
	v_mov_b32_e32 v15, v17
	v_mov_b32_e32 v9, v11
	s_delay_alu instid0(VALU_DEP_4) | instskip(SKIP_1) | instid1(VALU_DEP_4)
	v_mov_b32_e32 v17, v18
	v_cmp_gt_i64_e32 vcc_lo, s[8:9], v[10:11]
	v_lshlrev_b64 v[14:15], 4, v[14:15]
	s_delay_alu instid0(VALU_DEP_4) | instskip(NEXT) | instid1(VALU_DEP_4)
	v_lshlrev_b64 v[18:19], 4, v[8:9]
	v_lshlrev_b64 v[16:17], 4, v[16:17]
	s_delay_alu instid0(VALU_DEP_3) | instskip(NEXT) | instid1(VALU_DEP_1)
	v_add_co_u32 v11, s0, s20, v14
	v_add_co_ci_u32_e64 v14, s0, s21, v15, s0
	s_delay_alu instid0(VALU_DEP_3) | instskip(NEXT) | instid1(VALU_DEP_1)
	v_add_co_u32 v15, s0, s20, v16
	v_add_co_ci_u32_e64 v16, s0, s21, v17, s0
	s_delay_alu instid0(VALU_DEP_4) | instskip(NEXT) | instid1(VALU_DEP_1)
	v_add_co_u32 v17, s0, v11, v18
	v_add_co_ci_u32_e64 v14, s0, v14, v19, s0
	s_delay_alu instid0(VALU_DEP_4) | instskip(NEXT) | instid1(VALU_DEP_1)
	v_add_co_u32 v15, s0, v15, v20
	v_add_co_ci_u32_e64 v16, s0, 0, v16, s0
	v_cmp_gt_u64_e64 s0, s[8:9], v[8:9]
	v_add3_u32 v11, v46, v20, v21
	s_delay_alu instid0(VALU_DEP_4) | instskip(NEXT) | instid1(VALU_DEP_4)
	v_cndmask_b32_e64 v22, v17, v15, s1
	v_cndmask_b32_e64 v9, v14, v16, s1
	s_add_i32 s1, s10, s33
	s_delay_alu instid0(VALU_DEP_4)
	s_and_b32 s0, vcc_lo, s0
	s_branch .LBB154_53
.LBB154_52:                             ;   in Loop: Header=BB154_53 Depth=1
	s_or_b32 exec_lo, exec_lo, s10
	v_add_co_u32 v2, vcc_lo, v2, 4
	v_add_co_ci_u32_e32 v3, vcc_lo, 0, v3, vcc_lo
	s_delay_alu instid0(VALU_DEP_1) | instskip(SKIP_1) | instid1(SALU_CYCLE_1)
	v_cmp_ge_i64_e32 vcc_lo, v[2:3], v[0:1]
	s_or_b32 s3, vcc_lo, s3
	s_and_not1_b32 exec_lo, exec_lo, s3
	s_cbranch_execz .LBB154_74
.LBB154_53:                             ; =>This Loop Header: Depth=1
                                        ;     Child Loop BB154_56 Depth 2
                                        ;       Child Loop BB154_62 Depth 3
                                        ;       Child Loop BB154_64 Depth 3
                                        ;       Child Loop BB154_70 Depth 3
                                        ;       Child Loop BB154_72 Depth 3
	s_and_saveexec_b32 s10, s0
	s_cbranch_execz .LBB154_52
; %bb.54:                               ;   in Loop: Header=BB154_53 Depth=1
	v_mul_lo_u32 v16, s1, v2
	v_mul_lo_u32 v17, s2, v3
	v_mad_u64_u32 v[14:15], null, s2, v2, 0
	s_mov_b32 s11, 0
	s_delay_alu instid0(VALU_DEP_1) | instskip(NEXT) | instid1(VALU_DEP_1)
	v_add3_u32 v15, v15, v17, v16
	v_lshlrev_b64 v[14:15], 4, v[14:15]
	s_delay_alu instid0(VALU_DEP_1) | instskip(NEXT) | instid1(VALU_DEP_2)
	v_add_co_u32 v14, vcc_lo, v22, v14
	v_add_co_ci_u32_e32 v15, vcc_lo, v9, v15, vcc_lo
	global_load_b128 v[16:19], v[14:15], off
	v_lshlrev_b64 v[14:15], 3, v[2:3]
	s_delay_alu instid0(VALU_DEP_1) | instskip(NEXT) | instid1(VALU_DEP_2)
	v_add_co_u32 v14, vcc_lo, s18, v14
	v_add_co_ci_u32_e32 v15, vcc_lo, s19, v15, vcc_lo
	global_load_b64 v[20:21], v[14:15], off
	s_waitcnt vmcnt(1)
	v_mul_f64 v[14:15], v[18:19], -v[4:5]
	v_mul_f64 v[18:19], v[6:7], v[18:19]
	s_delay_alu instid0(VALU_DEP_2) | instskip(NEXT) | instid1(VALU_DEP_2)
	v_fma_f64 v[14:15], v[6:7], v[16:17], v[14:15]
	v_fma_f64 v[16:17], v[4:5], v[16:17], v[18:19]
	s_waitcnt vmcnt(0)
	v_sub_co_u32 v18, vcc_lo, v20, s5
	v_subrev_co_ci_u32_e32 v19, vcc_lo, 0, v21, vcc_lo
	s_delay_alu instid0(VALU_DEP_2)
	v_and_b32_e32 v23, 7, v18
	s_branch .LBB154_56
.LBB154_55:                             ;   in Loop: Header=BB154_56 Depth=2
	s_or_b32 exec_lo, exec_lo, s12
	s_xor_b32 s12, s13, -1
	s_delay_alu instid0(SALU_CYCLE_1) | instskip(NEXT) | instid1(SALU_CYCLE_1)
	s_and_b32 s12, exec_lo, s12
	s_or_b32 s11, s12, s11
	s_delay_alu instid0(SALU_CYCLE_1)
	s_and_not1_b32 exec_lo, exec_lo, s11
	s_cbranch_execz .LBB154_52
.LBB154_56:                             ;   Parent Loop BB154_53 Depth=1
                                        ; =>  This Loop Header: Depth=2
                                        ;       Child Loop BB154_62 Depth 3
                                        ;       Child Loop BB154_64 Depth 3
	;; [unrolled: 1-line block ×4, first 2 shown]
	s_delay_alu instid0(VALU_DEP_1)
	v_lshl_add_u32 v24, v23, 3, v44
	s_mov_b32 s12, exec_lo
                                        ; implicit-def: $sgpr13
	ds_load_b64 v[20:21], v24
	s_waitcnt lgkmcnt(0)
	v_cmpx_ne_u64_e64 v[20:21], v[18:19]
	s_xor_b32 s12, exec_lo, s12
	s_cbranch_execz .LBB154_68
; %bb.57:                               ;   in Loop: Header=BB154_56 Depth=2
	s_mov_b32 s14, exec_lo
                                        ; implicit-def: $sgpr13
	v_cmpx_ne_u64_e64 s[6:7], v[20:21]
	s_xor_b32 s14, exec_lo, s14
; %bb.58:                               ;   in Loop: Header=BB154_56 Depth=2
	v_add_nc_u32_e32 v20, 1, v23
	s_mov_b32 s13, -1
                                        ; implicit-def: $vgpr24
	s_delay_alu instid0(VALU_DEP_1)
	v_and_b32_e32 v23, 7, v20
; %bb.59:                               ;   in Loop: Header=BB154_56 Depth=2
	s_and_not1_saveexec_b32 s14, s14
	s_cbranch_execz .LBB154_67
; %bb.60:                               ;   in Loop: Header=BB154_56 Depth=2
	v_dual_mov_b32 v21, s7 :: v_dual_mov_b32 v20, s6
	s_mov_b32 s16, -1
	s_mov_b32 s15, exec_lo
	ds_cmpstore_rtn_b64 v[20:21], v24, v[18:19], v[20:21]
	s_waitcnt lgkmcnt(0)
	v_cmpx_eq_u64_e64 s[6:7], v[20:21]
	s_cbranch_execz .LBB154_66
; %bb.61:                               ;   in Loop: Header=BB154_56 Depth=2
	v_lshlrev_b32_e32 v20, 8, v23
	s_mov_b32 s16, 0
	s_delay_alu instid0(VALU_DEP_1)
	v_add_nc_u32_e32 v24, v11, v20
	ds_load_b64 v[20:21], v24
.LBB154_62:                             ;   Parent Loop BB154_53 Depth=1
                                        ;     Parent Loop BB154_56 Depth=2
                                        ; =>    This Inner Loop Header: Depth=3
	s_waitcnt lgkmcnt(0)
	v_add_f64 v[25:26], v[20:21], v[14:15]
	ds_cmpstore_rtn_b64 v[25:26], v24, v[25:26], v[20:21]
	s_waitcnt lgkmcnt(0)
	v_cmp_eq_u64_e32 vcc_lo, v[25:26], v[20:21]
	v_dual_mov_b32 v20, v25 :: v_dual_mov_b32 v21, v26
	s_or_b32 s16, vcc_lo, s16
	s_delay_alu instid0(SALU_CYCLE_1)
	s_and_not1_b32 exec_lo, exec_lo, s16
	s_cbranch_execnz .LBB154_62
; %bb.63:                               ;   in Loop: Header=BB154_56 Depth=2
	s_or_b32 exec_lo, exec_lo, s16
	ds_load_b64 v[20:21], v24 offset:8
	s_mov_b32 s16, 0
.LBB154_64:                             ;   Parent Loop BB154_53 Depth=1
                                        ;     Parent Loop BB154_56 Depth=2
                                        ; =>    This Inner Loop Header: Depth=3
	s_waitcnt lgkmcnt(0)
	v_add_f64 v[25:26], v[20:21], v[16:17]
	ds_cmpstore_rtn_b64 v[25:26], v24, v[25:26], v[20:21] offset:8
	s_waitcnt lgkmcnt(0)
	v_cmp_eq_u64_e32 vcc_lo, v[25:26], v[20:21]
	v_dual_mov_b32 v20, v25 :: v_dual_mov_b32 v21, v26
	s_or_b32 s16, vcc_lo, s16
	s_delay_alu instid0(SALU_CYCLE_1)
	s_and_not1_b32 exec_lo, exec_lo, s16
	s_cbranch_execnz .LBB154_64
; %bb.65:                               ;   in Loop: Header=BB154_56 Depth=2
	s_or_b32 exec_lo, exec_lo, s16
	s_delay_alu instid0(SALU_CYCLE_1)
	s_xor_b32 s16, exec_lo, -1
.LBB154_66:                             ;   in Loop: Header=BB154_56 Depth=2
	s_or_b32 exec_lo, exec_lo, s15
	s_delay_alu instid0(SALU_CYCLE_1) | instskip(SKIP_1) | instid1(SALU_CYCLE_1)
	s_and_not1_b32 s13, s13, exec_lo
	s_and_b32 s15, s16, exec_lo
	s_or_b32 s13, s13, s15
.LBB154_67:                             ;   in Loop: Header=BB154_56 Depth=2
	s_or_b32 exec_lo, exec_lo, s14
	s_delay_alu instid0(SALU_CYCLE_1)
	s_and_b32 s13, s13, exec_lo
.LBB154_68:                             ;   in Loop: Header=BB154_56 Depth=2
	s_and_not1_saveexec_b32 s12, s12
	s_cbranch_execz .LBB154_55
; %bb.69:                               ;   in Loop: Header=BB154_56 Depth=2
	v_lshlrev_b32_e32 v20, 8, v23
	s_mov_b32 s14, 0
	s_delay_alu instid0(VALU_DEP_1)
	v_add_nc_u32_e32 v24, v11, v20
	ds_load_b64 v[20:21], v24
.LBB154_70:                             ;   Parent Loop BB154_53 Depth=1
                                        ;     Parent Loop BB154_56 Depth=2
                                        ; =>    This Inner Loop Header: Depth=3
	s_waitcnt lgkmcnt(0)
	v_add_f64 v[25:26], v[20:21], v[14:15]
	ds_cmpstore_rtn_b64 v[25:26], v24, v[25:26], v[20:21]
	s_waitcnt lgkmcnt(0)
	v_cmp_eq_u64_e32 vcc_lo, v[25:26], v[20:21]
	v_dual_mov_b32 v20, v25 :: v_dual_mov_b32 v21, v26
	s_or_b32 s14, vcc_lo, s14
	s_delay_alu instid0(SALU_CYCLE_1)
	s_and_not1_b32 exec_lo, exec_lo, s14
	s_cbranch_execnz .LBB154_70
; %bb.71:                               ;   in Loop: Header=BB154_56 Depth=2
	s_or_b32 exec_lo, exec_lo, s14
	ds_load_b64 v[20:21], v24 offset:8
	s_mov_b32 s14, 0
.LBB154_72:                             ;   Parent Loop BB154_53 Depth=1
                                        ;     Parent Loop BB154_56 Depth=2
                                        ; =>    This Inner Loop Header: Depth=3
	s_waitcnt lgkmcnt(0)
	v_add_f64 v[25:26], v[20:21], v[16:17]
	ds_cmpstore_rtn_b64 v[25:26], v24, v[25:26], v[20:21] offset:8
	s_waitcnt lgkmcnt(0)
	v_cmp_eq_u64_e32 vcc_lo, v[25:26], v[20:21]
	v_dual_mov_b32 v20, v25 :: v_dual_mov_b32 v21, v26
	s_or_b32 s14, vcc_lo, s14
	s_delay_alu instid0(SALU_CYCLE_1)
	s_and_not1_b32 exec_lo, exec_lo, s14
	s_cbranch_execnz .LBB154_72
; %bb.73:                               ;   in Loop: Header=BB154_56 Depth=2
	s_or_b32 exec_lo, exec_lo, s14
	s_delay_alu instid0(SALU_CYCLE_1)
	s_and_not1_b32 s13, s13, exec_lo
	s_branch .LBB154_55
.LBB154_74:
	s_or_b32 exec_lo, exec_lo, s4
.LBB154_75:
	v_add_co_u32 v0, vcc_lo, s22, v12
	v_add_co_ci_u32_e32 v1, vcc_lo, s23, v13, vcc_lo
	s_barrier
	buffer_gl0_inv
	global_load_b64 v[0:1], v[0:1], off
	v_mad_u64_u32 v[2:3], null, v8, s8, 0
	s_cmp_eq_u32 s35, 0
	v_lshlrev_b32_e32 v7, 4, v10
	s_cselect_b32 vcc_lo, -1, 0
	v_lshlrev_b32_e32 v13, 6, v45
	s_add_i32 s3, s34, s33
	v_lshlrev_b32_e32 v14, 3, v47
	s_delay_alu instid0(VALU_DEP_4) | instskip(SKIP_4) | instid1(VALU_DEP_3)
	v_mad_u64_u32 v[5:6], null, v8, s9, v[3:4]
	v_dual_cndmask_b32 v6, v10, v8 :: v_dual_cndmask_b32 v3, v8, v10
	v_mov_b32_e32 v11, 0
	v_or_b32_e32 v4, -4, v47
	s_add_i32 s3, s3, s33
	v_dual_mov_b32 v3, v5 :: v_dual_lshlrev_b32 v12, 4, v3
	s_delay_alu instid0(VALU_DEP_3) | instskip(SKIP_2) | instid1(VALU_DEP_4)
	v_mov_b32_e32 v9, v11
	v_cmp_gt_i64_e32 vcc_lo, s[8:9], v[10:11]
	v_or3_b32 v10, v13, v14, 0x2000
	v_lshl_or_b32 v5, v47, 8, v12
	v_lshlrev_b64 v[2:3], 4, v[2:3]
	v_cmp_gt_u64_e64 s0, s[8:9], v[8:9]
	s_delay_alu instid0(VALU_DEP_3) | instskip(NEXT) | instid1(VALU_DEP_3)
	v_lshl_or_b32 v5, v6, 6, v5
	v_add_co_u32 v2, s1, s42, v2
	s_delay_alu instid0(VALU_DEP_1) | instskip(NEXT) | instid1(VALU_DEP_3)
	v_add_co_ci_u32_e64 v3, s1, s43, v3, s1
	v_add_nc_u32_e32 v5, v46, v5
	s_delay_alu instid0(VALU_DEP_3) | instskip(NEXT) | instid1(VALU_DEP_1)
	v_add_co_u32 v6, s1, v2, v7
	v_add_co_ci_u32_e64 v7, s1, 0, v3, s1
	s_and_b32 s0, vcc_lo, s0
	s_waitcnt vmcnt(0)
	v_sub_co_u32 v8, s1, v0, s38
	s_delay_alu instid0(VALU_DEP_1)
	v_subrev_co_ci_u32_e64 v9, s1, 0, v1, s1
	s_mov_b32 s1, 0
	s_branch .LBB154_77
.LBB154_76:                             ;   in Loop: Header=BB154_77 Depth=1
	s_or_b32 exec_lo, exec_lo, s4
	v_add_co_u32 v4, s4, v4, 4
	s_delay_alu instid0(VALU_DEP_1) | instskip(SKIP_3) | instid1(SALU_CYCLE_1)
	s_xor_b32 s4, s4, -1
	v_add_nc_u32_e32 v5, 0x400, v5
	v_add_nc_u32_e32 v10, 32, v10
	s_and_b32 s4, exec_lo, s4
	s_or_b32 s1, s4, s1
	s_delay_alu instid0(SALU_CYCLE_1)
	s_and_not1_b32 exec_lo, exec_lo, s1
	s_cbranch_execz .LBB154_80
.LBB154_77:                             ; =>This Inner Loop Header: Depth=1
	ds_load_b64 v[0:1], v10
	s_mov_b32 s4, exec_lo
	s_waitcnt lgkmcnt(0)
	v_cmpx_gt_i64_e64 s[6:7], v[0:1]
	s_cbranch_execz .LBB154_76
; %bb.78:                               ;   in Loop: Header=BB154_77 Depth=1
	ds_load_b128 v[11:14], v44
	ds_load_b128 v[15:18], v44 offset:16
	ds_load_b128 v[19:22], v44 offset:32
	;; [unrolled: 1-line block ×3, first 2 shown]
	s_waitcnt lgkmcnt(3)
	v_cmp_gt_i64_e32 vcc_lo, v[0:1], v[11:12]
	v_cndmask_b32_e64 v2, 0, 1, vcc_lo
	v_cmp_gt_i64_e32 vcc_lo, v[0:1], v[13:14]
	v_cndmask_b32_e64 v3, 0, 1, vcc_lo
	s_delay_alu instid0(VALU_DEP_3)
	v_add_co_u32 v2, vcc_lo, v8, v2
	v_add_co_ci_u32_e32 v11, vcc_lo, 0, v9, vcc_lo
	s_waitcnt lgkmcnt(2)
	v_cmp_gt_i64_e32 vcc_lo, v[0:1], v[15:16]
	v_cndmask_b32_e64 v12, 0, 1, vcc_lo
	v_add_co_u32 v2, vcc_lo, v2, v3
	v_add_co_ci_u32_e32 v3, vcc_lo, 0, v11, vcc_lo
	v_cmp_gt_i64_e32 vcc_lo, v[0:1], v[17:18]
	v_cndmask_b32_e64 v11, 0, 1, vcc_lo
	s_delay_alu instid0(VALU_DEP_4) | instskip(NEXT) | instid1(VALU_DEP_4)
	v_add_co_u32 v2, vcc_lo, v2, v12
	v_add_co_ci_u32_e32 v3, vcc_lo, 0, v3, vcc_lo
	s_waitcnt lgkmcnt(1)
	v_cmp_gt_i64_e32 vcc_lo, v[0:1], v[19:20]
	v_cndmask_b32_e64 v12, 0, 1, vcc_lo
	v_add_co_u32 v2, vcc_lo, v2, v11
	v_add_co_ci_u32_e32 v3, vcc_lo, 0, v3, vcc_lo
	v_cmp_gt_i64_e32 vcc_lo, v[0:1], v[21:22]
	v_cndmask_b32_e64 v11, 0, 1, vcc_lo
	s_delay_alu instid0(VALU_DEP_4) | instskip(NEXT) | instid1(VALU_DEP_4)
	;; [unrolled: 10-line block ×3, first 2 shown]
	v_add_co_u32 v2, vcc_lo, v2, v12
	v_add_co_ci_u32_e32 v3, vcc_lo, 0, v3, vcc_lo
	s_delay_alu instid0(VALU_DEP_2) | instskip(NEXT) | instid1(VALU_DEP_2)
	v_add_co_u32 v2, vcc_lo, v2, v11
	v_add_co_ci_u32_e32 v3, vcc_lo, 0, v3, vcc_lo
	v_add_co_u32 v0, vcc_lo, v0, s38
	v_add_co_ci_u32_e32 v1, vcc_lo, 0, v1, vcc_lo
	s_delay_alu instid0(VALU_DEP_3) | instskip(NEXT) | instid1(VALU_DEP_1)
	v_lshlrev_b64 v[11:12], 3, v[2:3]
	v_add_co_u32 v11, vcc_lo, s40, v11
	s_delay_alu instid0(VALU_DEP_2)
	v_add_co_ci_u32_e32 v12, vcc_lo, s41, v12, vcc_lo
	global_store_b64 v[11:12], v[0:1], off
	s_and_b32 exec_lo, exec_lo, s0
	s_cbranch_execz .LBB154_76
; %bb.79:                               ;   in Loop: Header=BB154_77 Depth=1
	v_mul_lo_u32 v13, s3, v2
	v_mul_lo_u32 v14, s2, v3
	v_mad_u64_u32 v[11:12], null, s2, v2, 0
	ds_load_2addr_b64 v[0:3], v5 offset1:1
	v_add3_u32 v12, v12, v14, v13
	s_delay_alu instid0(VALU_DEP_1) | instskip(NEXT) | instid1(VALU_DEP_1)
	v_lshlrev_b64 v[11:12], 4, v[11:12]
	v_add_co_u32 v11, vcc_lo, v6, v11
	s_delay_alu instid0(VALU_DEP_2)
	v_add_co_ci_u32_e32 v12, vcc_lo, v7, v12, vcc_lo
	s_waitcnt lgkmcnt(0)
	global_store_b128 v[11:12], v[0:3], off
	s_branch .LBB154_76
.LBB154_80:
	s_nop 0
	s_sendmsg sendmsg(MSG_DEALLOC_VGPRS)
	s_endpgm
	.section	.rodata,"a",@progbits
	.p2align	6, 0x0
	.amdhsa_kernel _ZN9rocsparseL23bsrgemm_fill_wf_per_rowILj256ELj64ELj8ELj137ELj4Ell21rocsparse_complex_numIdEEEv20rocsparse_direction_T5_S4_S4_PKS4_S6_NS_24const_host_device_scalarIT6_EEPKT4_S6_PKS8_SC_S6_SE_S9_SC_S6_SE_SC_PS4_PS8_21rocsparse_index_base_SH_SH_SH_bbb
		.amdhsa_group_segment_fixed_size 12544
		.amdhsa_private_segment_fixed_size 0
		.amdhsa_kernarg_size 196
		.amdhsa_user_sgpr_count 15
		.amdhsa_user_sgpr_dispatch_ptr 1
		.amdhsa_user_sgpr_queue_ptr 0
		.amdhsa_user_sgpr_kernarg_segment_ptr 1
		.amdhsa_user_sgpr_dispatch_id 0
		.amdhsa_user_sgpr_private_segment_size 0
		.amdhsa_wavefront_size32 1
		.amdhsa_uses_dynamic_stack 0
		.amdhsa_enable_private_segment 0
		.amdhsa_system_sgpr_workgroup_id_x 1
		.amdhsa_system_sgpr_workgroup_id_y 0
		.amdhsa_system_sgpr_workgroup_id_z 0
		.amdhsa_system_sgpr_workgroup_info 0
		.amdhsa_system_vgpr_workitem_id 2
		.amdhsa_next_free_vgpr 56
		.amdhsa_next_free_sgpr 53
		.amdhsa_reserve_vcc 1
		.amdhsa_float_round_mode_32 0
		.amdhsa_float_round_mode_16_64 0
		.amdhsa_float_denorm_mode_32 3
		.amdhsa_float_denorm_mode_16_64 3
		.amdhsa_dx10_clamp 1
		.amdhsa_ieee_mode 1
		.amdhsa_fp16_overflow 0
		.amdhsa_workgroup_processor_mode 1
		.amdhsa_memory_ordered 1
		.amdhsa_forward_progress 0
		.amdhsa_shared_vgpr_count 0
		.amdhsa_exception_fp_ieee_invalid_op 0
		.amdhsa_exception_fp_denorm_src 0
		.amdhsa_exception_fp_ieee_div_zero 0
		.amdhsa_exception_fp_ieee_overflow 0
		.amdhsa_exception_fp_ieee_underflow 0
		.amdhsa_exception_fp_ieee_inexact 0
		.amdhsa_exception_int_div_zero 0
	.end_amdhsa_kernel
	.section	.text._ZN9rocsparseL23bsrgemm_fill_wf_per_rowILj256ELj64ELj8ELj137ELj4Ell21rocsparse_complex_numIdEEEv20rocsparse_direction_T5_S4_S4_PKS4_S6_NS_24const_host_device_scalarIT6_EEPKT4_S6_PKS8_SC_S6_SE_S9_SC_S6_SE_SC_PS4_PS8_21rocsparse_index_base_SH_SH_SH_bbb,"axG",@progbits,_ZN9rocsparseL23bsrgemm_fill_wf_per_rowILj256ELj64ELj8ELj137ELj4Ell21rocsparse_complex_numIdEEEv20rocsparse_direction_T5_S4_S4_PKS4_S6_NS_24const_host_device_scalarIT6_EEPKT4_S6_PKS8_SC_S6_SE_S9_SC_S6_SE_SC_PS4_PS8_21rocsparse_index_base_SH_SH_SH_bbb,comdat
.Lfunc_end154:
	.size	_ZN9rocsparseL23bsrgemm_fill_wf_per_rowILj256ELj64ELj8ELj137ELj4Ell21rocsparse_complex_numIdEEEv20rocsparse_direction_T5_S4_S4_PKS4_S6_NS_24const_host_device_scalarIT6_EEPKT4_S6_PKS8_SC_S6_SE_S9_SC_S6_SE_SC_PS4_PS8_21rocsparse_index_base_SH_SH_SH_bbb, .Lfunc_end154-_ZN9rocsparseL23bsrgemm_fill_wf_per_rowILj256ELj64ELj8ELj137ELj4Ell21rocsparse_complex_numIdEEEv20rocsparse_direction_T5_S4_S4_PKS4_S6_NS_24const_host_device_scalarIT6_EEPKT4_S6_PKS8_SC_S6_SE_S9_SC_S6_SE_SC_PS4_PS8_21rocsparse_index_base_SH_SH_SH_bbb
                                        ; -- End function
	.section	.AMDGPU.csdata,"",@progbits
; Kernel info:
; codeLenInByte = 4332
; NumSgprs: 55
; NumVgprs: 56
; ScratchSize: 0
; MemoryBound: 0
; FloatMode: 240
; IeeeMode: 1
; LDSByteSize: 12544 bytes/workgroup (compile time only)
; SGPRBlocks: 6
; VGPRBlocks: 6
; NumSGPRsForWavesPerEU: 55
; NumVGPRsForWavesPerEU: 56
; Occupancy: 16
; WaveLimiterHint : 1
; COMPUTE_PGM_RSRC2:SCRATCH_EN: 0
; COMPUTE_PGM_RSRC2:USER_SGPR: 15
; COMPUTE_PGM_RSRC2:TRAP_HANDLER: 0
; COMPUTE_PGM_RSRC2:TGID_X_EN: 1
; COMPUTE_PGM_RSRC2:TGID_Y_EN: 0
; COMPUTE_PGM_RSRC2:TGID_Z_EN: 0
; COMPUTE_PGM_RSRC2:TIDIG_COMP_CNT: 2
	.section	.text._ZN9rocsparseL23bsrgemm_fill_wf_per_rowILj256ELj64ELj16ELj137ELj4Ell21rocsparse_complex_numIdEEEv20rocsparse_direction_T5_S4_S4_PKS4_S6_NS_24const_host_device_scalarIT6_EEPKT4_S6_PKS8_SC_S6_SE_S9_SC_S6_SE_SC_PS4_PS8_21rocsparse_index_base_SH_SH_SH_bbb,"axG",@progbits,_ZN9rocsparseL23bsrgemm_fill_wf_per_rowILj256ELj64ELj16ELj137ELj4Ell21rocsparse_complex_numIdEEEv20rocsparse_direction_T5_S4_S4_PKS4_S6_NS_24const_host_device_scalarIT6_EEPKT4_S6_PKS8_SC_S6_SE_S9_SC_S6_SE_SC_PS4_PS8_21rocsparse_index_base_SH_SH_SH_bbb,comdat
	.globl	_ZN9rocsparseL23bsrgemm_fill_wf_per_rowILj256ELj64ELj16ELj137ELj4Ell21rocsparse_complex_numIdEEEv20rocsparse_direction_T5_S4_S4_PKS4_S6_NS_24const_host_device_scalarIT6_EEPKT4_S6_PKS8_SC_S6_SE_S9_SC_S6_SE_SC_PS4_PS8_21rocsparse_index_base_SH_SH_SH_bbb ; -- Begin function _ZN9rocsparseL23bsrgemm_fill_wf_per_rowILj256ELj64ELj16ELj137ELj4Ell21rocsparse_complex_numIdEEEv20rocsparse_direction_T5_S4_S4_PKS4_S6_NS_24const_host_device_scalarIT6_EEPKT4_S6_PKS8_SC_S6_SE_S9_SC_S6_SE_SC_PS4_PS8_21rocsparse_index_base_SH_SH_SH_bbb
	.p2align	8
	.type	_ZN9rocsparseL23bsrgemm_fill_wf_per_rowILj256ELj64ELj16ELj137ELj4Ell21rocsparse_complex_numIdEEEv20rocsparse_direction_T5_S4_S4_PKS4_S6_NS_24const_host_device_scalarIT6_EEPKT4_S6_PKS8_SC_S6_SE_S9_SC_S6_SE_SC_PS4_PS8_21rocsparse_index_base_SH_SH_SH_bbb,@function
_ZN9rocsparseL23bsrgemm_fill_wf_per_rowILj256ELj64ELj16ELj137ELj4Ell21rocsparse_complex_numIdEEEv20rocsparse_direction_T5_S4_S4_PKS4_S6_NS_24const_host_device_scalarIT6_EEPKT4_S6_PKS8_SC_S6_SE_S9_SC_S6_SE_SC_PS4_PS8_21rocsparse_index_base_SH_SH_SH_bbb: ; @_ZN9rocsparseL23bsrgemm_fill_wf_per_rowILj256ELj64ELj16ELj137ELj4Ell21rocsparse_complex_numIdEEEv20rocsparse_direction_T5_S4_S4_PKS4_S6_NS_24const_host_device_scalarIT6_EEPKT4_S6_PKS8_SC_S6_SE_S9_SC_S6_SE_SC_PS4_PS8_21rocsparse_index_base_SH_SH_SH_bbb
; %bb.0:
	s_clause 0x2
	s_load_b32 s13, s[0:1], 0xc0
	s_load_b128 s[8:11], s[0:1], 0x30
	s_load_b128 s[4:7], s[0:1], 0x70
	v_mov_b32_e32 v5, 0
	v_mov_b32_e32 v6, 0
	s_waitcnt lgkmcnt(0)
	s_bitcmp1_b32 s13, 0
	v_mov_b32_e32 v1, s8
	s_cselect_b32 s12, -1, 0
	s_bitcmp1_b32 s13, 16
	v_dual_mov_b32 v16, v6 :: v_dual_mov_b32 v15, v5
	s_cselect_b32 s2, -1, 0
	v_mov_b32_e32 v2, s9
	s_xor_b32 s3, s2, -1
	v_dual_mov_b32 v18, v6 :: v_dual_mov_b32 v17, v5
	v_cndmask_b32_e64 v7, 0, 1, s3
	v_dual_mov_b32 v3, s4 :: v_dual_mov_b32 v4, s5
	s_bitcmp0_b32 s13, 0
	s_clause 0x1
	scratch_store_b64 off, v[1:2], off
	scratch_store_b64 off, v[3:4], off offset:8
	v_cmp_ne_u32_e32 vcc_lo, 1, v7
	s_cbranch_scc1 .LBB155_3
; %bb.1:
	s_mov_b64 s[16:17], src_private_base
	s_and_b32 s14, s2, exec_lo
	s_cselect_b32 s14, s17, s9
	s_delay_alu instid0(SALU_CYCLE_1) | instskip(SKIP_2) | instid1(VALU_DEP_2)
	v_dual_mov_b32 v1, 0 :: v_dual_mov_b32 v2, s14
	v_dual_mov_b32 v18, s11 :: v_dual_mov_b32 v17, s10
	s_and_b32 vcc_lo, exec_lo, vcc_lo
	v_cndmask_b32_e64 v1, s8, v1, s2
	flat_load_b64 v[15:16], v[1:2]
	s_cbranch_vccnz .LBB155_3
; %bb.2:
	v_dual_mov_b32 v1, s8 :: v_dual_mov_b32 v2, s9
	flat_load_b64 v[17:18], v[1:2] offset:8
.LBB155_3:
	s_load_b128 s[36:39], s[0:1], 0xb0
	s_bitcmp1_b32 s13, 8
	v_dual_mov_b32 v8, v6 :: v_dual_mov_b32 v7, v5
	s_cselect_b32 s48, -1, 0
	s_bfe_u32 s8, s13, 0x10008
	s_delay_alu instid0(SALU_CYCLE_1)
	s_cmp_eq_u32 s8, 0
	s_cbranch_scc1 .LBB155_6
; %bb.4:
	s_mov_b64 s[8:9], src_private_base
	s_and_b32 s8, s2, exec_lo
	s_cselect_b32 s8, s9, s5
	s_delay_alu instid0(SALU_CYCLE_1) | instskip(SKIP_2) | instid1(VALU_DEP_2)
	v_dual_mov_b32 v1, 8 :: v_dual_mov_b32 v2, s8
	v_dual_mov_b32 v5, s6 :: v_dual_mov_b32 v6, s7
	s_and_not1_b32 vcc_lo, exec_lo, s3
	v_cndmask_b32_e64 v1, s4, v1, s2
	flat_load_b64 v[7:8], v[1:2]
	s_cbranch_vccnz .LBB155_6
; %bb.5:
	v_dual_mov_b32 v1, s4 :: v_dual_mov_b32 v2, s5
	flat_load_b64 v[5:6], v[1:2] offset:8
.LBB155_6:
	s_clause 0x5
	s_load_b128 s[40:43], s[0:1], 0xa0
	s_load_b256 s[16:23], s[0:1], 0x80
	s_load_b128 s[44:47], s[0:1], 0x60
	s_load_b256 s[4:11], s[0:1], 0x8
	s_load_b64 s[2:3], s[0:1], 0x28
	s_load_b256 s[24:31], s[0:1], 0x40
	v_lshrrev_b32_e32 v46, 6, v0
	v_and_b32_e32 v9, 63, v0
	s_mov_b32 s13, exec_lo
	s_delay_alu instid0(VALU_DEP_2) | instskip(NEXT) | instid1(VALU_DEP_2)
	v_lshl_or_b32 v45, v46, 7, 0x4000
	v_cmpx_gt_u32_e32 16, v9
	s_cbranch_execz .LBB155_8
; %bb.7:
	s_delay_alu instid0(VALU_DEP_2)
	v_lshl_add_u32 v3, v9, 3, v45
	s_waitcnt lgkmcnt(0)
	v_dual_mov_b32 v1, s6 :: v_dual_mov_b32 v2, s7
	ds_store_b64 v3, v[1:2]
.LBB155_8:
	s_or_b32 exec_lo, exec_lo, s13
	v_mov_b32_e32 v1, 0
	v_lshlrev_b32_e32 v47, 12, v46
	v_or_b32_e32 v10, 0xffffffc0, v9
	s_mov_b32 s13, 0
	s_delay_alu instid0(VALU_DEP_3) | instskip(NEXT) | instid1(VALU_DEP_3)
	v_mov_b32_e32 v2, v1
	v_lshl_or_b32 v11, v9, 4, v47
	v_mov_b32_e32 v3, v1
	v_mov_b32_e32 v4, v1
.LBB155_9:                              ; =>This Inner Loop Header: Depth=1
	v_add_nc_u32_e32 v10, 64, v10
	ds_store_b128 v11, v[1:4]
	v_add_nc_u32_e32 v11, 0x400, v11
	v_cmp_lt_u32_e32 vcc_lo, 0xbf, v10
	s_or_b32 s13, vcc_lo, s13
	s_delay_alu instid0(SALU_CYCLE_1)
	s_and_not1_b32 exec_lo, exec_lo, s13
	s_cbranch_execnz .LBB155_9
; %bb.10:
	s_or_b32 exec_lo, exec_lo, s13
	v_lshl_or_b32 v1, s15, 2, v46
	v_mov_b32_e32 v2, 0
	s_waitcnt vmcnt(0) lgkmcnt(0)
	s_waitcnt_vscnt null, 0x0
	s_barrier
	buffer_gl0_inv
	v_cmp_gt_i64_e32 vcc_lo, s[4:5], v[1:2]
	s_and_saveexec_b32 s4, vcc_lo
	s_cbranch_execz .LBB155_80
; %bb.11:
	s_cmp_eq_u64 s[2:3], 0
	s_cbranch_scc1 .LBB155_13
; %bb.12:
	s_load_b64 s[4:5], s[10:11], 0x0
	v_lshlrev_b64 v[1:2], 3, v[1:2]
	s_waitcnt lgkmcnt(0)
	s_lshl_b64 s[4:5], s[4:5], 3
	s_delay_alu instid0(SALU_CYCLE_1) | instskip(SKIP_1) | instid1(VALU_DEP_1)
	s_add_u32 s2, s2, s4
	s_addc_u32 s3, s3, s5
	v_add_co_u32 v1, vcc_lo, s2, v1
	v_add_co_ci_u32_e32 v2, vcc_lo, s3, v2, vcc_lo
	global_load_b64 v[1:2], v[1:2], off
.LBB155_13:
	s_load_b32 s35, s[0:1], 0x0
	s_waitcnt vmcnt(0)
	v_lshlrev_b64 v[13:14], 3, v[1:2]
	v_lshrrev_b32_e32 v4, 4, v9
	v_and_b32_e32 v11, 3, v0
	v_bfe_u32 v9, v0, 2, 2
	s_and_not1_b32 vcc_lo, exec_lo, s12
	s_mul_i32 s33, s8, s9
	s_mul_hi_u32 s34, s8, s8
	s_mul_i32 s2, s8, s8
	s_cbranch_vccnz .LBB155_49
; %bb.14:
	v_add_co_u32 v0, vcc_lo, s24, v13
	v_add_co_ci_u32_e32 v1, vcc_lo, s25, v14, vcc_lo
	v_sub_co_u32 v10, s0, v4, s36
	s_delay_alu instid0(VALU_DEP_1)
	v_sub_co_ci_u32_e64 v12, null, 0, 0, s0
	global_load_b128 v[0:3], v[0:1], off
	s_mov_b32 s25, 0
	s_mov_b32 s24, exec_lo
	s_waitcnt vmcnt(0)
	v_sub_co_u32 v19, vcc_lo, v2, s36
	v_subrev_co_ci_u32_e32 v20, vcc_lo, 0, v3, vcc_lo
	v_add_co_u32 v21, vcc_lo, v0, v10
	v_add_co_ci_u32_e32 v22, vcc_lo, v1, v12, vcc_lo
	s_delay_alu instid0(VALU_DEP_1)
	v_cmpx_lt_i64_e64 v[21:22], v[19:20]
	s_cbranch_execz .LBB155_48
; %bb.15:
	s_waitcnt lgkmcnt(0)
	s_cmp_lg_u32 s35, 0
	v_mul_lo_u32 v25, s2, v22
	s_cselect_b32 s49, -1, 0
	s_add_i32 s0, s34, s33
	v_mad_u64_u32 v[0:1], null, s2, v21, 0
	s_add_i32 s3, s0, s33
	v_dual_mov_b32 v12, 0 :: v_dual_lshlrev_b32 v23, 4, v11
	v_mul_lo_u32 v24, s3, v21
	v_mul_lo_u32 v26, s9, v21
	;; [unrolled: 1-line block ×3, first 2 shown]
	v_mad_u64_u32 v[2:3], null, s8, v21, 0
	v_mov_b32_e32 v10, v12
	v_cmp_gt_i64_e32 vcc_lo, s[8:9], v[11:12]
	s_lshl_b64 s[4:5], s[2:3], 6
	v_add3_u32 v1, v1, v25, v24
	v_lshlrev_b32_e32 v24, 4, v9
	v_cmp_gt_u64_e64 s0, s[8:9], v[9:10]
	v_add3_u32 v3, v3, v27, v26
	v_lshlrev_b32_e32 v10, 6, v9
	v_lshlrev_b64 v[0:1], 4, v[0:1]
	s_lshl_b64 s[10:11], s[8:9], 4
	s_delay_alu instid0(VALU_DEP_3) | instskip(SKIP_2) | instid1(VALU_DEP_2)
	v_lshlrev_b64 v[2:3], 4, v[2:3]
	s_and_b32 s50, vcc_lo, s0
	s_add_u32 s12, s46, 8
	v_add_co_u32 v0, vcc_lo, v0, v24
	v_add_co_ci_u32_e32 v1, vcc_lo, 0, v1, vcc_lo
	s_delay_alu instid0(VALU_DEP_3) | instskip(SKIP_1) | instid1(VALU_DEP_4)
	v_add_co_u32 v2, vcc_lo, v2, v24
	v_add_co_ci_u32_e32 v3, vcc_lo, 0, v3, vcc_lo
	v_add_co_u32 v24, vcc_lo, v0, s28
	s_delay_alu instid0(VALU_DEP_4) | instskip(NEXT) | instid1(VALU_DEP_3)
	v_add_co_ci_u32_e32 v26, vcc_lo, s29, v1, vcc_lo
	v_mul_lo_u32 v3, s8, v3
	v_mul_lo_u32 v27, s9, v2
	v_mad_u64_u32 v[0:1], null, s8, v2, s[28:29]
	v_add_co_u32 v25, vcc_lo, v24, 8
	v_add_co_ci_u32_e32 v26, vcc_lo, 0, v26, vcc_lo
	s_addc_u32 s13, s47, 0
	v_add3_u32 v10, v47, v23, v10
	s_delay_alu instid0(VALU_DEP_4)
	v_add3_u32 v1, v27, v1, v3
	v_add_co_u32 v27, s0, s12, v23
	v_add_co_u32 v29, vcc_lo, v0, 8
	v_mov_b32_e32 v24, v12
	v_add_co_ci_u32_e64 v28, null, s13, 0, s0
	v_add_co_ci_u32_e32 v30, vcc_lo, 0, v1, vcc_lo
	s_mov_b32 s28, s37
	s_lshl_b64 s[14:15], s[2:3], 4
	s_branch .LBB155_17
.LBB155_16:                             ;   in Loop: Header=BB155_17 Depth=1
	s_or_b32 exec_lo, exec_lo, s3
	v_add_co_u32 v21, vcc_lo, v21, 4
	v_add_co_ci_u32_e32 v22, vcc_lo, 0, v22, vcc_lo
	v_add_co_u32 v25, vcc_lo, v25, s4
	v_add_co_ci_u32_e32 v26, vcc_lo, s5, v26, vcc_lo
	s_delay_alu instid0(VALU_DEP_3) | instskip(SKIP_1) | instid1(VALU_DEP_1)
	v_cmp_ge_i64_e32 vcc_lo, v[21:22], v[19:20]
	v_add_co_u32 v29, s0, v29, s4
	v_add_co_ci_u32_e64 v30, s0, s5, v30, s0
	s_or_b32 s25, vcc_lo, s25
	s_delay_alu instid0(SALU_CYCLE_1)
	s_and_not1_b32 exec_lo, exec_lo, s25
	s_cbranch_execz .LBB155_48
.LBB155_17:                             ; =>This Loop Header: Depth=1
                                        ;     Child Loop BB155_20 Depth 2
                                        ;       Child Loop BB155_27 Depth 3
                                        ;       Child Loop BB155_23 Depth 3
	;; [unrolled: 1-line block ×3, first 2 shown]
                                        ;         Child Loop BB155_36 Depth 4
                                        ;         Child Loop BB155_38 Depth 4
	;; [unrolled: 1-line block ×4, first 2 shown]
	v_lshlrev_b64 v[0:1], 3, v[21:22]
	s_mov_b32 s3, exec_lo
	s_delay_alu instid0(VALU_DEP_1) | instskip(NEXT) | instid1(VALU_DEP_2)
	v_add_co_u32 v0, vcc_lo, s26, v0
	v_add_co_ci_u32_e32 v1, vcc_lo, s27, v1, vcc_lo
	global_load_b64 v[0:1], v[0:1], off
	s_waitcnt vmcnt(0)
	v_sub_co_u32 v0, vcc_lo, v0, s36
	v_subrev_co_ci_u32_e32 v1, vcc_lo, 0, v1, vcc_lo
	s_delay_alu instid0(VALU_DEP_1) | instskip(NEXT) | instid1(VALU_DEP_1)
	v_lshlrev_b64 v[0:1], 3, v[0:1]
	v_add_co_u32 v0, vcc_lo, s30, v0
	s_delay_alu instid0(VALU_DEP_2)
	v_add_co_ci_u32_e32 v1, vcc_lo, s31, v1, vcc_lo
	global_load_b128 v[0:3], v[0:1], off
	s_waitcnt vmcnt(0)
	v_cmpx_lt_i64_e64 v[0:1], v[2:3]
	s_cbranch_execz .LBB155_16
; %bb.18:                               ;   in Loop: Header=BB155_17 Depth=1
	v_sub_co_u32 v0, vcc_lo, v0, s28
	v_subrev_co_ci_u32_e32 v1, vcc_lo, 0, v1, vcc_lo
	v_sub_co_u32 v2, vcc_lo, v2, s28
	s_delay_alu instid0(VALU_DEP_3) | instskip(NEXT) | instid1(VALU_DEP_3)
	v_mul_lo_u32 v31, s11, v0
	v_mul_lo_u32 v12, s10, v1
	v_mad_u64_u32 v[33:34], null, s10, v0, v[23:24]
	v_mul_lo_u32 v35, s14, v1
	v_mul_lo_u32 v36, s15, v0
	v_subrev_co_ci_u32_e32 v3, vcc_lo, 0, v3, vcc_lo
	s_mov_b32 s29, 0
	s_delay_alu instid0(VALU_DEP_4) | instskip(SKIP_3) | instid1(VALU_DEP_4)
	v_add3_u32 v12, v31, v34, v12
	v_mul_lo_u32 v37, s9, v33
	v_mad_u64_u32 v[31:32], null, s8, v33, s[12:13]
	v_mad_u64_u32 v[33:34], null, s14, v0, v[27:28]
	v_mul_lo_u32 v12, s8, v12
	s_delay_alu instid0(VALU_DEP_2) | instskip(NEXT) | instid1(VALU_DEP_2)
	v_add3_u32 v34, v36, v34, v35
	v_add3_u32 v32, v37, v32, v12
	s_branch .LBB155_20
.LBB155_19:                             ;   in Loop: Header=BB155_20 Depth=2
	s_or_b32 exec_lo, exec_lo, s37
	v_add_co_u32 v0, vcc_lo, v0, 1
	v_add_co_ci_u32_e32 v1, vcc_lo, 0, v1, vcc_lo
	v_add_co_u32 v31, vcc_lo, v31, s14
	v_add_co_ci_u32_e32 v32, vcc_lo, s15, v32, vcc_lo
	s_delay_alu instid0(VALU_DEP_3) | instskip(SKIP_1) | instid1(VALU_DEP_1)
	v_cmp_ge_i64_e32 vcc_lo, v[0:1], v[2:3]
	v_add_co_u32 v33, s0, v33, s14
	v_add_co_ci_u32_e64 v34, s0, s15, v34, s0
	s_or_b32 s29, vcc_lo, s29
	s_delay_alu instid0(SALU_CYCLE_1)
	s_and_not1_b32 exec_lo, exec_lo, s29
	s_cbranch_execz .LBB155_16
.LBB155_20:                             ;   Parent Loop BB155_17 Depth=1
                                        ; =>  This Loop Header: Depth=2
                                        ;       Child Loop BB155_27 Depth 3
                                        ;       Child Loop BB155_23 Depth 3
                                        ;       Child Loop BB155_30 Depth 3
                                        ;         Child Loop BB155_36 Depth 4
                                        ;         Child Loop BB155_38 Depth 4
	;; [unrolled: 1-line block ×4, first 2 shown]
	s_and_saveexec_b32 s37, s50
	s_cbranch_execz .LBB155_19
; %bb.21:                               ;   in Loop: Header=BB155_20 Depth=2
	v_lshlrev_b64 v[35:36], 3, v[0:1]
	s_delay_alu instid0(VALU_DEP_1) | instskip(NEXT) | instid1(VALU_DEP_2)
	v_add_co_u32 v35, vcc_lo, s44, v35
	v_add_co_ci_u32_e32 v36, vcc_lo, s45, v36, vcc_lo
	s_and_not1_b32 vcc_lo, exec_lo, s49
	global_load_b64 v[39:40], v[35:36], off
	s_cbranch_vccnz .LBB155_25
; %bb.22:                               ;   in Loop: Header=BB155_20 Depth=2
	v_dual_mov_b32 v37, 0 :: v_dual_mov_b32 v42, v32
	v_dual_mov_b32 v38, 0 :: v_dual_mov_b32 v41, v31
	;; [unrolled: 1-line block ×3, first 2 shown]
	s_delay_alu instid0(VALU_DEP_2)
	v_dual_mov_b32 v35, v37 :: v_dual_mov_b32 v36, v38
	s_mov_b64 s[0:1], s[8:9]
	.p2align	6
.LBB155_23:                             ;   Parent Loop BB155_17 Depth=1
                                        ;     Parent Loop BB155_20 Depth=2
                                        ; =>    This Inner Loop Header: Depth=3
	global_load_b128 v[48:51], v[43:44], off offset:-8
	global_load_b128 v[52:55], v[41:42], off offset:-8
	v_add_co_u32 v43, vcc_lo, v43, s10
	v_add_co_ci_u32_e32 v44, vcc_lo, s11, v44, vcc_lo
	v_add_co_u32 v41, vcc_lo, v41, 16
	v_add_co_ci_u32_e32 v42, vcc_lo, 0, v42, vcc_lo
	s_add_u32 s0, s0, -1
	s_addc_u32 s1, s1, -1
	s_delay_alu instid0(SALU_CYCLE_1) | instskip(SKIP_3) | instid1(VALU_DEP_2)
	s_cmp_lg_u64 s[0:1], 0
	s_waitcnt vmcnt(0)
	v_fma_f64 v[37:38], v[48:49], v[52:53], v[37:38]
	v_fma_f64 v[35:36], v[50:51], v[52:53], v[35:36]
	v_fma_f64 v[37:38], -v[50:51], v[54:55], v[37:38]
	s_delay_alu instid0(VALU_DEP_2)
	v_fma_f64 v[35:36], v[48:49], v[54:55], v[35:36]
	s_cbranch_scc1 .LBB155_23
; %bb.24:                               ;   in Loop: Header=BB155_20 Depth=2
	s_branch .LBB155_28
.LBB155_25:                             ;   in Loop: Header=BB155_20 Depth=2
                                        ; implicit-def: $vgpr37_vgpr38
                                        ; implicit-def: $vgpr35_vgpr36
	s_cbranch_execz .LBB155_28
; %bb.26:                               ;   in Loop: Header=BB155_20 Depth=2
	v_dual_mov_b32 v37, 0 :: v_dual_mov_b32 v42, v30
	v_dual_mov_b32 v38, 0 :: v_dual_mov_b32 v41, v29
	v_dual_mov_b32 v44, v34 :: v_dual_mov_b32 v43, v33
	s_delay_alu instid0(VALU_DEP_2)
	v_dual_mov_b32 v35, v37 :: v_dual_mov_b32 v36, v38
	s_mov_b64 s[0:1], s[8:9]
	.p2align	6
.LBB155_27:                             ;   Parent Loop BB155_17 Depth=1
                                        ;     Parent Loop BB155_20 Depth=2
                                        ; =>    This Inner Loop Header: Depth=3
	global_load_b128 v[48:51], v[41:42], off offset:-8
	global_load_b128 v[52:55], v[43:44], off offset:-8
	v_add_co_u32 v43, vcc_lo, v43, s10
	v_add_co_ci_u32_e32 v44, vcc_lo, s11, v44, vcc_lo
	v_add_co_u32 v41, vcc_lo, v41, 16
	v_add_co_ci_u32_e32 v42, vcc_lo, 0, v42, vcc_lo
	s_add_u32 s0, s0, -1
	s_addc_u32 s1, s1, -1
	s_delay_alu instid0(SALU_CYCLE_1) | instskip(SKIP_3) | instid1(VALU_DEP_2)
	s_cmp_eq_u64 s[0:1], 0
	s_waitcnt vmcnt(0)
	v_fma_f64 v[37:38], v[48:49], v[52:53], v[37:38]
	v_fma_f64 v[35:36], v[50:51], v[52:53], v[35:36]
	v_fma_f64 v[37:38], -v[50:51], v[54:55], v[37:38]
	s_delay_alu instid0(VALU_DEP_2)
	v_fma_f64 v[35:36], v[48:49], v[54:55], v[35:36]
	s_cbranch_scc0 .LBB155_27
.LBB155_28:                             ;   in Loop: Header=BB155_20 Depth=2
	s_delay_alu instid0(VALU_DEP_1)
	v_mul_f64 v[41:42], v[35:36], -v[17:18]
	v_mul_f64 v[43:44], v[15:16], v[35:36]
	s_waitcnt vmcnt(0)
	v_sub_co_u32 v39, vcc_lo, v39, s28
	v_subrev_co_ci_u32_e32 v40, vcc_lo, 0, v40, vcc_lo
	s_mov_b32 s0, 0
	s_delay_alu instid0(VALU_DEP_2) | instskip(NEXT) | instid1(VALU_DEP_1)
	v_lshl_add_u32 v12, v39, 3, v39
	v_and_b32_e32 v12, 15, v12
	v_fma_f64 v[35:36], v[15:16], v[37:38], v[41:42]
	v_fma_f64 v[37:38], v[17:18], v[37:38], v[43:44]
	s_branch .LBB155_30
.LBB155_29:                             ;   in Loop: Header=BB155_30 Depth=3
	s_or_b32 exec_lo, exec_lo, s1
	s_xor_b32 s1, s46, -1
	s_delay_alu instid0(SALU_CYCLE_1) | instskip(NEXT) | instid1(SALU_CYCLE_1)
	s_and_b32 s1, exec_lo, s1
	s_or_b32 s0, s1, s0
	s_delay_alu instid0(SALU_CYCLE_1)
	s_and_not1_b32 exec_lo, exec_lo, s0
	s_cbranch_execz .LBB155_19
.LBB155_30:                             ;   Parent Loop BB155_17 Depth=1
                                        ;     Parent Loop BB155_20 Depth=2
                                        ; =>    This Loop Header: Depth=3
                                        ;         Child Loop BB155_36 Depth 4
                                        ;         Child Loop BB155_38 Depth 4
	;; [unrolled: 1-line block ×4, first 2 shown]
	s_delay_alu instid0(VALU_DEP_3)
	v_lshl_add_u32 v43, v12, 3, v45
	s_mov_b32 s1, exec_lo
                                        ; implicit-def: $sgpr46
	ds_load_b64 v[41:42], v43
	s_waitcnt lgkmcnt(0)
	v_cmpx_ne_u64_e64 v[41:42], v[39:40]
	s_xor_b32 s1, exec_lo, s1
	s_cbranch_execz .LBB155_42
; %bb.31:                               ;   in Loop: Header=BB155_30 Depth=3
	s_mov_b32 s47, exec_lo
                                        ; implicit-def: $sgpr46
	v_cmpx_ne_u64_e64 s[6:7], v[41:42]
	s_xor_b32 s47, exec_lo, s47
; %bb.32:                               ;   in Loop: Header=BB155_30 Depth=3
	v_add_nc_u32_e32 v12, 1, v12
	s_mov_b32 s46, -1
                                        ; implicit-def: $vgpr43
	s_delay_alu instid0(VALU_DEP_1)
	v_and_b32_e32 v12, 15, v12
; %bb.33:                               ;   in Loop: Header=BB155_30 Depth=3
	s_and_not1_saveexec_b32 s47, s47
	s_cbranch_execz .LBB155_41
; %bb.34:                               ;   in Loop: Header=BB155_30 Depth=3
	v_dual_mov_b32 v42, s7 :: v_dual_mov_b32 v41, s6
	s_mov_b32 s52, -1
	s_mov_b32 s51, exec_lo
	ds_cmpstore_rtn_b64 v[41:42], v43, v[39:40], v[41:42]
	s_waitcnt lgkmcnt(0)
	v_cmpx_eq_u64_e64 s[6:7], v[41:42]
	s_cbranch_execz .LBB155_40
; %bb.35:                               ;   in Loop: Header=BB155_30 Depth=3
	v_lshlrev_b32_e32 v41, 8, v12
	s_mov_b32 s52, 0
	s_delay_alu instid0(VALU_DEP_1)
	v_add_nc_u32_e32 v43, v10, v41
	ds_load_b64 v[41:42], v43
.LBB155_36:                             ;   Parent Loop BB155_17 Depth=1
                                        ;     Parent Loop BB155_20 Depth=2
                                        ;       Parent Loop BB155_30 Depth=3
                                        ; =>      This Inner Loop Header: Depth=4
	s_waitcnt lgkmcnt(0)
	v_add_f64 v[48:49], v[41:42], v[35:36]
	ds_cmpstore_rtn_b64 v[48:49], v43, v[48:49], v[41:42]
	s_waitcnt lgkmcnt(0)
	v_cmp_eq_u64_e32 vcc_lo, v[48:49], v[41:42]
	v_dual_mov_b32 v41, v48 :: v_dual_mov_b32 v42, v49
	s_or_b32 s52, vcc_lo, s52
	s_delay_alu instid0(SALU_CYCLE_1)
	s_and_not1_b32 exec_lo, exec_lo, s52
	s_cbranch_execnz .LBB155_36
; %bb.37:                               ;   in Loop: Header=BB155_30 Depth=3
	s_or_b32 exec_lo, exec_lo, s52
	ds_load_b64 v[41:42], v43 offset:8
	s_mov_b32 s52, 0
.LBB155_38:                             ;   Parent Loop BB155_17 Depth=1
                                        ;     Parent Loop BB155_20 Depth=2
                                        ;       Parent Loop BB155_30 Depth=3
                                        ; =>      This Inner Loop Header: Depth=4
	s_waitcnt lgkmcnt(0)
	v_add_f64 v[48:49], v[41:42], v[37:38]
	ds_cmpstore_rtn_b64 v[48:49], v43, v[48:49], v[41:42] offset:8
	s_waitcnt lgkmcnt(0)
	v_cmp_eq_u64_e32 vcc_lo, v[48:49], v[41:42]
	v_dual_mov_b32 v41, v48 :: v_dual_mov_b32 v42, v49
	s_or_b32 s52, vcc_lo, s52
	s_delay_alu instid0(SALU_CYCLE_1)
	s_and_not1_b32 exec_lo, exec_lo, s52
	s_cbranch_execnz .LBB155_38
; %bb.39:                               ;   in Loop: Header=BB155_30 Depth=3
	s_or_b32 exec_lo, exec_lo, s52
	s_delay_alu instid0(SALU_CYCLE_1)
	s_xor_b32 s52, exec_lo, -1
.LBB155_40:                             ;   in Loop: Header=BB155_30 Depth=3
	s_or_b32 exec_lo, exec_lo, s51
	s_delay_alu instid0(SALU_CYCLE_1) | instskip(SKIP_1) | instid1(SALU_CYCLE_1)
	s_and_not1_b32 s46, s46, exec_lo
	s_and_b32 s51, s52, exec_lo
	s_or_b32 s46, s46, s51
.LBB155_41:                             ;   in Loop: Header=BB155_30 Depth=3
	s_or_b32 exec_lo, exec_lo, s47
	s_delay_alu instid0(SALU_CYCLE_1)
	s_and_b32 s46, s46, exec_lo
.LBB155_42:                             ;   in Loop: Header=BB155_30 Depth=3
	s_and_not1_saveexec_b32 s1, s1
	s_cbranch_execz .LBB155_29
; %bb.43:                               ;   in Loop: Header=BB155_30 Depth=3
	v_lshlrev_b32_e32 v41, 8, v12
	s_mov_b32 s47, 0
	s_delay_alu instid0(VALU_DEP_1)
	v_add_nc_u32_e32 v43, v10, v41
	ds_load_b64 v[41:42], v43
.LBB155_44:                             ;   Parent Loop BB155_17 Depth=1
                                        ;     Parent Loop BB155_20 Depth=2
                                        ;       Parent Loop BB155_30 Depth=3
                                        ; =>      This Inner Loop Header: Depth=4
	s_waitcnt lgkmcnt(0)
	v_add_f64 v[48:49], v[41:42], v[35:36]
	ds_cmpstore_rtn_b64 v[48:49], v43, v[48:49], v[41:42]
	s_waitcnt lgkmcnt(0)
	v_cmp_eq_u64_e32 vcc_lo, v[48:49], v[41:42]
	v_dual_mov_b32 v41, v48 :: v_dual_mov_b32 v42, v49
	s_or_b32 s47, vcc_lo, s47
	s_delay_alu instid0(SALU_CYCLE_1)
	s_and_not1_b32 exec_lo, exec_lo, s47
	s_cbranch_execnz .LBB155_44
; %bb.45:                               ;   in Loop: Header=BB155_30 Depth=3
	s_or_b32 exec_lo, exec_lo, s47
	ds_load_b64 v[41:42], v43 offset:8
	s_mov_b32 s47, 0
.LBB155_46:                             ;   Parent Loop BB155_17 Depth=1
                                        ;     Parent Loop BB155_20 Depth=2
                                        ;       Parent Loop BB155_30 Depth=3
                                        ; =>      This Inner Loop Header: Depth=4
	s_waitcnt lgkmcnt(0)
	v_add_f64 v[48:49], v[41:42], v[37:38]
	ds_cmpstore_rtn_b64 v[48:49], v43, v[48:49], v[41:42] offset:8
	s_waitcnt lgkmcnt(0)
	v_cmp_eq_u64_e32 vcc_lo, v[48:49], v[41:42]
	v_dual_mov_b32 v41, v48 :: v_dual_mov_b32 v42, v49
	s_or_b32 s47, vcc_lo, s47
	s_delay_alu instid0(SALU_CYCLE_1)
	s_and_not1_b32 exec_lo, exec_lo, s47
	s_cbranch_execnz .LBB155_46
; %bb.47:                               ;   in Loop: Header=BB155_30 Depth=3
	s_or_b32 exec_lo, exec_lo, s47
	s_delay_alu instid0(SALU_CYCLE_1)
	s_and_not1_b32 s46, s46, exec_lo
	s_branch .LBB155_29
.LBB155_48:
	s_or_b32 exec_lo, exec_lo, s24
.LBB155_49:
	s_delay_alu instid0(SALU_CYCLE_1)
	s_and_not1_b32 vcc_lo, exec_lo, s48
	s_waitcnt lgkmcnt(0)
	s_barrier
	buffer_gl0_inv
	s_cbranch_vccnz .LBB155_75
; %bb.50:
	v_add_co_u32 v0, vcc_lo, s16, v13
	v_add_co_ci_u32_e32 v1, vcc_lo, s17, v14, vcc_lo
	v_sub_co_u32 v2, s0, v4, s39
	s_delay_alu instid0(VALU_DEP_1)
	v_sub_co_ci_u32_e64 v3, null, 0, 0, s0
	global_load_b128 v[15:18], v[0:1], off
	s_mov_b32 s3, 0
	s_mov_b32 s4, exec_lo
	s_waitcnt vmcnt(0)
	v_sub_co_u32 v0, vcc_lo, v17, s39
	v_subrev_co_ci_u32_e32 v1, vcc_lo, 0, v18, vcc_lo
	v_add_co_u32 v2, vcc_lo, v15, v2
	v_add_co_ci_u32_e32 v3, vcc_lo, v16, v3, vcc_lo
	s_delay_alu instid0(VALU_DEP_1)
	v_cmpx_lt_i64_e64 v[2:3], v[0:1]
	s_cbranch_execz .LBB155_74
; %bb.51:
	v_mad_u64_u32 v[15:16], null, v11, s8, 0
	v_mad_u64_u32 v[17:18], null, v9, s8, 0
	v_lshlrev_b32_e32 v22, 6, v9
	s_cmp_eq_u32 s35, 0
	s_mov_b32 s5, s39
	s_cselect_b32 s1, -1, 0
	s_delay_alu instid0(VALU_DEP_3) | instskip(NEXT) | instid1(VALU_DEP_3)
	v_dual_mov_b32 v10, v16 :: v_dual_lshlrev_b32 v21, 4, v11
	v_mov_b32_e32 v12, v18
	s_add_i32 s10, s34, s33
	s_delay_alu instid0(VALU_DEP_2) | instskip(NEXT) | instid1(VALU_DEP_2)
	v_mad_u64_u32 v[18:19], null, v11, s9, v[10:11]
	v_mad_u64_u32 v[19:20], null, v9, s9, v[12:13]
	v_mov_b32_e32 v12, 0
	s_delay_alu instid0(VALU_DEP_3) | instskip(NEXT) | instid1(VALU_DEP_2)
	v_mov_b32_e32 v16, v18
	v_mov_b32_e32 v10, v12
	s_delay_alu instid0(VALU_DEP_4) | instskip(SKIP_1) | instid1(VALU_DEP_4)
	v_mov_b32_e32 v18, v19
	v_cmp_gt_i64_e32 vcc_lo, s[8:9], v[11:12]
	v_lshlrev_b64 v[15:16], 4, v[15:16]
	s_delay_alu instid0(VALU_DEP_4) | instskip(NEXT) | instid1(VALU_DEP_4)
	v_lshlrev_b64 v[19:20], 4, v[9:10]
	v_lshlrev_b64 v[17:18], 4, v[17:18]
	s_delay_alu instid0(VALU_DEP_3) | instskip(NEXT) | instid1(VALU_DEP_1)
	v_add_co_u32 v12, s0, s20, v15
	v_add_co_ci_u32_e64 v15, s0, s21, v16, s0
	s_delay_alu instid0(VALU_DEP_3) | instskip(NEXT) | instid1(VALU_DEP_1)
	v_add_co_u32 v16, s0, s20, v17
	v_add_co_ci_u32_e64 v17, s0, s21, v18, s0
	s_delay_alu instid0(VALU_DEP_4) | instskip(NEXT) | instid1(VALU_DEP_1)
	v_add_co_u32 v18, s0, v12, v19
	v_add_co_ci_u32_e64 v15, s0, v15, v20, s0
	s_delay_alu instid0(VALU_DEP_4) | instskip(NEXT) | instid1(VALU_DEP_1)
	v_add_co_u32 v16, s0, v16, v21
	v_add_co_ci_u32_e64 v17, s0, 0, v17, s0
	v_cmp_gt_u64_e64 s0, s[8:9], v[9:10]
	v_add3_u32 v12, v47, v21, v22
	s_delay_alu instid0(VALU_DEP_4) | instskip(NEXT) | instid1(VALU_DEP_4)
	v_cndmask_b32_e64 v23, v18, v16, s1
	v_cndmask_b32_e64 v10, v15, v17, s1
	s_add_i32 s1, s10, s33
	s_delay_alu instid0(VALU_DEP_4)
	s_and_b32 s0, vcc_lo, s0
	s_branch .LBB155_53
.LBB155_52:                             ;   in Loop: Header=BB155_53 Depth=1
	s_or_b32 exec_lo, exec_lo, s10
	v_add_co_u32 v2, vcc_lo, v2, 4
	v_add_co_ci_u32_e32 v3, vcc_lo, 0, v3, vcc_lo
	s_delay_alu instid0(VALU_DEP_1) | instskip(SKIP_1) | instid1(SALU_CYCLE_1)
	v_cmp_ge_i64_e32 vcc_lo, v[2:3], v[0:1]
	s_or_b32 s3, vcc_lo, s3
	s_and_not1_b32 exec_lo, exec_lo, s3
	s_cbranch_execz .LBB155_74
.LBB155_53:                             ; =>This Loop Header: Depth=1
                                        ;     Child Loop BB155_56 Depth 2
                                        ;       Child Loop BB155_62 Depth 3
                                        ;       Child Loop BB155_64 Depth 3
                                        ;       Child Loop BB155_70 Depth 3
                                        ;       Child Loop BB155_72 Depth 3
	s_and_saveexec_b32 s10, s0
	s_cbranch_execz .LBB155_52
; %bb.54:                               ;   in Loop: Header=BB155_53 Depth=1
	v_mul_lo_u32 v17, s1, v2
	v_mul_lo_u32 v18, s2, v3
	v_mad_u64_u32 v[15:16], null, s2, v2, 0
	s_mov_b32 s11, 0
	s_delay_alu instid0(VALU_DEP_1) | instskip(NEXT) | instid1(VALU_DEP_1)
	v_add3_u32 v16, v16, v18, v17
	v_lshlrev_b64 v[15:16], 4, v[15:16]
	s_delay_alu instid0(VALU_DEP_1) | instskip(NEXT) | instid1(VALU_DEP_2)
	v_add_co_u32 v15, vcc_lo, v23, v15
	v_add_co_ci_u32_e32 v16, vcc_lo, v10, v16, vcc_lo
	global_load_b128 v[17:20], v[15:16], off
	v_lshlrev_b64 v[15:16], 3, v[2:3]
	s_delay_alu instid0(VALU_DEP_1) | instskip(NEXT) | instid1(VALU_DEP_2)
	v_add_co_u32 v15, vcc_lo, s18, v15
	v_add_co_ci_u32_e32 v16, vcc_lo, s19, v16, vcc_lo
	global_load_b64 v[21:22], v[15:16], off
	s_waitcnt vmcnt(1)
	v_mul_f64 v[15:16], v[19:20], -v[5:6]
	v_mul_f64 v[19:20], v[7:8], v[19:20]
	s_delay_alu instid0(VALU_DEP_2) | instskip(NEXT) | instid1(VALU_DEP_2)
	v_fma_f64 v[15:16], v[7:8], v[17:18], v[15:16]
	v_fma_f64 v[17:18], v[5:6], v[17:18], v[19:20]
	s_waitcnt vmcnt(0)
	v_sub_co_u32 v19, vcc_lo, v21, s5
	v_subrev_co_ci_u32_e32 v20, vcc_lo, 0, v22, vcc_lo
	s_delay_alu instid0(VALU_DEP_2) | instskip(NEXT) | instid1(VALU_DEP_1)
	v_lshl_add_u32 v21, v19, 3, v19
	v_and_b32_e32 v24, 15, v21
	s_branch .LBB155_56
.LBB155_55:                             ;   in Loop: Header=BB155_56 Depth=2
	s_or_b32 exec_lo, exec_lo, s12
	s_xor_b32 s12, s13, -1
	s_delay_alu instid0(SALU_CYCLE_1) | instskip(NEXT) | instid1(SALU_CYCLE_1)
	s_and_b32 s12, exec_lo, s12
	s_or_b32 s11, s12, s11
	s_delay_alu instid0(SALU_CYCLE_1)
	s_and_not1_b32 exec_lo, exec_lo, s11
	s_cbranch_execz .LBB155_52
.LBB155_56:                             ;   Parent Loop BB155_53 Depth=1
                                        ; =>  This Loop Header: Depth=2
                                        ;       Child Loop BB155_62 Depth 3
                                        ;       Child Loop BB155_64 Depth 3
	;; [unrolled: 1-line block ×4, first 2 shown]
	s_delay_alu instid0(VALU_DEP_1)
	v_lshl_add_u32 v25, v24, 3, v45
	s_mov_b32 s12, exec_lo
                                        ; implicit-def: $sgpr13
	ds_load_b64 v[21:22], v25
	s_waitcnt lgkmcnt(0)
	v_cmpx_ne_u64_e64 v[21:22], v[19:20]
	s_xor_b32 s12, exec_lo, s12
	s_cbranch_execz .LBB155_68
; %bb.57:                               ;   in Loop: Header=BB155_56 Depth=2
	s_mov_b32 s14, exec_lo
                                        ; implicit-def: $sgpr13
	v_cmpx_ne_u64_e64 s[6:7], v[21:22]
	s_xor_b32 s14, exec_lo, s14
; %bb.58:                               ;   in Loop: Header=BB155_56 Depth=2
	v_add_nc_u32_e32 v21, 1, v24
	s_mov_b32 s13, -1
                                        ; implicit-def: $vgpr25
	s_delay_alu instid0(VALU_DEP_1)
	v_and_b32_e32 v24, 15, v21
; %bb.59:                               ;   in Loop: Header=BB155_56 Depth=2
	s_and_not1_saveexec_b32 s14, s14
	s_cbranch_execz .LBB155_67
; %bb.60:                               ;   in Loop: Header=BB155_56 Depth=2
	v_dual_mov_b32 v22, s7 :: v_dual_mov_b32 v21, s6
	s_mov_b32 s16, -1
	s_mov_b32 s15, exec_lo
	ds_cmpstore_rtn_b64 v[21:22], v25, v[19:20], v[21:22]
	s_waitcnt lgkmcnt(0)
	v_cmpx_eq_u64_e64 s[6:7], v[21:22]
	s_cbranch_execz .LBB155_66
; %bb.61:                               ;   in Loop: Header=BB155_56 Depth=2
	v_lshlrev_b32_e32 v21, 8, v24
	s_mov_b32 s16, 0
	s_delay_alu instid0(VALU_DEP_1)
	v_add_nc_u32_e32 v25, v12, v21
	ds_load_b64 v[21:22], v25
.LBB155_62:                             ;   Parent Loop BB155_53 Depth=1
                                        ;     Parent Loop BB155_56 Depth=2
                                        ; =>    This Inner Loop Header: Depth=3
	s_waitcnt lgkmcnt(0)
	v_add_f64 v[26:27], v[21:22], v[15:16]
	ds_cmpstore_rtn_b64 v[26:27], v25, v[26:27], v[21:22]
	s_waitcnt lgkmcnt(0)
	v_cmp_eq_u64_e32 vcc_lo, v[26:27], v[21:22]
	v_dual_mov_b32 v21, v26 :: v_dual_mov_b32 v22, v27
	s_or_b32 s16, vcc_lo, s16
	s_delay_alu instid0(SALU_CYCLE_1)
	s_and_not1_b32 exec_lo, exec_lo, s16
	s_cbranch_execnz .LBB155_62
; %bb.63:                               ;   in Loop: Header=BB155_56 Depth=2
	s_or_b32 exec_lo, exec_lo, s16
	ds_load_b64 v[21:22], v25 offset:8
	s_mov_b32 s16, 0
.LBB155_64:                             ;   Parent Loop BB155_53 Depth=1
                                        ;     Parent Loop BB155_56 Depth=2
                                        ; =>    This Inner Loop Header: Depth=3
	s_waitcnt lgkmcnt(0)
	v_add_f64 v[26:27], v[21:22], v[17:18]
	ds_cmpstore_rtn_b64 v[26:27], v25, v[26:27], v[21:22] offset:8
	s_waitcnt lgkmcnt(0)
	v_cmp_eq_u64_e32 vcc_lo, v[26:27], v[21:22]
	v_dual_mov_b32 v21, v26 :: v_dual_mov_b32 v22, v27
	s_or_b32 s16, vcc_lo, s16
	s_delay_alu instid0(SALU_CYCLE_1)
	s_and_not1_b32 exec_lo, exec_lo, s16
	s_cbranch_execnz .LBB155_64
; %bb.65:                               ;   in Loop: Header=BB155_56 Depth=2
	s_or_b32 exec_lo, exec_lo, s16
	s_delay_alu instid0(SALU_CYCLE_1)
	s_xor_b32 s16, exec_lo, -1
.LBB155_66:                             ;   in Loop: Header=BB155_56 Depth=2
	s_or_b32 exec_lo, exec_lo, s15
	s_delay_alu instid0(SALU_CYCLE_1) | instskip(SKIP_1) | instid1(SALU_CYCLE_1)
	s_and_not1_b32 s13, s13, exec_lo
	s_and_b32 s15, s16, exec_lo
	s_or_b32 s13, s13, s15
.LBB155_67:                             ;   in Loop: Header=BB155_56 Depth=2
	s_or_b32 exec_lo, exec_lo, s14
	s_delay_alu instid0(SALU_CYCLE_1)
	s_and_b32 s13, s13, exec_lo
.LBB155_68:                             ;   in Loop: Header=BB155_56 Depth=2
	s_and_not1_saveexec_b32 s12, s12
	s_cbranch_execz .LBB155_55
; %bb.69:                               ;   in Loop: Header=BB155_56 Depth=2
	v_lshlrev_b32_e32 v21, 8, v24
	s_mov_b32 s14, 0
	s_delay_alu instid0(VALU_DEP_1)
	v_add_nc_u32_e32 v25, v12, v21
	ds_load_b64 v[21:22], v25
.LBB155_70:                             ;   Parent Loop BB155_53 Depth=1
                                        ;     Parent Loop BB155_56 Depth=2
                                        ; =>    This Inner Loop Header: Depth=3
	s_waitcnt lgkmcnt(0)
	v_add_f64 v[26:27], v[21:22], v[15:16]
	ds_cmpstore_rtn_b64 v[26:27], v25, v[26:27], v[21:22]
	s_waitcnt lgkmcnt(0)
	v_cmp_eq_u64_e32 vcc_lo, v[26:27], v[21:22]
	v_dual_mov_b32 v21, v26 :: v_dual_mov_b32 v22, v27
	s_or_b32 s14, vcc_lo, s14
	s_delay_alu instid0(SALU_CYCLE_1)
	s_and_not1_b32 exec_lo, exec_lo, s14
	s_cbranch_execnz .LBB155_70
; %bb.71:                               ;   in Loop: Header=BB155_56 Depth=2
	s_or_b32 exec_lo, exec_lo, s14
	ds_load_b64 v[21:22], v25 offset:8
	s_mov_b32 s14, 0
.LBB155_72:                             ;   Parent Loop BB155_53 Depth=1
                                        ;     Parent Loop BB155_56 Depth=2
                                        ; =>    This Inner Loop Header: Depth=3
	s_waitcnt lgkmcnt(0)
	v_add_f64 v[26:27], v[21:22], v[17:18]
	ds_cmpstore_rtn_b64 v[26:27], v25, v[26:27], v[21:22] offset:8
	s_waitcnt lgkmcnt(0)
	v_cmp_eq_u64_e32 vcc_lo, v[26:27], v[21:22]
	v_dual_mov_b32 v21, v26 :: v_dual_mov_b32 v22, v27
	s_or_b32 s14, vcc_lo, s14
	s_delay_alu instid0(SALU_CYCLE_1)
	s_and_not1_b32 exec_lo, exec_lo, s14
	s_cbranch_execnz .LBB155_72
; %bb.73:                               ;   in Loop: Header=BB155_56 Depth=2
	s_or_b32 exec_lo, exec_lo, s14
	s_delay_alu instid0(SALU_CYCLE_1)
	s_and_not1_b32 s13, s13, exec_lo
	s_branch .LBB155_55
.LBB155_74:
	s_or_b32 exec_lo, exec_lo, s4
.LBB155_75:
	v_add_co_u32 v0, vcc_lo, s22, v13
	v_add_co_ci_u32_e32 v1, vcc_lo, s23, v14, vcc_lo
	s_barrier
	buffer_gl0_inv
	global_load_b64 v[0:1], v[0:1], off
	v_mad_u64_u32 v[2:3], null, v9, s8, 0
	s_cmp_eq_u32 s35, 0
	v_mov_b32_e32 v12, 0
	s_cselect_b32 vcc_lo, -1, 0
	v_lshlrev_b32_e32 v14, 7, v46
	v_or_b32_e32 v5, -4, v4
	v_lshlrev_b32_e32 v15, 3, v4
	v_mad_u64_u32 v[6:7], null, v9, s9, v[3:4]
	v_cndmask_b32_e32 v3, v9, v11, vcc_lo
	v_dual_cndmask_b32 v7, v11, v9 :: v_dual_lshlrev_b32 v8, 4, v11
	v_mov_b32_e32 v10, v12
	v_cmp_gt_i64_e32 vcc_lo, s[8:9], v[11:12]
	s_delay_alu instid0(VALU_DEP_4)
	v_lshlrev_b32_e32 v13, 4, v3
	v_mov_b32_e32 v3, v6
	s_add_i32 s3, s34, s33
	v_cmp_gt_u64_e64 s0, s[8:9], v[9:10]
	v_or3_b32 v10, v14, v15, 0x4000
	v_lshl_or_b32 v4, v4, 8, v13
	v_lshlrev_b64 v[2:3], 4, v[2:3]
	s_add_i32 s3, s3, s33
	s_delay_alu instid0(VALU_DEP_4) | instskip(NEXT) | instid1(VALU_DEP_2)
	s_and_b32 s0, vcc_lo, s0
	v_lshl_or_b32 v4, v7, 6, v4
	s_delay_alu instid0(VALU_DEP_2) | instskip(NEXT) | instid1(VALU_DEP_1)
	v_add_co_u32 v2, s1, s42, v2
	v_add_co_ci_u32_e64 v3, s1, s43, v3, s1
	s_delay_alu instid0(VALU_DEP_3) | instskip(NEXT) | instid1(VALU_DEP_3)
	v_add_nc_u32_e32 v4, v47, v4
	v_add_co_u32 v6, s1, v2, v8
	s_delay_alu instid0(VALU_DEP_1) | instskip(SKIP_2) | instid1(VALU_DEP_1)
	v_add_co_ci_u32_e64 v7, s1, 0, v3, s1
	s_waitcnt vmcnt(0)
	v_sub_co_u32 v8, s1, v0, s38
	v_subrev_co_ci_u32_e64 v9, s1, 0, v1, s1
	s_mov_b32 s1, 0
	s_branch .LBB155_77
.LBB155_76:                             ;   in Loop: Header=BB155_77 Depth=1
	s_or_b32 exec_lo, exec_lo, s4
	v_add_nc_u32_e32 v5, 4, v5
	v_add_nc_u32_e32 v4, 0x400, v4
	;; [unrolled: 1-line block ×3, first 2 shown]
	s_delay_alu instid0(VALU_DEP_3) | instskip(SKIP_1) | instid1(SALU_CYCLE_1)
	v_cmp_lt_u32_e32 vcc_lo, 11, v5
	s_or_b32 s1, vcc_lo, s1
	s_and_not1_b32 exec_lo, exec_lo, s1
	s_cbranch_execz .LBB155_80
.LBB155_77:                             ; =>This Inner Loop Header: Depth=1
	ds_load_b64 v[0:1], v10
	s_mov_b32 s4, exec_lo
	s_waitcnt lgkmcnt(0)
	v_cmpx_gt_i64_e64 s[6:7], v[0:1]
	s_cbranch_execz .LBB155_76
; %bb.78:                               ;   in Loop: Header=BB155_77 Depth=1
	ds_load_b128 v[11:14], v45
	ds_load_b128 v[15:18], v45 offset:16
	ds_load_b128 v[19:22], v45 offset:32
	;; [unrolled: 1-line block ×7, first 2 shown]
	s_waitcnt lgkmcnt(7)
	v_cmp_gt_i64_e32 vcc_lo, v[0:1], v[11:12]
	v_cndmask_b32_e64 v2, 0, 1, vcc_lo
	v_cmp_gt_i64_e32 vcc_lo, v[0:1], v[13:14]
	v_cndmask_b32_e64 v3, 0, 1, vcc_lo
	s_delay_alu instid0(VALU_DEP_3)
	v_add_co_u32 v2, vcc_lo, v8, v2
	v_add_co_ci_u32_e32 v11, vcc_lo, 0, v9, vcc_lo
	s_waitcnt lgkmcnt(6)
	v_cmp_gt_i64_e32 vcc_lo, v[0:1], v[15:16]
	v_cndmask_b32_e64 v12, 0, 1, vcc_lo
	v_add_co_u32 v2, vcc_lo, v2, v3
	v_add_co_ci_u32_e32 v3, vcc_lo, 0, v11, vcc_lo
	v_cmp_gt_i64_e32 vcc_lo, v[0:1], v[17:18]
	v_cndmask_b32_e64 v11, 0, 1, vcc_lo
	s_delay_alu instid0(VALU_DEP_4) | instskip(NEXT) | instid1(VALU_DEP_4)
	v_add_co_u32 v2, vcc_lo, v2, v12
	v_add_co_ci_u32_e32 v3, vcc_lo, 0, v3, vcc_lo
	s_waitcnt lgkmcnt(5)
	v_cmp_gt_i64_e32 vcc_lo, v[0:1], v[19:20]
	v_cndmask_b32_e64 v12, 0, 1, vcc_lo
	v_add_co_u32 v2, vcc_lo, v2, v11
	v_add_co_ci_u32_e32 v3, vcc_lo, 0, v3, vcc_lo
	v_cmp_gt_i64_e32 vcc_lo, v[0:1], v[21:22]
	v_cndmask_b32_e64 v11, 0, 1, vcc_lo
	s_delay_alu instid0(VALU_DEP_4) | instskip(NEXT) | instid1(VALU_DEP_4)
	;; [unrolled: 10-line block ×7, first 2 shown]
	v_add_co_u32 v2, vcc_lo, v2, v12
	v_add_co_ci_u32_e32 v3, vcc_lo, 0, v3, vcc_lo
	s_delay_alu instid0(VALU_DEP_2) | instskip(NEXT) | instid1(VALU_DEP_2)
	v_add_co_u32 v2, vcc_lo, v2, v11
	v_add_co_ci_u32_e32 v3, vcc_lo, 0, v3, vcc_lo
	v_add_co_u32 v0, vcc_lo, v0, s38
	v_add_co_ci_u32_e32 v1, vcc_lo, 0, v1, vcc_lo
	s_delay_alu instid0(VALU_DEP_3) | instskip(NEXT) | instid1(VALU_DEP_1)
	v_lshlrev_b64 v[11:12], 3, v[2:3]
	v_add_co_u32 v11, vcc_lo, s40, v11
	s_delay_alu instid0(VALU_DEP_2)
	v_add_co_ci_u32_e32 v12, vcc_lo, s41, v12, vcc_lo
	global_store_b64 v[11:12], v[0:1], off
	s_and_b32 exec_lo, exec_lo, s0
	s_cbranch_execz .LBB155_76
; %bb.79:                               ;   in Loop: Header=BB155_77 Depth=1
	v_mul_lo_u32 v13, s3, v2
	v_mul_lo_u32 v14, s2, v3
	v_mad_u64_u32 v[11:12], null, s2, v2, 0
	ds_load_2addr_b64 v[0:3], v4 offset1:1
	v_add3_u32 v12, v12, v14, v13
	s_delay_alu instid0(VALU_DEP_1) | instskip(NEXT) | instid1(VALU_DEP_1)
	v_lshlrev_b64 v[11:12], 4, v[11:12]
	v_add_co_u32 v11, vcc_lo, v6, v11
	s_delay_alu instid0(VALU_DEP_2)
	v_add_co_ci_u32_e32 v12, vcc_lo, v7, v12, vcc_lo
	s_waitcnt lgkmcnt(0)
	global_store_b128 v[11:12], v[0:3], off
	s_branch .LBB155_76
.LBB155_80:
	s_nop 0
	s_sendmsg sendmsg(MSG_DEALLOC_VGPRS)
	s_endpgm
	.section	.rodata,"a",@progbits
	.p2align	6, 0x0
	.amdhsa_kernel _ZN9rocsparseL23bsrgemm_fill_wf_per_rowILj256ELj64ELj16ELj137ELj4Ell21rocsparse_complex_numIdEEEv20rocsparse_direction_T5_S4_S4_PKS4_S6_NS_24const_host_device_scalarIT6_EEPKT4_S6_PKS8_SC_S6_SE_S9_SC_S6_SE_SC_PS4_PS8_21rocsparse_index_base_SH_SH_SH_bbb
		.amdhsa_group_segment_fixed_size 16896
		.amdhsa_private_segment_fixed_size 24
		.amdhsa_kernarg_size 196
		.amdhsa_user_sgpr_count 15
		.amdhsa_user_sgpr_dispatch_ptr 0
		.amdhsa_user_sgpr_queue_ptr 0
		.amdhsa_user_sgpr_kernarg_segment_ptr 1
		.amdhsa_user_sgpr_dispatch_id 0
		.amdhsa_user_sgpr_private_segment_size 0
		.amdhsa_wavefront_size32 1
		.amdhsa_uses_dynamic_stack 0
		.amdhsa_enable_private_segment 1
		.amdhsa_system_sgpr_workgroup_id_x 1
		.amdhsa_system_sgpr_workgroup_id_y 0
		.amdhsa_system_sgpr_workgroup_id_z 0
		.amdhsa_system_sgpr_workgroup_info 0
		.amdhsa_system_vgpr_workitem_id 0
		.amdhsa_next_free_vgpr 56
		.amdhsa_next_free_sgpr 53
		.amdhsa_reserve_vcc 1
		.amdhsa_float_round_mode_32 0
		.amdhsa_float_round_mode_16_64 0
		.amdhsa_float_denorm_mode_32 3
		.amdhsa_float_denorm_mode_16_64 3
		.amdhsa_dx10_clamp 1
		.amdhsa_ieee_mode 1
		.amdhsa_fp16_overflow 0
		.amdhsa_workgroup_processor_mode 1
		.amdhsa_memory_ordered 1
		.amdhsa_forward_progress 0
		.amdhsa_shared_vgpr_count 0
		.amdhsa_exception_fp_ieee_invalid_op 0
		.amdhsa_exception_fp_denorm_src 0
		.amdhsa_exception_fp_ieee_div_zero 0
		.amdhsa_exception_fp_ieee_overflow 0
		.amdhsa_exception_fp_ieee_underflow 0
		.amdhsa_exception_fp_ieee_inexact 0
		.amdhsa_exception_int_div_zero 0
	.end_amdhsa_kernel
	.section	.text._ZN9rocsparseL23bsrgemm_fill_wf_per_rowILj256ELj64ELj16ELj137ELj4Ell21rocsparse_complex_numIdEEEv20rocsparse_direction_T5_S4_S4_PKS4_S6_NS_24const_host_device_scalarIT6_EEPKT4_S6_PKS8_SC_S6_SE_S9_SC_S6_SE_SC_PS4_PS8_21rocsparse_index_base_SH_SH_SH_bbb,"axG",@progbits,_ZN9rocsparseL23bsrgemm_fill_wf_per_rowILj256ELj64ELj16ELj137ELj4Ell21rocsparse_complex_numIdEEEv20rocsparse_direction_T5_S4_S4_PKS4_S6_NS_24const_host_device_scalarIT6_EEPKT4_S6_PKS8_SC_S6_SE_S9_SC_S6_SE_SC_PS4_PS8_21rocsparse_index_base_SH_SH_SH_bbb,comdat
.Lfunc_end155:
	.size	_ZN9rocsparseL23bsrgemm_fill_wf_per_rowILj256ELj64ELj16ELj137ELj4Ell21rocsparse_complex_numIdEEEv20rocsparse_direction_T5_S4_S4_PKS4_S6_NS_24const_host_device_scalarIT6_EEPKT4_S6_PKS8_SC_S6_SE_S9_SC_S6_SE_SC_PS4_PS8_21rocsparse_index_base_SH_SH_SH_bbb, .Lfunc_end155-_ZN9rocsparseL23bsrgemm_fill_wf_per_rowILj256ELj64ELj16ELj137ELj4Ell21rocsparse_complex_numIdEEEv20rocsparse_direction_T5_S4_S4_PKS4_S6_NS_24const_host_device_scalarIT6_EEPKT4_S6_PKS8_SC_S6_SE_S9_SC_S6_SE_SC_PS4_PS8_21rocsparse_index_base_SH_SH_SH_bbb
                                        ; -- End function
	.section	.AMDGPU.csdata,"",@progbits
; Kernel info:
; codeLenInByte = 4496
; NumSgprs: 55
; NumVgprs: 56
; ScratchSize: 24
; MemoryBound: 0
; FloatMode: 240
; IeeeMode: 1
; LDSByteSize: 16896 bytes/workgroup (compile time only)
; SGPRBlocks: 6
; VGPRBlocks: 6
; NumSGPRsForWavesPerEU: 55
; NumVGPRsForWavesPerEU: 56
; Occupancy: 14
; WaveLimiterHint : 1
; COMPUTE_PGM_RSRC2:SCRATCH_EN: 1
; COMPUTE_PGM_RSRC2:USER_SGPR: 15
; COMPUTE_PGM_RSRC2:TRAP_HANDLER: 0
; COMPUTE_PGM_RSRC2:TGID_X_EN: 1
; COMPUTE_PGM_RSRC2:TGID_Y_EN: 0
; COMPUTE_PGM_RSRC2:TGID_Z_EN: 0
; COMPUTE_PGM_RSRC2:TIDIG_COMP_CNT: 0
	.section	.text._ZN9rocsparseL38bsrgemm_block_per_row_atomic_multipassILj256ELj32ELj4Ell21rocsparse_complex_numIdEEEv20rocsparse_direction_T3_S4_PKS4_S6_NS_24const_host_device_scalarIT4_EEPKT2_S6_PKS8_SC_S6_SE_S9_SC_S6_SE_SC_PS4_PS8_PSA_21rocsparse_index_base_SI_SI_SI_bbb,"axG",@progbits,_ZN9rocsparseL38bsrgemm_block_per_row_atomic_multipassILj256ELj32ELj4Ell21rocsparse_complex_numIdEEEv20rocsparse_direction_T3_S4_PKS4_S6_NS_24const_host_device_scalarIT4_EEPKT2_S6_PKS8_SC_S6_SE_S9_SC_S6_SE_SC_PS4_PS8_PSA_21rocsparse_index_base_SI_SI_SI_bbb,comdat
	.globl	_ZN9rocsparseL38bsrgemm_block_per_row_atomic_multipassILj256ELj32ELj4Ell21rocsparse_complex_numIdEEEv20rocsparse_direction_T3_S4_PKS4_S6_NS_24const_host_device_scalarIT4_EEPKT2_S6_PKS8_SC_S6_SE_S9_SC_S6_SE_SC_PS4_PS8_PSA_21rocsparse_index_base_SI_SI_SI_bbb ; -- Begin function _ZN9rocsparseL38bsrgemm_block_per_row_atomic_multipassILj256ELj32ELj4Ell21rocsparse_complex_numIdEEEv20rocsparse_direction_T3_S4_PKS4_S6_NS_24const_host_device_scalarIT4_EEPKT2_S6_PKS8_SC_S6_SE_S9_SC_S6_SE_SC_PS4_PS8_PSA_21rocsparse_index_base_SI_SI_SI_bbb
	.p2align	8
	.type	_ZN9rocsparseL38bsrgemm_block_per_row_atomic_multipassILj256ELj32ELj4Ell21rocsparse_complex_numIdEEEv20rocsparse_direction_T3_S4_PKS4_S6_NS_24const_host_device_scalarIT4_EEPKT2_S6_PKS8_SC_S6_SE_S9_SC_S6_SE_SC_PS4_PS8_PSA_21rocsparse_index_base_SI_SI_SI_bbb,@function
_ZN9rocsparseL38bsrgemm_block_per_row_atomic_multipassILj256ELj32ELj4Ell21rocsparse_complex_numIdEEEv20rocsparse_direction_T3_S4_PKS4_S6_NS_24const_host_device_scalarIT4_EEPKT2_S6_PKS8_SC_S6_SE_S9_SC_S6_SE_SC_PS4_PS8_PSA_21rocsparse_index_base_SI_SI_SI_bbb: ; @_ZN9rocsparseL38bsrgemm_block_per_row_atomic_multipassILj256ELj32ELj4Ell21rocsparse_complex_numIdEEEv20rocsparse_direction_T3_S4_PKS4_S6_NS_24const_host_device_scalarIT4_EEPKT2_S6_PKS8_SC_S6_SE_S9_SC_S6_SE_SC_PS4_PS8_PSA_21rocsparse_index_base_SI_SI_SI_bbb
; %bb.0:
	s_mov_b32 s48, s15
	s_load_b32 s12, s[2:3], 0xc0
	s_load_b64 s[14:15], s[0:1], 0x4
	s_clause 0x1
	s_load_b128 s[8:11], s[2:3], 0x28
	s_load_b128 s[4:7], s[2:3], 0x68
	v_dual_mov_b32 v14, 0 :: v_dual_and_b32 v1, 0x3ff, v0
	s_load_b128 s[28:31], s[2:3], 0xb0
	v_bfe_u32 v3, v0, 10, 10
	v_bfe_u32 v0, v0, 20, 10
	v_mov_b32_e32 v15, 0
	s_waitcnt lgkmcnt(0)
	s_bitcmp1_b32 s12, 0
	s_cselect_b32 s53, -1, 0
	s_bitcmp1_b32 s12, 16
	s_cselect_b32 s0, -1, 0
	s_lshr_b32 s1, s14, 16
	s_delay_alu instid0(SALU_CYCLE_1) | instskip(NEXT) | instid1(SALU_CYCLE_1)
	s_mul_i32 s1, s1, s15
	v_mul_lo_u32 v2, s1, v1
	s_xor_b32 s1, s0, -1
	s_bitcmp0_b32 s12, 0
	v_cndmask_b32_e64 v6, 0, 1, s1
	s_delay_alu instid0(VALU_DEP_1) | instskip(NEXT) | instid1(VALU_DEP_3)
	v_cmp_ne_u32_e32 vcc_lo, 1, v6
	v_mad_u32_u24 v4, v3, s15, v2
	v_dual_mov_b32 v2, s8 :: v_dual_mov_b32 v3, s9
	v_dual_mov_b32 v12, v14 :: v_dual_mov_b32 v13, v15
	s_delay_alu instid0(VALU_DEP_3)
	v_add_lshl_u32 v0, v4, v0, 3
	v_dual_mov_b32 v4, s4 :: v_dual_mov_b32 v17, v15
	v_dual_mov_b32 v16, v14 :: v_dual_mov_b32 v5, s5
	ds_store_b64 v0, v[2:3] offset:12424
	scratch_store_b64 off, v[4:5], off
	s_cbranch_scc1 .LBB156_3
; %bb.1:
	s_mov_b64 s[14:15], src_shared_base
	s_and_b32 s13, s0, exec_lo
	s_cselect_b32 s13, s15, s9
	s_delay_alu instid0(SALU_CYCLE_1) | instskip(SKIP_2) | instid1(VALU_DEP_2)
	v_dual_mov_b32 v3, s13 :: v_dual_add_nc_u32 v0, 0x3088, v0
	v_dual_mov_b32 v17, s11 :: v_dual_mov_b32 v16, s10
	s_and_b32 vcc_lo, exec_lo, vcc_lo
	v_cndmask_b32_e64 v2, s8, v0, s0
	flat_load_b64 v[12:13], v[2:3]
	s_cbranch_vccnz .LBB156_3
; %bb.2:
	v_dual_mov_b32 v2, s8 :: v_dual_mov_b32 v3, s9
	flat_load_b64 v[16:17], v[2:3] offset:8
.LBB156_3:
	s_load_b64 s[8:9], s[2:3], 0x20
	s_bitcmp1_b32 s12, 8
	v_dual_mov_b32 v19, v15 :: v_dual_mov_b32 v18, v14
	s_cselect_b32 s33, -1, 0
	s_bfe_u32 s10, s12, 0x10008
	s_delay_alu instid0(SALU_CYCLE_1)
	s_cmp_eq_u32 s10, 0
	s_cbranch_scc1 .LBB156_6
; %bb.4:
	s_mov_b64 s[10:11], src_private_base
	s_and_b32 s10, s0, exec_lo
	s_cselect_b32 s10, s11, s5
	s_delay_alu instid0(SALU_CYCLE_1) | instskip(SKIP_2) | instid1(VALU_DEP_2)
	v_dual_mov_b32 v0, 0 :: v_dual_mov_b32 v3, s10
	v_dual_mov_b32 v15, s7 :: v_dual_mov_b32 v14, s6
	s_and_not1_b32 vcc_lo, exec_lo, s1
	v_cndmask_b32_e64 v2, s4, v0, s0
	flat_load_b64 v[18:19], v[2:3]
	s_cbranch_vccnz .LBB156_6
; %bb.5:
	v_dual_mov_b32 v2, s4 :: v_dual_mov_b32 v3, s5
	flat_load_b64 v[14:15], v[2:3] offset:8
.LBB156_6:
	s_load_b64 s[0:1], s[2:3], 0x38
	s_waitcnt lgkmcnt(0)
	s_cmp_eq_u64 s[8:9], 0
	s_mov_b32 s49, 0
	s_cbranch_scc1 .LBB156_8
; %bb.7:
	s_load_b64 s[4:5], s[2:3], 0x18
	s_waitcnt lgkmcnt(0)
	s_load_b64 s[4:5], s[4:5], 0x0
	s_waitcnt lgkmcnt(0)
	s_lshl_b64 s[4:5], s[4:5], 3
	s_delay_alu instid0(SALU_CYCLE_1) | instskip(SKIP_2) | instid1(SALU_CYCLE_1)
	s_add_u32 s6, s8, s4
	s_addc_u32 s7, s9, s5
	s_lshl_b64 s[4:5], s[48:49], 3
	s_add_u32 s4, s6, s4
	s_addc_u32 s5, s7, s5
	s_load_b64 s[48:49], s[4:5], 0x0
.LBB156_8:
	s_mov_b64 s[34:35], 0
	s_and_not1_b32 vcc_lo, exec_lo, s53
	s_mov_b64 s[44:45], 0
	s_cbranch_vccz .LBB156_11
; %bb.9:
	s_and_not1_b32 vcc_lo, exec_lo, s53
	s_cbranch_vccz .LBB156_12
.LBB156_10:
	s_load_b128 s[36:39], s[2:3], 0x8
	s_waitcnt lgkmcnt(0)
	v_cmp_lt_i64_e64 s0, s[36:37], 1
	s_delay_alu instid0(VALU_DEP_1)
	s_and_b32 vcc_lo, exec_lo, s0
	s_cbranch_vccz .LBB156_13
	s_branch .LBB156_99
.LBB156_11:
	s_waitcnt lgkmcnt(0)
	s_lshl_b64 s[4:5], s[48:49], 3
	s_delay_alu instid0(SALU_CYCLE_1)
	s_add_u32 s4, s0, s4
	s_addc_u32 s5, s1, s5
	s_load_b64 s[4:5], s[4:5], 0x0
	s_waitcnt lgkmcnt(0)
	s_sub_u32 s44, s4, s28
	s_subb_u32 s45, s5, 0
	s_and_not1_b32 vcc_lo, exec_lo, s53
	s_cbranch_vccnz .LBB156_10
.LBB156_12:
	s_waitcnt lgkmcnt(0)
	s_lshl_b64 s[4:5], s[48:49], 3
	s_delay_alu instid0(SALU_CYCLE_1)
	s_add_u32 s0, s0, s4
	s_addc_u32 s1, s1, s5
	s_load_b64 s[0:1], s[0:1], 0x8
	s_waitcnt lgkmcnt(0)
	s_sub_u32 s34, s0, s28
	s_subb_u32 s35, s1, 0
	s_load_b128 s[36:39], s[2:3], 0x8
	s_waitcnt lgkmcnt(0)
	v_cmp_lt_i64_e64 s0, s[36:37], 1
	s_delay_alu instid0(VALU_DEP_1)
	s_and_b32 vcc_lo, exec_lo, s0
	s_cbranch_vccnz .LBB156_99
.LBB156_13:
	s_clause 0x4
	s_load_b256 s[12:19], s[2:3], 0x78
	s_load_b64 s[46:47], s[2:3], 0xa8
	s_load_b128 s[40:43], s[2:3], 0x98
	s_load_b64 s[10:11], s[2:3], 0x60
	s_load_b256 s[20:27], s[2:3], 0x40
	v_bfe_u32 v2, v1, 2, 2
	s_lshl_b64 s[6:7], s[48:49], 3
	s_load_b32 s5, s[2:3], 0x0
	v_mov_b32_e32 v0, 0
	v_and_b32_e32 v22, 3, v1
	v_mad_u64_u32 v[4:5], null, v2, s38, 0
	s_delay_alu instid0(VALU_DEP_3) | instskip(SKIP_4) | instid1(VALU_DEP_4)
	v_dual_mov_b32 v21, v0 :: v_dual_and_b32 v10, 15, v1
	s_mul_i32 s4, s38, s39
	s_mul_hi_u32 s8, s38, s38
	v_cmp_lt_i64_e64 s9, s[44:45], s[34:35]
	v_lshrrev_b32_e32 v20, 4, v1
	v_mov_b32_e32 v3, v5
	v_and_b32_e32 v53, 12, v1
	s_waitcnt lgkmcnt(0)
	s_add_u32 s2, s18, s6
	s_addc_u32 s3, s19, s7
	v_cmp_gt_u32_e64 s0, 32, v1
	s_load_b64 s[2:3], s[2:3], 0x0
	v_mad_u64_u32 v[5:6], null, v2, s39, v[3:4]
	v_mad_u64_u32 v[6:7], null, v22, s38, 0
	v_cmp_eq_u32_e64 s1, 0, v1
	v_lshl_or_b32 v58, v1, 2, 0x3000
	v_or_b32_e32 v67, 0xffffff00, v1
	v_lshl_or_b32 v70, v20, 2, 0x3000
	v_lshlrev_b64 v[4:5], 4, v[4:5]
	s_mul_i32 s18, s38, s38
	v_mad_u64_u32 v[8:9], null, v22, s39, v[7:8]
	v_lshlrev_b32_e32 v24, 4, v22
	v_and_b32_e32 v28, 31, v1
	v_mov_b32_e32 v32, 32
	v_mov_b32_e32 v33, 0
	;; [unrolled: 1-line block ×3, first 2 shown]
	v_dual_mov_b32 v7, v8 :: v_dual_lshlrev_b32 v50, 4, v1
	v_mov_b32_e32 v3, v0
	v_mov_b32_e32 v23, v0
	s_waitcnt lgkmcnt(0)
	s_sub_u32 s48, s2, s30
	v_add_co_u32 v9, s2, s22, v4
	s_subb_u32 s49, s3, 0
	s_add_i32 s3, s8, s4
	v_add_co_ci_u32_e64 v11, s2, s23, v5, s2
	s_add_i32 s19, s3, s4
	v_cmp_gt_i64_e64 s3, s[38:39], v[22:23]
	v_cmp_gt_i64_e64 s2, s[38:39], v[2:3]
	v_lshlrev_b64 v[6:7], 4, v[6:7]
	v_add_co_u32 v23, s4, v9, v24
	s_delay_alu instid0(VALU_DEP_1) | instskip(NEXT) | instid1(VALU_DEP_4)
	v_add_co_ci_u32_e64 v52, s4, 0, v11, s4
	s_and_b32 s50, s3, s2
	s_delay_alu instid0(VALU_DEP_3)
	v_add_co_u32 v11, s2, s16, v6
	v_lshlrev_b64 v[8:9], 4, v[2:3]
	v_add_co_u32 v6, s4, s42, v6
	v_mov_b32_e32 v25, v0
	v_add_co_ci_u32_e64 v26, s2, s17, v7, s2
	v_add_co_ci_u32_e64 v7, s4, s43, v7, s4
	v_cmp_gt_u64_e32 vcc_lo, s[38:39], v[2:3]
	v_add_co_u32 v3, s2, s16, v4
	v_add_co_u32 v4, s4, s42, v4
	s_cmp_eq_u32 s5, 0
	v_add_co_ci_u32_e64 v27, s2, s17, v5, s2
	v_add_co_ci_u32_e64 v5, s4, s43, v5, s4
	v_add_co_u32 v11, s2, v11, v8
	s_cselect_b32 s8, -1, 0
	s_cmp_lg_u32 s5, 0
	v_add_co_u32 v6, s4, v6, v8
	v_lshlrev_b32_e32 v29, 2, v28
	v_add_co_ci_u32_e64 v26, s2, v26, v9, s2
	s_cselect_b32 s51, -1, 0
	s_add_u32 s12, s12, s6
	v_add_co_ci_u32_e64 v7, s4, v7, v9, s4
	v_lshlrev_b32_e32 v2, 4, v2
	v_add_co_u32 v3, s2, v3, v24
	s_addc_u32 s13, s13, s7
	v_add_co_u32 v4, s4, v4, v24
	s_and_b32 s53, s53, s9
	s_and_b32 s54, s3, vcc_lo
	s_add_u32 s55, s24, 8
	v_add_co_ci_u32_e64 v27, s2, 0, v27, s2
	v_add_co_ci_u32_e64 v5, s4, 0, v5, s4
	s_addc_u32 s56, s25, 0
	v_add_co_u32 v30, s52, v28, -1
	v_or_b32_e32 v56, 0x3000, v29
	v_cmp_ne_u32_e64 s3, 0, v28
	v_cmp_lt_u32_e64 s4, 1, v28
	v_add_nc_u32_e32 v59, 0x2ff8, v29
	v_cmp_lt_u32_e64 s5, 3, v28
	v_add_nc_u32_e32 v60, 0x2ff0, v29
	v_cmp_lt_u32_e64 s6, 7, v28
	v_add_nc_u32_e32 v61, 0x2fe0, v29
	v_cmp_lt_u32_e64 s7, 15, v28
	v_add_nc_u32_e32 v62, 0x2fc0, v29
	s_add_u32 s57, s40, -8
	v_mov_b32_e32 v28, s48
	s_addc_u32 s58, s41, -1
	v_mov_b32_e32 v29, s49
	v_lshl_or_b32 v2, v20, 8, v2
	s_add_u32 s16, s10, 8
	v_sub_co_u32 v54, s2, v20, s31
	v_cndmask_b32_e64 v63, v26, v27, s8
	v_cndmask_b32_e64 v64, v11, v3, s8
	;; [unrolled: 1-line block ×4, first 2 shown]
	s_addc_u32 s17, s11, 0
	s_movk_i32 s8, 0xfc0
	v_add_co_u32 v26, s9, s16, v24
	v_lshl_add_u32 v57, v30, 2, 0x3000
	v_mov_b32_e32 v30, 0
	v_or_b32_e32 v51, 0x2000, v50
	v_sub_co_ci_u32_e64 v55, null, 0, 0, s2
	v_cmp_eq_u32_e64 s2, 15, v10
	v_add_nc_u32_e32 v68, 0x2000, v2
	v_add_co_ci_u32_e64 v27, null, s17, 0, s9
	v_and_or_b32 v69, v50, s8, 0x2000
	v_dual_mov_b32 v31, 0 :: v_dual_mov_b32 v4, 0
	v_mov_b32_e32 v5, v0
	v_mov_b32_e32 v6, v0
	v_mov_b32_e32 v7, v0
	s_lshl_b64 s[22:23], s[38:39], 4
	s_lshl_b64 s[40:41], s[18:19], 4
	s_branch .LBB156_15
.LBB156_14:                             ;   in Loop: Header=BB156_15 Depth=1
	s_or_b32 exec_lo, exec_lo, s8
	s_waitcnt_vscnt null, 0x0
	s_barrier
	buffer_gl0_inv
	ds_load_b64 v[30:31], v0 offset:12416
	v_ashrrev_i32_e32 v1, 31, v3
	v_add_co_u32 v28, vcc_lo, v28, v3
	s_waitcnt lgkmcnt(0)
	s_barrier
	s_delay_alu instid0(VALU_DEP_2) | instskip(SKIP_3) | instid1(VALU_DEP_1)
	v_add_co_ci_u32_e32 v29, vcc_lo, v29, v1, vcc_lo
	buffer_gl0_inv
	v_cmp_le_i64_e32 vcc_lo, s[36:37], v[30:31]
	v_add_co_u32 v32, s8, v30, 32
	v_add_co_ci_u32_e64 v33, s8, 0, v31, s8
	s_cbranch_vccnz .LBB156_99
.LBB156_15:                             ; =>This Loop Header: Depth=1
                                        ;     Child Loop BB156_18 Depth 2
                                        ;     Child Loop BB156_24 Depth 2
                                        ;       Child Loop BB156_39 Depth 3
                                        ;         Child Loop BB156_51 Depth 4
                                        ;         Child Loop BB156_47 Depth 4
	;; [unrolled: 1-line block ×4, first 2 shown]
                                        ;     Child Loop BB156_65 Depth 2
                                        ;       Child Loop BB156_70 Depth 3
                                        ;       Child Loop BB156_72 Depth 3
                                        ;     Child Loop BB156_77 Depth 2
                                        ;     Child Loop BB156_96 Depth 2
	s_and_saveexec_b32 s8, s0
	s_cbranch_execz .LBB156_17
; %bb.16:                               ;   in Loop: Header=BB156_15 Depth=1
	ds_store_b32 v58, v0
.LBB156_17:                             ;   in Loop: Header=BB156_15 Depth=1
	s_or_b32 exec_lo, exec_lo, s8
	v_dual_mov_b32 v1, v50 :: v_dual_mov_b32 v2, v67
	s_mov_b32 s8, 0
.LBB156_18:                             ;   Parent Loop BB156_15 Depth=1
                                        ; =>  This Inner Loop Header: Depth=2
	s_delay_alu instid0(VALU_DEP_1) | instskip(NEXT) | instid1(VALU_DEP_1)
	v_add_co_u32 v2, s9, 0x100, v2
	s_xor_b32 s9, s9, -1
	ds_store_b128 v1, v[4:7]
	v_add_nc_u32_e32 v1, 0x1000, v1
	s_and_b32 s9, exec_lo, s9
	s_delay_alu instid0(SALU_CYCLE_1) | instskip(NEXT) | instid1(SALU_CYCLE_1)
	s_or_b32 s8, s9, s8
	s_and_not1_b32 exec_lo, exec_lo, s8
	s_cbranch_execnz .LBB156_18
; %bb.19:                               ;   in Loop: Header=BB156_15 Depth=1
	s_or_b32 exec_lo, exec_lo, s8
	s_and_saveexec_b32 s8, s1
	s_cbranch_execz .LBB156_21
; %bb.20:                               ;   in Loop: Header=BB156_15 Depth=1
	v_dual_mov_b32 v1, s36 :: v_dual_mov_b32 v2, s37
	ds_store_b64 v0, v[1:2] offset:12416
.LBB156_21:                             ;   in Loop: Header=BB156_15 Depth=1
	s_or_b32 exec_lo, exec_lo, s8
	v_dual_mov_b32 v34, s36 :: v_dual_mov_b32 v35, s37
	s_and_not1_b32 vcc_lo, exec_lo, s53
	s_waitcnt vmcnt(0) lgkmcnt(0)
	s_waitcnt_vscnt null, 0x0
	s_barrier
	buffer_gl0_inv
	s_cbranch_vccnz .LBB156_60
; %bb.22:                               ;   in Loop: Header=BB156_15 Depth=1
	v_cmp_ne_u64_e64 s8, 0, v[30:31]
	v_dual_mov_b32 v34, s36 :: v_dual_mov_b32 v35, s37
	s_mov_b64 s[42:43], s[44:45]
	s_branch .LBB156_24
.LBB156_23:                             ;   in Loop: Header=BB156_24 Depth=2
	s_or_b32 exec_lo, exec_lo, s10
	s_add_u32 s42, s42, 16
	s_addc_u32 s43, s43, 0
	s_delay_alu instid0(SALU_CYCLE_1) | instskip(NEXT) | instid1(VALU_DEP_1)
	v_cmp_lt_i64_e64 s9, s[42:43], s[34:35]
	s_and_b32 vcc_lo, exec_lo, s9
	s_cbranch_vccz .LBB156_60
.LBB156_24:                             ;   Parent Loop BB156_15 Depth=1
                                        ; =>  This Loop Header: Depth=2
                                        ;       Child Loop BB156_39 Depth 3
                                        ;         Child Loop BB156_51 Depth 4
                                        ;         Child Loop BB156_47 Depth 4
	;; [unrolled: 1-line block ×4, first 2 shown]
	v_add_co_u32 v10, s9, s42, v20
	s_delay_alu instid0(VALU_DEP_1) | instskip(NEXT) | instid1(VALU_DEP_1)
	v_add_co_ci_u32_e64 v11, null, s43, 0, s9
	s_waitcnt_vscnt null, 0x0
	s_barrier
	buffer_gl0_inv
	v_cmp_gt_i64_e64 s9, s[34:35], v[10:11]
	s_delay_alu instid0(VALU_DEP_1)
	s_and_saveexec_b32 s10, s9
	s_cbranch_execz .LBB156_29
; %bb.25:                               ;   in Loop: Header=BB156_24 Depth=2
	s_and_saveexec_b32 s11, s54
	s_delay_alu instid0(SALU_CYCLE_1)
	s_xor_b32 s11, exec_lo, s11
	s_cbranch_execz .LBB156_27
; %bb.26:                               ;   in Loop: Header=BB156_24 Depth=2
	v_mul_lo_u32 v3, v11, s18
	v_mul_lo_u32 v8, v10, s19
	v_mad_u64_u32 v[1:2], null, v10, s18, 0
	s_delay_alu instid0(VALU_DEP_1) | instskip(NEXT) | instid1(VALU_DEP_1)
	v_add3_u32 v2, v2, v8, v3
	v_lshlrev_b64 v[1:2], 4, v[1:2]
	s_delay_alu instid0(VALU_DEP_1) | instskip(NEXT) | instid1(VALU_DEP_2)
	v_add_co_u32 v1, vcc_lo, v23, v1
	v_add_co_ci_u32_e32 v2, vcc_lo, v52, v2, vcc_lo
	global_load_b128 v[36:39], v[1:2], off
	s_waitcnt vmcnt(0)
	ds_store_2addr_b64 v51, v[36:37], v[38:39] offset1:1
.LBB156_27:                             ;   in Loop: Header=BB156_24 Depth=2
	s_and_not1_saveexec_b32 s11, s11
	s_cbranch_execz .LBB156_29
; %bb.28:                               ;   in Loop: Header=BB156_24 Depth=2
	v_mov_b32_e32 v1, v0
	v_mov_b32_e32 v2, v0
	;; [unrolled: 1-line block ×3, first 2 shown]
	ds_store_b128 v51, v[0:3]
.LBB156_29:                             ;   in Loop: Header=BB156_24 Depth=2
	s_or_b32 exec_lo, exec_lo, s10
	v_mov_b32_e32 v8, 0
	v_lshlrev_b64 v[1:2], 3, v[10:11]
	v_mov_b32_e32 v9, 0
	s_waitcnt lgkmcnt(0)
	s_barrier
	buffer_gl0_inv
	s_and_saveexec_b32 s48, s9
	s_cbranch_execz .LBB156_58
; %bb.30:                               ;   in Loop: Header=BB156_24 Depth=2
	v_add_co_u32 v8, vcc_lo, s20, v1
	v_add_co_ci_u32_e32 v9, vcc_lo, s21, v2, vcc_lo
	s_and_b32 vcc_lo, exec_lo, s8
	global_load_b64 v[10:11], v[8:9], off
	s_cbranch_vccz .LBB156_32
; %bb.31:                               ;   in Loop: Header=BB156_24 Depth=2
	v_add_co_u32 v8, vcc_lo, s46, v1
	v_add_co_ci_u32_e32 v9, vcc_lo, s47, v2, vcc_lo
	s_mov_b32 s10, 0
	global_load_b64 v[8:9], v[8:9], off
	s_branch .LBB156_33
.LBB156_32:                             ;   in Loop: Header=BB156_24 Depth=2
	s_mov_b32 s10, -1
                                        ; implicit-def: $vgpr8_vgpr9
.LBB156_33:                             ;   in Loop: Header=BB156_24 Depth=2
	s_waitcnt vmcnt(0)
	v_sub_co_u32 v10, vcc_lo, v10, s28
	v_subrev_co_ci_u32_e32 v11, vcc_lo, 0, v11, vcc_lo
	s_and_not1_b32 vcc_lo, exec_lo, s10
	s_delay_alu instid0(VALU_DEP_1)
	v_lshlrev_b64 v[10:11], 3, v[10:11]
	s_cbranch_vccnz .LBB156_35
; %bb.34:                               ;   in Loop: Header=BB156_24 Depth=2
	s_delay_alu instid0(VALU_DEP_1) | instskip(NEXT) | instid1(VALU_DEP_2)
	v_add_co_u32 v8, vcc_lo, s24, v10
	v_add_co_ci_u32_e32 v9, vcc_lo, s25, v11, vcc_lo
	global_load_b64 v[8:9], v[8:9], off
	s_waitcnt vmcnt(0)
	v_sub_co_u32 v8, vcc_lo, v8, s29
	v_subrev_co_ci_u32_e32 v9, vcc_lo, 0, v9, vcc_lo
.LBB156_35:                             ;   in Loop: Header=BB156_24 Depth=2
	s_delay_alu instid0(VALU_DEP_1) | instskip(NEXT) | instid1(VALU_DEP_2)
	v_add_co_u32 v10, vcc_lo, s55, v10
	v_add_co_ci_u32_e32 v11, vcc_lo, s56, v11, vcc_lo
	s_mov_b32 s49, exec_lo
	global_load_b64 v[10:11], v[10:11], off
	s_waitcnt vmcnt(0)
	v_sub_co_u32 v10, vcc_lo, v10, s29
	v_subrev_co_ci_u32_e32 v11, vcc_lo, 0, v11, vcc_lo
	s_delay_alu instid0(VALU_DEP_1)
	v_cmpx_lt_i64_e64 v[8:9], v[10:11]
	s_cbranch_execz .LBB156_57
; %bb.36:                               ;   in Loop: Header=BB156_24 Depth=2
	v_mad_u64_u32 v[40:41], null, s22, v8, v[24:25]
	v_mul_lo_u32 v3, s22, v9
	v_mul_lo_u32 v38, s23, v8
	v_mad_u64_u32 v[36:37], null, s40, v8, v[26:27]
	v_mul_lo_u32 v42, s40, v9
	s_mov_b32 s59, 0
	v_mul_lo_u32 v43, s39, v40
	s_delay_alu instid0(VALU_DEP_4) | instskip(SKIP_2) | instid1(VALU_DEP_3)
	v_add3_u32 v3, v38, v41, v3
	v_mul_lo_u32 v41, s41, v8
	v_mad_u64_u32 v[38:39], null, s38, v40, s[16:17]
	v_mul_lo_u32 v3, s38, v3
	s_delay_alu instid0(VALU_DEP_3) | instskip(SKIP_1) | instid1(VALU_DEP_3)
	v_add3_u32 v37, v41, v37, v42
	v_dual_mov_b32 v41, v9 :: v_dual_mov_b32 v40, v8
	v_add3_u32 v39, v43, v39, v3
	s_branch .LBB156_39
.LBB156_37:                             ;   in Loop: Header=BB156_39 Depth=3
	s_or_b32 exec_lo, exec_lo, s62
	s_delay_alu instid0(SALU_CYCLE_1)
	s_or_b32 s60, s60, exec_lo
.LBB156_38:                             ;   in Loop: Header=BB156_39 Depth=3
	s_or_b32 exec_lo, exec_lo, s61
	v_add_co_u32 v40, vcc_lo, v40, 1
	v_add_co_ci_u32_e32 v41, vcc_lo, 0, v41, vcc_lo
	v_add_co_u32 v38, s10, v38, s40
	s_xor_b32 s11, s60, -1
	s_delay_alu instid0(VALU_DEP_2)
	v_cmp_ge_i64_e32 vcc_lo, v[40:41], v[10:11]
	v_add_co_ci_u32_e64 v39, s10, s41, v39, s10
	s_or_b32 s10, s11, vcc_lo
	v_add_co_u32 v36, vcc_lo, v36, s40
	v_add_co_ci_u32_e32 v37, vcc_lo, s41, v37, vcc_lo
	s_and_b32 s10, exec_lo, s10
	s_delay_alu instid0(SALU_CYCLE_1) | instskip(NEXT) | instid1(SALU_CYCLE_1)
	s_or_b32 s59, s10, s59
	s_and_not1_b32 exec_lo, exec_lo, s59
	s_cbranch_execz .LBB156_56
.LBB156_39:                             ;   Parent Loop BB156_15 Depth=1
                                        ;     Parent Loop BB156_24 Depth=2
                                        ; =>    This Loop Header: Depth=3
                                        ;         Child Loop BB156_51 Depth 4
                                        ;         Child Loop BB156_47 Depth 4
	;; [unrolled: 1-line block ×4, first 2 shown]
	s_delay_alu instid0(VALU_DEP_2) | instskip(NEXT) | instid1(VALU_DEP_1)
	v_lshlrev_b64 v[42:43], 3, v[40:41]
                                        ; implicit-def: $sgpr60
	v_add_co_u32 v42, vcc_lo, s26, v42
	s_delay_alu instid0(VALU_DEP_2) | instskip(SKIP_4) | instid1(VALU_DEP_1)
	v_add_co_ci_u32_e32 v43, vcc_lo, s27, v43, vcc_lo
	global_load_b64 v[42:43], v[42:43], off
	s_waitcnt vmcnt(0)
	v_sub_co_u32 v42, vcc_lo, v42, s29
	v_subrev_co_ci_u32_e32 v43, vcc_lo, 0, v43, vcc_lo
	v_cmp_lt_i64_e64 s10, v[42:43], v[30:31]
	v_cmp_ge_i64_e32 vcc_lo, v[42:43], v[32:33]
	s_delay_alu instid0(VALU_DEP_2) | instskip(NEXT) | instid1(SALU_CYCLE_1)
	s_or_b32 s10, s10, vcc_lo
	s_and_saveexec_b32 s11, s10
	s_delay_alu instid0(SALU_CYCLE_1)
	s_xor_b32 s10, exec_lo, s11
	s_cbranch_execz .LBB156_43
; %bb.40:                               ;   in Loop: Header=BB156_39 Depth=3
	s_mov_b32 s60, -1
	s_and_saveexec_b32 s11, vcc_lo
; %bb.41:                               ;   in Loop: Header=BB156_39 Depth=3
	v_cmp_lt_i64_e32 vcc_lo, v[42:43], v[34:35]
	v_dual_mov_b32 v8, v40 :: v_dual_mov_b32 v9, v41
	s_xor_b32 s60, exec_lo, -1
	v_dual_cndmask_b32 v35, v35, v43 :: v_dual_cndmask_b32 v34, v34, v42
; %bb.42:                               ;   in Loop: Header=BB156_39 Depth=3
	s_or_b32 exec_lo, exec_lo, s11
	s_delay_alu instid0(SALU_CYCLE_1)
	s_and_b32 s60, s60, exec_lo
                                        ; implicit-def: $vgpr42_vgpr43
.LBB156_43:                             ;   in Loop: Header=BB156_39 Depth=3
	s_and_not1_saveexec_b32 s61, s10
	s_cbranch_execz .LBB156_38
; %bb.44:                               ;   in Loop: Header=BB156_39 Depth=3
	v_sub_nc_u32_e32 v3, v42, v30
	s_delay_alu instid0(VALU_DEP_1)
	v_lshlrev_b32_e32 v42, 2, v3
	ds_store_b32 v42, v71 offset:12288
	s_and_saveexec_b32 s62, s50
	s_cbranch_execz .LBB156_37
; %bb.45:                               ;   in Loop: Header=BB156_39 Depth=3
	s_and_not1_b32 vcc_lo, exec_lo, s51
	s_cbranch_vccnz .LBB156_49
; %bb.46:                               ;   in Loop: Header=BB156_39 Depth=3
	v_dual_mov_b32 v42, 0 :: v_dual_mov_b32 v47, v39
	v_dual_mov_b32 v43, 0 :: v_dual_mov_b32 v48, v68
	v_mov_b32_e32 v46, v38
	s_mov_b64 s[10:11], s[38:39]
	s_delay_alu instid0(VALU_DEP_2)
	v_dual_mov_b32 v45, v43 :: v_dual_mov_b32 v44, v42
	.p2align	6
.LBB156_47:                             ;   Parent Loop BB156_15 Depth=1
                                        ;     Parent Loop BB156_24 Depth=2
                                        ;       Parent Loop BB156_39 Depth=3
                                        ; =>      This Inner Loop Header: Depth=4
	global_load_b128 v[72:75], v[46:47], off offset:-8
	ds_load_b128 v[76:79], v48
	v_add_co_u32 v46, vcc_lo, v46, 16
	v_add_co_ci_u32_e32 v47, vcc_lo, 0, v47, vcc_lo
	s_add_u32 s10, s10, -1
	v_add_nc_u32_e32 v48, 64, v48
	s_addc_u32 s11, s11, -1
	s_delay_alu instid0(SALU_CYCLE_1) | instskip(SKIP_3) | instid1(VALU_DEP_2)
	s_cmp_lg_u64 s[10:11], 0
	s_waitcnt vmcnt(0) lgkmcnt(0)
	v_fma_f64 v[42:43], v[76:77], v[72:73], v[42:43]
	v_fma_f64 v[44:45], v[78:79], v[72:73], v[44:45]
	v_fma_f64 v[42:43], -v[78:79], v[74:75], v[42:43]
	s_delay_alu instid0(VALU_DEP_2)
	v_fma_f64 v[44:45], v[76:77], v[74:75], v[44:45]
	s_cbranch_scc1 .LBB156_47
; %bb.48:                               ;   in Loop: Header=BB156_39 Depth=3
	s_branch .LBB156_52
.LBB156_49:                             ;   in Loop: Header=BB156_39 Depth=3
                                        ; implicit-def: $vgpr42_vgpr43
                                        ; implicit-def: $vgpr44_vgpr45
	s_cbranch_execz .LBB156_52
; %bb.50:                               ;   in Loop: Header=BB156_39 Depth=3
	v_dual_mov_b32 v42, 0 :: v_dual_mov_b32 v47, v37
	v_dual_mov_b32 v43, 0 :: v_dual_mov_b32 v48, v69
	v_mov_b32_e32 v46, v36
	s_mov_b64 s[10:11], s[38:39]
	s_delay_alu instid0(VALU_DEP_2)
	v_dual_mov_b32 v45, v43 :: v_dual_mov_b32 v44, v42
	.p2align	6
.LBB156_51:                             ;   Parent Loop BB156_15 Depth=1
                                        ;     Parent Loop BB156_24 Depth=2
                                        ;       Parent Loop BB156_39 Depth=3
                                        ; =>      This Inner Loop Header: Depth=4
	global_load_b128 v[72:75], v[46:47], off offset:-8
	ds_load_b128 v[76:79], v48
	v_add_co_u32 v46, vcc_lo, v46, s22
	s_add_u32 s10, s10, -1
	v_add_co_ci_u32_e32 v47, vcc_lo, s23, v47, vcc_lo
	v_add_nc_u32_e32 v48, 16, v48
	s_addc_u32 s11, s11, -1
	s_delay_alu instid0(SALU_CYCLE_1) | instskip(SKIP_3) | instid1(VALU_DEP_2)
	s_cmp_eq_u64 s[10:11], 0
	s_waitcnt vmcnt(0) lgkmcnt(0)
	v_fma_f64 v[42:43], v[76:77], v[72:73], v[42:43]
	v_fma_f64 v[44:45], v[78:79], v[72:73], v[44:45]
	v_fma_f64 v[42:43], -v[78:79], v[74:75], v[42:43]
	s_delay_alu instid0(VALU_DEP_2)
	v_fma_f64 v[44:45], v[76:77], v[74:75], v[44:45]
	s_cbranch_scc0 .LBB156_51
.LBB156_52:                             ;   in Loop: Header=BB156_39 Depth=3
	s_delay_alu instid0(VALU_DEP_1) | instskip(SKIP_2) | instid1(VALU_DEP_1)
	v_mul_f64 v[46:47], v[44:45], -v[16:17]
	v_lshlrev_b32_e32 v3, 4, v3
	s_mov_b32 s10, 0
	v_or3_b32 v3, v3, v53, v22
	s_delay_alu instid0(VALU_DEP_1)
	v_lshlrev_b32_e32 v3, 4, v3
	ds_load_b64 v[48:49], v3
	v_fma_f64 v[46:47], v[12:13], v[42:43], v[46:47]
.LBB156_53:                             ;   Parent Loop BB156_15 Depth=1
                                        ;     Parent Loop BB156_24 Depth=2
                                        ;       Parent Loop BB156_39 Depth=3
                                        ; =>      This Inner Loop Header: Depth=4
	s_waitcnt lgkmcnt(0)
	s_delay_alu instid0(VALU_DEP_1)
	v_add_f64 v[72:73], v[48:49], v[46:47]
	ds_cmpstore_rtn_b64 v[72:73], v3, v[72:73], v[48:49]
	s_waitcnt lgkmcnt(0)
	v_cmp_eq_u64_e32 vcc_lo, v[72:73], v[48:49]
	v_dual_mov_b32 v48, v72 :: v_dual_mov_b32 v49, v73
	s_or_b32 s10, vcc_lo, s10
	s_delay_alu instid0(SALU_CYCLE_1)
	s_and_not1_b32 exec_lo, exec_lo, s10
	s_cbranch_execnz .LBB156_53
; %bb.54:                               ;   in Loop: Header=BB156_39 Depth=3
	s_or_b32 exec_lo, exec_lo, s10
	v_mul_f64 v[44:45], v[12:13], v[44:45]
	s_mov_b32 s10, 0
	s_delay_alu instid0(VALU_DEP_1)
	v_fma_f64 v[42:43], v[16:17], v[42:43], v[44:45]
	ds_load_b64 v[44:45], v3 offset:8
.LBB156_55:                             ;   Parent Loop BB156_15 Depth=1
                                        ;     Parent Loop BB156_24 Depth=2
                                        ;       Parent Loop BB156_39 Depth=3
                                        ; =>      This Inner Loop Header: Depth=4
	s_waitcnt lgkmcnt(0)
	v_add_f64 v[46:47], v[44:45], v[42:43]
	ds_cmpstore_rtn_b64 v[46:47], v3, v[46:47], v[44:45] offset:8
	s_waitcnt lgkmcnt(0)
	v_cmp_eq_u64_e32 vcc_lo, v[46:47], v[44:45]
	v_dual_mov_b32 v44, v46 :: v_dual_mov_b32 v45, v47
	s_or_b32 s10, vcc_lo, s10
	s_delay_alu instid0(SALU_CYCLE_1)
	s_and_not1_b32 exec_lo, exec_lo, s10
	s_cbranch_execnz .LBB156_55
	s_branch .LBB156_37
.LBB156_56:                             ;   in Loop: Header=BB156_24 Depth=2
	s_or_b32 exec_lo, exec_lo, s59
.LBB156_57:                             ;   in Loop: Header=BB156_24 Depth=2
	s_delay_alu instid0(SALU_CYCLE_1)
	s_or_b32 exec_lo, exec_lo, s49
.LBB156_58:                             ;   in Loop: Header=BB156_24 Depth=2
	s_delay_alu instid0(SALU_CYCLE_1)
	s_or_b32 exec_lo, exec_lo, s48
	s_waitcnt lgkmcnt(0)
	s_barrier
	buffer_gl0_inv
	s_and_saveexec_b32 s10, s9
	s_cbranch_execz .LBB156_23
; %bb.59:                               ;   in Loop: Header=BB156_24 Depth=2
	v_add_co_u32 v1, vcc_lo, s46, v1
	v_add_co_ci_u32_e32 v2, vcc_lo, s47, v2, vcc_lo
	global_store_b64 v[1:2], v[8:9], off
	s_branch .LBB156_23
.LBB156_60:                             ;   in Loop: Header=BB156_15 Depth=1
	s_and_not1_b32 vcc_lo, exec_lo, s33
	s_cbranch_vccnz .LBB156_75
; %bb.61:                               ;   in Loop: Header=BB156_15 Depth=1
	s_load_b128 s[8:11], s[12:13], 0x0
	s_waitcnt lgkmcnt(0)
	v_add_co_u32 v1, vcc_lo, s8, v54
	v_add_co_ci_u32_e32 v2, vcc_lo, s9, v55, vcc_lo
	s_sub_u32 s10, s10, s31
	s_subb_u32 s11, s11, 0
	s_mov_b32 s9, exec_lo
	s_delay_alu instid0(VALU_DEP_1)
	v_cmpx_gt_i64_e64 s[10:11], v[1:2]
	s_cbranch_execz .LBB156_74
; %bb.62:                               ;   in Loop: Header=BB156_15 Depth=1
	s_mov_b32 s42, 0
	s_branch .LBB156_65
.LBB156_63:                             ;   in Loop: Header=BB156_65 Depth=2
	s_or_b32 exec_lo, exec_lo, s48
	s_delay_alu instid0(SALU_CYCLE_1)
	s_or_b32 s8, s8, exec_lo
.LBB156_64:                             ;   in Loop: Header=BB156_65 Depth=2
	s_or_b32 exec_lo, exec_lo, s43
	v_add_co_u32 v1, vcc_lo, v1, 16
	v_add_co_ci_u32_e32 v2, vcc_lo, 0, v2, vcc_lo
	s_xor_b32 s8, s8, -1
	s_delay_alu instid0(VALU_DEP_1) | instskip(SKIP_1) | instid1(SALU_CYCLE_1)
	v_cmp_le_i64_e32 vcc_lo, s[10:11], v[1:2]
	s_or_b32 s8, s8, vcc_lo
	s_and_b32 s8, exec_lo, s8
	s_delay_alu instid0(SALU_CYCLE_1) | instskip(NEXT) | instid1(SALU_CYCLE_1)
	s_or_b32 s42, s8, s42
	s_and_not1_b32 exec_lo, exec_lo, s42
	s_cbranch_execz .LBB156_73
.LBB156_65:                             ;   Parent Loop BB156_15 Depth=1
                                        ; =>  This Loop Header: Depth=2
                                        ;       Child Loop BB156_70 Depth 3
                                        ;       Child Loop BB156_72 Depth 3
	v_lshlrev_b64 v[8:9], 3, v[1:2]
	s_delay_alu instid0(VALU_DEP_1) | instskip(NEXT) | instid1(VALU_DEP_2)
	v_add_co_u32 v8, vcc_lo, s14, v8
	v_add_co_ci_u32_e32 v9, vcc_lo, s15, v9, vcc_lo
	global_load_b64 v[8:9], v[8:9], off
	s_waitcnt vmcnt(0)
	v_sub_co_u32 v8, vcc_lo, v8, s31
	v_subrev_co_ci_u32_e32 v9, vcc_lo, 0, v9, vcc_lo
	s_delay_alu instid0(VALU_DEP_1)
	v_cmp_lt_i64_e32 vcc_lo, v[8:9], v[32:33]
	v_cmp_lt_i64_e64 s8, v[8:9], v[30:31]
	s_xor_b32 s43, vcc_lo, -1
	s_delay_alu instid0(VALU_DEP_1) | instid1(SALU_CYCLE_1)
	s_or_b32 s43, s8, s43
                                        ; implicit-def: $sgpr8
	s_delay_alu instid0(SALU_CYCLE_1) | instskip(NEXT) | instid1(SALU_CYCLE_1)
	s_and_saveexec_b32 s48, s43
	s_xor_b32 s43, exec_lo, s48
; %bb.66:                               ;   in Loop: Header=BB156_65 Depth=2
	v_cmp_lt_i64_e64 s8, v[8:9], v[34:35]
	s_delay_alu instid0(VALU_DEP_1) | instskip(SKIP_2) | instid1(VALU_DEP_1)
	v_cndmask_b32_e64 v3, v34, v8, s8
	v_cndmask_b32_e64 v8, v35, v9, s8
	s_and_b32 s8, vcc_lo, exec_lo
	v_dual_cndmask_b32 v34, v3, v34 :: v_dual_cndmask_b32 v35, v8, v35
                                        ; implicit-def: $vgpr8
; %bb.67:                               ;   in Loop: Header=BB156_65 Depth=2
	s_and_not1_saveexec_b32 s43, s43
	s_cbranch_execz .LBB156_64
; %bb.68:                               ;   in Loop: Header=BB156_65 Depth=2
	v_sub_nc_u32_e32 v3, v8, v30
	s_delay_alu instid0(VALU_DEP_1)
	v_lshlrev_b32_e32 v8, 2, v3
	ds_store_b32 v8, v71 offset:12288
	s_and_saveexec_b32 s48, s54
	s_cbranch_execz .LBB156_63
; %bb.69:                               ;   in Loop: Header=BB156_65 Depth=2
	v_mul_lo_u32 v10, v2, s18
	v_mul_lo_u32 v11, v1, s19
	v_mad_u64_u32 v[8:9], null, v1, s18, 0
	v_lshlrev_b32_e32 v3, 4, v3
	s_mov_b32 s49, 0
	s_delay_alu instid0(VALU_DEP_1) | instskip(NEXT) | instid1(VALU_DEP_3)
	v_or3_b32 v3, v3, v53, v22
	v_add3_u32 v9, v9, v11, v10
	s_delay_alu instid0(VALU_DEP_2) | instskip(NEXT) | instid1(VALU_DEP_2)
	v_lshlrev_b32_e32 v3, 4, v3
	v_lshlrev_b64 v[8:9], 4, v[8:9]
	ds_load_b64 v[38:39], v3
	v_add_co_u32 v8, vcc_lo, v64, v8
	v_add_co_ci_u32_e32 v9, vcc_lo, v63, v9, vcc_lo
	global_load_b128 v[8:11], v[8:9], off
	s_waitcnt vmcnt(0)
	v_mul_f64 v[36:37], v[10:11], -v[14:15]
	s_delay_alu instid0(VALU_DEP_1)
	v_fma_f64 v[36:37], v[18:19], v[8:9], v[36:37]
.LBB156_70:                             ;   Parent Loop BB156_15 Depth=1
                                        ;     Parent Loop BB156_65 Depth=2
                                        ; =>    This Inner Loop Header: Depth=3
	s_waitcnt lgkmcnt(0)
	s_delay_alu instid0(VALU_DEP_1)
	v_add_f64 v[40:41], v[38:39], v[36:37]
	ds_cmpstore_rtn_b64 v[40:41], v3, v[40:41], v[38:39]
	s_waitcnt lgkmcnt(0)
	v_cmp_eq_u64_e32 vcc_lo, v[40:41], v[38:39]
	v_dual_mov_b32 v38, v40 :: v_dual_mov_b32 v39, v41
	s_or_b32 s49, vcc_lo, s49
	s_delay_alu instid0(SALU_CYCLE_1)
	s_and_not1_b32 exec_lo, exec_lo, s49
	s_cbranch_execnz .LBB156_70
; %bb.71:                               ;   in Loop: Header=BB156_65 Depth=2
	s_or_b32 exec_lo, exec_lo, s49
	v_mul_f64 v[10:11], v[18:19], v[10:11]
	s_mov_b32 s49, 0
	s_delay_alu instid0(VALU_DEP_1)
	v_fma_f64 v[8:9], v[14:15], v[8:9], v[10:11]
	ds_load_b64 v[10:11], v3 offset:8
.LBB156_72:                             ;   Parent Loop BB156_15 Depth=1
                                        ;     Parent Loop BB156_65 Depth=2
                                        ; =>    This Inner Loop Header: Depth=3
	s_waitcnt lgkmcnt(0)
	v_add_f64 v[36:37], v[10:11], v[8:9]
	ds_cmpstore_rtn_b64 v[36:37], v3, v[36:37], v[10:11] offset:8
	s_waitcnt lgkmcnt(0)
	v_cmp_eq_u64_e32 vcc_lo, v[36:37], v[10:11]
	v_dual_mov_b32 v10, v36 :: v_dual_mov_b32 v11, v37
	s_or_b32 s49, vcc_lo, s49
	s_delay_alu instid0(SALU_CYCLE_1)
	s_and_not1_b32 exec_lo, exec_lo, s49
	s_cbranch_execnz .LBB156_72
	s_branch .LBB156_63
.LBB156_73:                             ;   in Loop: Header=BB156_15 Depth=1
	s_or_b32 exec_lo, exec_lo, s42
.LBB156_74:                             ;   in Loop: Header=BB156_15 Depth=1
	s_delay_alu instid0(SALU_CYCLE_1)
	s_or_b32 exec_lo, exec_lo, s9
.LBB156_75:                             ;   in Loop: Header=BB156_15 Depth=1
	s_and_saveexec_b32 s10, s2
	s_cbranch_execz .LBB156_80
; %bb.76:                               ;   in Loop: Header=BB156_15 Depth=1
	s_mov_b32 s11, exec_lo
	s_mov_b64 s[8:9], -1
.LBB156_77:                             ;   Parent Loop BB156_15 Depth=1
                                        ; =>  This Inner Loop Header: Depth=2
	s_ctz_i32_b32 s48, s11
	s_delay_alu instid0(SALU_CYCLE_1) | instskip(SKIP_1) | instid1(VALU_DEP_1)
	v_readlane_b32 s43, v35, s48
	v_readlane_b32 s42, v34, s48
	v_cmp_lt_u64_e64 s49, s[8:9], s[42:43]
	s_delay_alu instid0(VALU_DEP_1) | instskip(SKIP_3) | instid1(SALU_CYCLE_1)
	s_and_b32 s49, s49, exec_lo
	s_cselect_b32 s9, s9, s43
	s_cselect_b32 s8, s8, s42
	s_lshl_b32 s42, 1, s48
	s_and_not1_b32 s11, s11, s42
	s_delay_alu instid0(SALU_CYCLE_1)
	s_cmp_lg_u32 s11, 0
	s_cbranch_scc1 .LBB156_77
; %bb.78:                               ;   in Loop: Header=BB156_15 Depth=1
	v_mbcnt_lo_u32_b32 v1, exec_lo, 0
	s_mov_b32 s11, exec_lo
	s_delay_alu instid0(VALU_DEP_1)
	v_cmpx_eq_u32_e32 0, v1
	s_xor_b32 s11, exec_lo, s11
	s_cbranch_execz .LBB156_80
; %bb.79:                               ;   in Loop: Header=BB156_15 Depth=1
	v_dual_mov_b32 v1, s8 :: v_dual_mov_b32 v2, s9
	ds_min_u64 v0, v[1:2] offset:12416
.LBB156_80:                             ;   in Loop: Header=BB156_15 Depth=1
	s_or_b32 exec_lo, exec_lo, s10
	s_waitcnt lgkmcnt(0)
	s_waitcnt_vscnt null, 0x0
	s_barrier
	buffer_gl0_inv
	ds_load_b32 v1, v56
	s_waitcnt lgkmcnt(0)
	s_barrier
	buffer_gl0_inv
	s_and_saveexec_b32 s8, s3
	s_cbranch_execz .LBB156_82
; %bb.81:                               ;   in Loop: Header=BB156_15 Depth=1
	ds_load_b32 v2, v57
	s_waitcnt lgkmcnt(0)
	v_add_nc_u32_e32 v1, v2, v1
.LBB156_82:                             ;   in Loop: Header=BB156_15 Depth=1
	s_or_b32 exec_lo, exec_lo, s8
	s_barrier
	buffer_gl0_inv
	ds_store_b32 v56, v1
	s_waitcnt lgkmcnt(0)
	s_barrier
	buffer_gl0_inv
	s_and_saveexec_b32 s8, s4
	s_cbranch_execz .LBB156_84
; %bb.83:                               ;   in Loop: Header=BB156_15 Depth=1
	ds_load_b32 v2, v59
	s_waitcnt lgkmcnt(0)
	v_add_nc_u32_e32 v1, v2, v1
.LBB156_84:                             ;   in Loop: Header=BB156_15 Depth=1
	s_or_b32 exec_lo, exec_lo, s8
	s_barrier
	buffer_gl0_inv
	ds_store_b32 v56, v1
	;; [unrolled: 14-line block ×5, first 2 shown]
	s_waitcnt lgkmcnt(0)
	s_barrier
	buffer_gl0_inv
	ds_load_b32 v3, v0 offset:12412
	v_mov_b32_e32 v2, 0
	s_and_saveexec_b32 s8, s52
	s_cbranch_execz .LBB156_92
; %bb.91:                               ;   in Loop: Header=BB156_15 Depth=1
	ds_load_b32 v2, v57
.LBB156_92:                             ;   in Loop: Header=BB156_15 Depth=1
	s_or_b32 exec_lo, exec_lo, s8
	s_waitcnt lgkmcnt(0)
	v_cmp_eq_u32_e32 vcc_lo, v1, v2
	s_barrier
	buffer_gl0_inv
	s_and_b32 s9, s52, vcc_lo
	s_delay_alu instid0(SALU_CYCLE_1)
	s_and_saveexec_b32 s8, s9
	s_cbranch_execz .LBB156_94
; %bb.93:                               ;   in Loop: Header=BB156_15 Depth=1
	ds_store_b32 v56, v0
.LBB156_94:                             ;   in Loop: Header=BB156_15 Depth=1
	s_or_b32 exec_lo, exec_lo, s8
	v_add_co_u32 v8, vcc_lo, v28, -1
	v_add_co_ci_u32_e32 v9, vcc_lo, -1, v29, vcc_lo
	v_add_co_u32 v10, vcc_lo, s30, v30
	v_dual_mov_b32 v30, v70 :: v_dual_mov_b32 v1, v20
	v_add_co_ci_u32_e32 v11, vcc_lo, 0, v31, vcc_lo
	v_dual_mov_b32 v31, v50 :: v_dual_mov_b32 v2, v21
	s_mov_b32 s8, 0
	s_waitcnt lgkmcnt(0)
	s_barrier
	buffer_gl0_inv
	s_branch .LBB156_96
.LBB156_95:                             ;   in Loop: Header=BB156_96 Depth=2
	s_or_b32 exec_lo, exec_lo, s9
	v_add_co_u32 v1, vcc_lo, v1, 16
	v_add_co_ci_u32_e32 v2, vcc_lo, 0, v2, vcc_lo
	v_add_nc_u32_e32 v31, 0x1000, v31
	s_delay_alu instid0(VALU_DEP_3) | instskip(SKIP_1) | instid1(VALU_DEP_2)
	v_add_nc_u32_e32 v32, -16, v1
	v_add_nc_u32_e32 v30, 64, v30
	v_cmp_lt_u32_e32 vcc_lo, 15, v32
	s_or_b32 s8, vcc_lo, s8
	s_delay_alu instid0(SALU_CYCLE_1)
	s_and_not1_b32 exec_lo, exec_lo, s8
	s_cbranch_execz .LBB156_14
.LBB156_96:                             ;   Parent Loop BB156_15 Depth=1
                                        ; =>  This Inner Loop Header: Depth=2
	ds_load_b32 v32, v30
	s_mov_b32 s9, exec_lo
	s_waitcnt lgkmcnt(0)
	v_cmpx_ne_u32_e32 0, v32
	s_cbranch_execz .LBB156_95
; %bb.97:                               ;   in Loop: Header=BB156_96 Depth=2
	v_ashrrev_i32_e32 v33, 31, v32
	v_add_co_u32 v34, vcc_lo, v28, v32
	s_delay_alu instid0(VALU_DEP_2) | instskip(SKIP_2) | instid1(VALU_DEP_3)
	v_add_co_ci_u32_e32 v35, vcc_lo, v29, v33, vcc_lo
	v_add_co_u32 v36, vcc_lo, v10, v1
	v_add_co_ci_u32_e32 v37, vcc_lo, v11, v2, vcc_lo
	v_lshlrev_b64 v[34:35], 3, v[34:35]
	s_delay_alu instid0(VALU_DEP_1) | instskip(NEXT) | instid1(VALU_DEP_2)
	v_add_co_u32 v34, vcc_lo, s57, v34
	v_add_co_ci_u32_e32 v35, vcc_lo, s58, v35, vcc_lo
	global_store_b64 v[34:35], v[36:37], off
	s_and_b32 exec_lo, exec_lo, s54
	s_cbranch_execz .LBB156_95
; %bb.98:                               ;   in Loop: Header=BB156_96 Depth=2
	v_add_co_u32 v32, vcc_lo, v8, v32
	v_add_co_ci_u32_e32 v33, vcc_lo, v9, v33, vcc_lo
	s_delay_alu instid0(VALU_DEP_2) | instskip(SKIP_1) | instid1(VALU_DEP_3)
	v_mul_lo_u32 v39, v32, s19
	v_mad_u64_u32 v[36:37], null, v32, s18, 0
	v_mul_lo_u32 v38, v33, s18
	ds_load_2addr_b64 v[32:35], v31 offset1:1
	v_add3_u32 v37, v37, v39, v38
	s_delay_alu instid0(VALU_DEP_1) | instskip(NEXT) | instid1(VALU_DEP_1)
	v_lshlrev_b64 v[36:37], 4, v[36:37]
	v_add_co_u32 v36, vcc_lo, v66, v36
	s_delay_alu instid0(VALU_DEP_2)
	v_add_co_ci_u32_e32 v37, vcc_lo, v65, v37, vcc_lo
	s_waitcnt lgkmcnt(0)
	global_store_b128 v[36:37], v[32:35], off
	s_branch .LBB156_95
.LBB156_99:
	s_endpgm
	.section	.rodata,"a",@progbits
	.p2align	6, 0x0
	.amdhsa_kernel _ZN9rocsparseL38bsrgemm_block_per_row_atomic_multipassILj256ELj32ELj4Ell21rocsparse_complex_numIdEEEv20rocsparse_direction_T3_S4_PKS4_S6_NS_24const_host_device_scalarIT4_EEPKT2_S6_PKS8_SC_S6_SE_S9_SC_S6_SE_SC_PS4_PS8_PSA_21rocsparse_index_base_SI_SI_SI_bbb
		.amdhsa_group_segment_fixed_size 14472
		.amdhsa_private_segment_fixed_size 16
		.amdhsa_kernarg_size 196
		.amdhsa_user_sgpr_count 15
		.amdhsa_user_sgpr_dispatch_ptr 1
		.amdhsa_user_sgpr_queue_ptr 0
		.amdhsa_user_sgpr_kernarg_segment_ptr 1
		.amdhsa_user_sgpr_dispatch_id 0
		.amdhsa_user_sgpr_private_segment_size 0
		.amdhsa_wavefront_size32 1
		.amdhsa_uses_dynamic_stack 0
		.amdhsa_enable_private_segment 1
		.amdhsa_system_sgpr_workgroup_id_x 1
		.amdhsa_system_sgpr_workgroup_id_y 0
		.amdhsa_system_sgpr_workgroup_id_z 0
		.amdhsa_system_sgpr_workgroup_info 0
		.amdhsa_system_vgpr_workitem_id 2
		.amdhsa_next_free_vgpr 80
		.amdhsa_next_free_sgpr 63
		.amdhsa_reserve_vcc 1
		.amdhsa_float_round_mode_32 0
		.amdhsa_float_round_mode_16_64 0
		.amdhsa_float_denorm_mode_32 3
		.amdhsa_float_denorm_mode_16_64 3
		.amdhsa_dx10_clamp 1
		.amdhsa_ieee_mode 1
		.amdhsa_fp16_overflow 0
		.amdhsa_workgroup_processor_mode 1
		.amdhsa_memory_ordered 1
		.amdhsa_forward_progress 0
		.amdhsa_shared_vgpr_count 0
		.amdhsa_exception_fp_ieee_invalid_op 0
		.amdhsa_exception_fp_denorm_src 0
		.amdhsa_exception_fp_ieee_div_zero 0
		.amdhsa_exception_fp_ieee_overflow 0
		.amdhsa_exception_fp_ieee_underflow 0
		.amdhsa_exception_fp_ieee_inexact 0
		.amdhsa_exception_int_div_zero 0
	.end_amdhsa_kernel
	.section	.text._ZN9rocsparseL38bsrgemm_block_per_row_atomic_multipassILj256ELj32ELj4Ell21rocsparse_complex_numIdEEEv20rocsparse_direction_T3_S4_PKS4_S6_NS_24const_host_device_scalarIT4_EEPKT2_S6_PKS8_SC_S6_SE_S9_SC_S6_SE_SC_PS4_PS8_PSA_21rocsparse_index_base_SI_SI_SI_bbb,"axG",@progbits,_ZN9rocsparseL38bsrgemm_block_per_row_atomic_multipassILj256ELj32ELj4Ell21rocsparse_complex_numIdEEEv20rocsparse_direction_T3_S4_PKS4_S6_NS_24const_host_device_scalarIT4_EEPKT2_S6_PKS8_SC_S6_SE_S9_SC_S6_SE_SC_PS4_PS8_PSA_21rocsparse_index_base_SI_SI_SI_bbb,comdat
.Lfunc_end156:
	.size	_ZN9rocsparseL38bsrgemm_block_per_row_atomic_multipassILj256ELj32ELj4Ell21rocsparse_complex_numIdEEEv20rocsparse_direction_T3_S4_PKS4_S6_NS_24const_host_device_scalarIT4_EEPKT2_S6_PKS8_SC_S6_SE_S9_SC_S6_SE_SC_PS4_PS8_PSA_21rocsparse_index_base_SI_SI_SI_bbb, .Lfunc_end156-_ZN9rocsparseL38bsrgemm_block_per_row_atomic_multipassILj256ELj32ELj4Ell21rocsparse_complex_numIdEEEv20rocsparse_direction_T3_S4_PKS4_S6_NS_24const_host_device_scalarIT4_EEPKT2_S6_PKS8_SC_S6_SE_S9_SC_S6_SE_SC_PS4_PS8_PSA_21rocsparse_index_base_SI_SI_SI_bbb
                                        ; -- End function
	.section	.AMDGPU.csdata,"",@progbits
; Kernel info:
; codeLenInByte = 4596
; NumSgprs: 65
; NumVgprs: 80
; ScratchSize: 16
; MemoryBound: 0
; FloatMode: 240
; IeeeMode: 1
; LDSByteSize: 14472 bytes/workgroup (compile time only)
; SGPRBlocks: 8
; VGPRBlocks: 9
; NumSGPRsForWavesPerEU: 65
; NumVGPRsForWavesPerEU: 80
; Occupancy: 16
; WaveLimiterHint : 1
; COMPUTE_PGM_RSRC2:SCRATCH_EN: 1
; COMPUTE_PGM_RSRC2:USER_SGPR: 15
; COMPUTE_PGM_RSRC2:TRAP_HANDLER: 0
; COMPUTE_PGM_RSRC2:TGID_X_EN: 1
; COMPUTE_PGM_RSRC2:TGID_Y_EN: 0
; COMPUTE_PGM_RSRC2:TGID_Z_EN: 0
; COMPUTE_PGM_RSRC2:TIDIG_COMP_CNT: 2
	.section	.text._ZN9rocsparseL38bsrgemm_block_per_row_atomic_multipassILj256ELj64ELj4Ell21rocsparse_complex_numIdEEEv20rocsparse_direction_T3_S4_PKS4_S6_NS_24const_host_device_scalarIT4_EEPKT2_S6_PKS8_SC_S6_SE_S9_SC_S6_SE_SC_PS4_PS8_PSA_21rocsparse_index_base_SI_SI_SI_bbb,"axG",@progbits,_ZN9rocsparseL38bsrgemm_block_per_row_atomic_multipassILj256ELj64ELj4Ell21rocsparse_complex_numIdEEEv20rocsparse_direction_T3_S4_PKS4_S6_NS_24const_host_device_scalarIT4_EEPKT2_S6_PKS8_SC_S6_SE_S9_SC_S6_SE_SC_PS4_PS8_PSA_21rocsparse_index_base_SI_SI_SI_bbb,comdat
	.globl	_ZN9rocsparseL38bsrgemm_block_per_row_atomic_multipassILj256ELj64ELj4Ell21rocsparse_complex_numIdEEEv20rocsparse_direction_T3_S4_PKS4_S6_NS_24const_host_device_scalarIT4_EEPKT2_S6_PKS8_SC_S6_SE_S9_SC_S6_SE_SC_PS4_PS8_PSA_21rocsparse_index_base_SI_SI_SI_bbb ; -- Begin function _ZN9rocsparseL38bsrgemm_block_per_row_atomic_multipassILj256ELj64ELj4Ell21rocsparse_complex_numIdEEEv20rocsparse_direction_T3_S4_PKS4_S6_NS_24const_host_device_scalarIT4_EEPKT2_S6_PKS8_SC_S6_SE_S9_SC_S6_SE_SC_PS4_PS8_PSA_21rocsparse_index_base_SI_SI_SI_bbb
	.p2align	8
	.type	_ZN9rocsparseL38bsrgemm_block_per_row_atomic_multipassILj256ELj64ELj4Ell21rocsparse_complex_numIdEEEv20rocsparse_direction_T3_S4_PKS4_S6_NS_24const_host_device_scalarIT4_EEPKT2_S6_PKS8_SC_S6_SE_S9_SC_S6_SE_SC_PS4_PS8_PSA_21rocsparse_index_base_SI_SI_SI_bbb,@function
_ZN9rocsparseL38bsrgemm_block_per_row_atomic_multipassILj256ELj64ELj4Ell21rocsparse_complex_numIdEEEv20rocsparse_direction_T3_S4_PKS4_S6_NS_24const_host_device_scalarIT4_EEPKT2_S6_PKS8_SC_S6_SE_S9_SC_S6_SE_SC_PS4_PS8_PSA_21rocsparse_index_base_SI_SI_SI_bbb: ; @_ZN9rocsparseL38bsrgemm_block_per_row_atomic_multipassILj256ELj64ELj4Ell21rocsparse_complex_numIdEEEv20rocsparse_direction_T3_S4_PKS4_S6_NS_24const_host_device_scalarIT4_EEPKT2_S6_PKS8_SC_S6_SE_S9_SC_S6_SE_SC_PS4_PS8_PSA_21rocsparse_index_base_SI_SI_SI_bbb
; %bb.0:
	s_clause 0x3
	s_load_b32 s12, s[0:1], 0xc0
	s_load_b128 s[8:11], s[0:1], 0x28
	s_load_b128 s[4:7], s[0:1], 0x68
	;; [unrolled: 1-line block ×3, first 2 shown]
	v_mov_b32_e32 v10, 0
	v_mov_b32_e32 v11, 0
	s_mov_b32 s48, s15
	s_waitcnt lgkmcnt(0)
	s_bitcmp1_b32 s12, 0
	v_dual_mov_b32 v1, s8 :: v_dual_mov_b32 v2, s9
	s_cselect_b32 s53, -1, 0
	s_bitcmp1_b32 s12, 16
	v_dual_mov_b32 v8, v10 :: v_dual_mov_b32 v9, v11
	s_cselect_b32 s2, -1, 0
	v_dual_mov_b32 v13, v11 :: v_dual_mov_b32 v12, v10
	s_xor_b32 s3, s2, -1
	v_dual_mov_b32 v3, s4 :: v_dual_mov_b32 v4, s5
	v_cndmask_b32_e64 v5, 0, 1, s3
	s_bitcmp0_b32 s12, 0
	s_clause 0x1
	scratch_store_b64 off, v[1:2], off
	scratch_store_b64 off, v[3:4], off offset:8
	v_cmp_ne_u32_e32 vcc_lo, 1, v5
	s_cbranch_scc1 .LBB157_3
; %bb.1:
	s_mov_b64 s[14:15], src_private_base
	s_and_b32 s13, s2, exec_lo
	s_cselect_b32 s13, s15, s9
	s_delay_alu instid0(SALU_CYCLE_1) | instskip(SKIP_2) | instid1(VALU_DEP_2)
	v_dual_mov_b32 v1, 0 :: v_dual_mov_b32 v2, s13
	v_dual_mov_b32 v13, s11 :: v_dual_mov_b32 v12, s10
	s_and_b32 vcc_lo, exec_lo, vcc_lo
	v_cndmask_b32_e64 v1, s8, v1, s2
	flat_load_b64 v[8:9], v[1:2]
	s_cbranch_vccnz .LBB157_3
; %bb.2:
	v_dual_mov_b32 v1, s8 :: v_dual_mov_b32 v2, s9
	flat_load_b64 v[12:13], v[1:2] offset:8
.LBB157_3:
	s_load_b64 s[8:9], s[0:1], 0x20
	s_bitcmp1_b32 s12, 8
	v_dual_mov_b32 v15, v11 :: v_dual_mov_b32 v14, v10
	s_cselect_b32 s33, -1, 0
	s_bfe_u32 s10, s12, 0x10008
	s_delay_alu instid0(SALU_CYCLE_1)
	s_cmp_eq_u32 s10, 0
	s_cbranch_scc1 .LBB157_6
; %bb.4:
	s_mov_b64 s[10:11], src_private_base
	s_and_b32 s10, s2, exec_lo
	s_cselect_b32 s10, s11, s5
	s_delay_alu instid0(SALU_CYCLE_1) | instskip(SKIP_2) | instid1(VALU_DEP_2)
	v_dual_mov_b32 v1, 8 :: v_dual_mov_b32 v2, s10
	v_dual_mov_b32 v11, s7 :: v_dual_mov_b32 v10, s6
	s_and_not1_b32 vcc_lo, exec_lo, s3
	v_cndmask_b32_e64 v1, s4, v1, s2
	flat_load_b64 v[14:15], v[1:2]
	s_cbranch_vccnz .LBB157_6
; %bb.5:
	v_dual_mov_b32 v1, s4 :: v_dual_mov_b32 v2, s5
	flat_load_b64 v[10:11], v[1:2] offset:8
.LBB157_6:
	s_load_b64 s[2:3], s[0:1], 0x38
	s_waitcnt lgkmcnt(0)
	s_cmp_eq_u64 s[8:9], 0
	s_mov_b32 s49, 0
	s_cbranch_scc1 .LBB157_8
; %bb.7:
	s_load_b64 s[4:5], s[0:1], 0x18
	s_waitcnt lgkmcnt(0)
	s_load_b64 s[4:5], s[4:5], 0x0
	s_waitcnt lgkmcnt(0)
	s_lshl_b64 s[4:5], s[4:5], 3
	s_delay_alu instid0(SALU_CYCLE_1) | instskip(SKIP_2) | instid1(SALU_CYCLE_1)
	s_add_u32 s6, s8, s4
	s_addc_u32 s7, s9, s5
	s_lshl_b64 s[4:5], s[48:49], 3
	s_add_u32 s4, s6, s4
	s_addc_u32 s5, s7, s5
	s_load_b64 s[48:49], s[4:5], 0x0
.LBB157_8:
	s_mov_b64 s[34:35], 0
	s_and_not1_b32 vcc_lo, exec_lo, s53
	s_mov_b64 s[44:45], 0
	s_cbranch_vccz .LBB157_11
; %bb.9:
	s_and_not1_b32 vcc_lo, exec_lo, s53
	s_cbranch_vccz .LBB157_12
.LBB157_10:
	s_load_b128 s[36:39], s[0:1], 0x8
	s_waitcnt lgkmcnt(0)
	v_cmp_lt_i64_e64 s2, s[36:37], 1
	s_delay_alu instid0(VALU_DEP_1)
	s_and_b32 vcc_lo, exec_lo, s2
	s_cbranch_vccz .LBB157_13
	s_branch .LBB157_101
.LBB157_11:
	s_waitcnt lgkmcnt(0)
	s_lshl_b64 s[4:5], s[48:49], 3
	s_delay_alu instid0(SALU_CYCLE_1)
	s_add_u32 s4, s2, s4
	s_addc_u32 s5, s3, s5
	s_load_b64 s[4:5], s[4:5], 0x0
	s_waitcnt lgkmcnt(0)
	s_sub_u32 s44, s4, s28
	s_subb_u32 s45, s5, 0
	s_and_not1_b32 vcc_lo, exec_lo, s53
	s_cbranch_vccnz .LBB157_10
.LBB157_12:
	s_waitcnt lgkmcnt(0)
	s_lshl_b64 s[4:5], s[48:49], 3
	s_delay_alu instid0(SALU_CYCLE_1)
	s_add_u32 s2, s2, s4
	s_addc_u32 s3, s3, s5
	s_load_b64 s[2:3], s[2:3], 0x8
	s_waitcnt lgkmcnt(0)
	s_sub_u32 s34, s2, s28
	s_subb_u32 s35, s3, 0
	s_load_b128 s[36:39], s[0:1], 0x8
	s_waitcnt lgkmcnt(0)
	v_cmp_lt_i64_e64 s2, s[36:37], 1
	s_delay_alu instid0(VALU_DEP_1)
	s_and_b32 vcc_lo, exec_lo, s2
	s_cbranch_vccnz .LBB157_101
.LBB157_13:
	v_bfe_u32 v1, v0, 2, 2
	s_clause 0x4
	s_load_b256 s[12:19], s[0:1], 0x78
	s_load_b64 s[46:47], s[0:1], 0xa8
	s_load_b128 s[40:43], s[0:1], 0x98
	s_load_b64 s[10:11], s[0:1], 0x60
	s_load_b256 s[20:27], s[0:1], 0x40
	v_dual_mov_b32 v17, 0 :: v_dual_and_b32 v24, 15, v0
	s_lshl_b64 s[6:7], s[48:49], 3
	v_mad_u64_u32 v[3:4], null, v1, s38, 0
	v_and_b32_e32 v18, 3, v0
	s_mul_i32 s4, s38, s39
	s_mul_hi_u32 s9, s38, s38
	v_mov_b32_e32 v28, 64
	s_load_b32 s5, s[0:1], 0x0
	v_lshrrev_b32_e32 v16, 4, v0
	s_delay_alu instid0(VALU_DEP_4)
	v_dual_mov_b32 v2, v4 :: v_dual_mov_b32 v21, v17
	v_cmp_lt_i64_e64 s8, s[44:45], s[34:35]
	v_lshlrev_b32_e32 v48, 4, v0
	s_waitcnt lgkmcnt(0)
	s_add_u32 s2, s18, s6
	v_mad_u64_u32 v[19:20], null, v1, s39, v[2:3]
	s_addc_u32 s3, s19, s7
	v_cmp_gt_u32_e64 s0, 64, v0
	s_load_b64 s[2:3], s[2:3], 0x0
	v_cmp_eq_u32_e64 s1, 0, v0
	v_lshl_or_b32 v56, v0, 2, 0x5000
	v_or_b32_e32 v66, 0xffffff00, v0
	v_dual_mov_b32 v4, v19 :: v_dual_mov_b32 v19, v17
	v_mad_u64_u32 v[5:6], null, v18, s38, 0
	v_dual_mov_b32 v29, 0 :: v_dual_lshlrev_b32 v20, 4, v18
	v_lshl_or_b32 v69, v16, 2, 0x5000
	v_dual_mov_b32 v70, 1 :: v_dual_and_b32 v51, 12, v0
	s_mul_i32 s18, s38, s38
	s_delay_alu instid0(VALU_DEP_4) | instskip(NEXT) | instid1(VALU_DEP_1)
	v_mov_b32_e32 v2, v6
	v_mad_u64_u32 v[6:7], null, v18, s39, v[2:3]
	v_lshlrev_b64 v[3:4], 4, v[3:4]
	v_mov_b32_e32 v2, v17
	s_waitcnt lgkmcnt(0)
	s_sub_u32 s48, s2, s30
	s_subb_u32 s49, s3, 0
	s_add_i32 s3, s9, s4
	v_add_co_u32 v7, s2, s22, v3
	s_delay_alu instid0(VALU_DEP_1)
	v_add_co_ci_u32_e64 v22, s2, s23, v4, s2
	s_add_i32 s19, s3, s4
	v_cmp_gt_i64_e64 s3, s[38:39], v[18:19]
	v_cmp_gt_i64_e64 s2, s[38:39], v[1:2]
	v_lshlrev_b64 v[5:6], 4, v[5:6]
	v_add_co_u32 v19, s4, v7, v20
	v_cmp_gt_u64_e32 vcc_lo, s[38:39], v[1:2]
	v_add_co_ci_u32_e64 v50, s4, 0, v22, s4
	s_and_b32 s50, s3, s2
	v_lshlrev_b64 v[22:23], 4, v[1:2]
	v_add_co_u32 v2, s2, s42, v5
	s_delay_alu instid0(VALU_DEP_1) | instskip(SKIP_1) | instid1(VALU_DEP_1)
	v_add_co_ci_u32_e64 v7, s2, s43, v6, s2
	v_add_co_u32 v25, s2, s42, v3
	v_add_co_ci_u32_e64 v26, s2, s43, v4, s2
	s_delay_alu instid0(VALU_DEP_4) | instskip(NEXT) | instid1(VALU_DEP_1)
	v_add_co_u32 v2, s2, v2, v22
	v_add_co_ci_u32_e64 v7, s2, v7, v23, s2
	s_delay_alu instid0(VALU_DEP_4) | instskip(NEXT) | instid1(VALU_DEP_1)
	v_add_co_u32 v25, s2, v25, v20
	v_add_co_ci_u32_e64 v26, s2, 0, v26, s2
	v_add_co_u32 v5, s2, s16, v5
	s_delay_alu instid0(VALU_DEP_1) | instskip(SKIP_1) | instid1(VALU_DEP_1)
	v_add_co_ci_u32_e64 v6, s2, s17, v6, s2
	v_sub_co_u32 v52, s2, v16, s31
	v_sub_co_ci_u32_e64 v53, null, 0, 0, s2
	s_delay_alu instid0(VALU_DEP_4) | instskip(NEXT) | instid1(VALU_DEP_1)
	v_add_co_u32 v5, s2, v5, v22
	v_add_co_ci_u32_e64 v6, s2, v6, v23, s2
	v_add_co_u32 v3, s2, s16, v3
	s_cmp_eq_u32 s5, 0
	v_add_co_ci_u32_e64 v4, s2, s17, v4, s2
	s_cselect_b32 s9, -1, 0
	s_cmp_lg_u32 s5, 0
	v_and_b32_e32 v22, 63, v0
	s_cselect_b32 s51, -1, 0
	s_add_u32 s12, s12, s6
	v_add_co_u32 v3, s2, v3, v20
	v_lshlrev_b32_e32 v1, 4, v1
	s_addc_u32 s13, s13, s7
	s_and_b32 s53, s53, s8
	s_and_b32 s54, s3, vcc_lo
	v_add_co_ci_u32_e64 v4, s2, 0, v4, s2
	s_add_u32 s55, s24, 8
	v_cmp_eq_u32_e64 s2, 15, v24
	v_cndmask_b32_e64 v63, v2, v25, s9
	v_mov_b32_e32 v24, s48
	s_addc_u32 s56, s25, 0
	s_add_u32 s57, s40, -8
	v_mov_b32_e32 v25, s49
	v_lshlrev_b32_e32 v23, 2, v22
	v_add_co_u32 v27, s52, v22, -1
	v_lshl_or_b32 v1, v16, 8, v1
	s_addc_u32 s58, s41, -1
	s_add_u32 s16, s10, 8
	v_cmp_ne_u32_e64 s3, 0, v22
	v_cmp_lt_u32_e64 s4, 1, v22
	v_cmp_lt_u32_e64 s5, 3, v22
	;; [unrolled: 1-line block ×5, first 2 shown]
	v_cndmask_b32_e64 v62, v7, v26, s9
	v_cndmask_b32_e64 v64, v6, v4, s9
	;; [unrolled: 1-line block ×3, first 2 shown]
	s_addc_u32 s17, s11, 0
	s_movk_i32 s9, 0xfc0
	v_add_co_u32 v22, s10, s16, v20
	v_lshl_add_u32 v55, v27, 2, 0x5000
	v_dual_mov_b32 v26, 0 :: v_dual_add_nc_u32 v59, 0x4fe0, v23
	v_or_b32_e32 v54, 0x5000, v23
	v_add_nc_u32_e32 v57, 0x4ff8, v23
	v_add_nc_u32_e32 v58, 0x4ff0, v23
	v_dual_mov_b32 v3, v17 :: v_dual_add_nc_u32 v60, 0x4fc0, v23
	v_dual_mov_b32 v0, v17 :: v_dual_add_nc_u32 v61, 0x4f80, v23
	;; [unrolled: 1-line block ×3, first 2 shown]
	v_add_co_ci_u32_e64 v23, null, s17, 0, s10
	v_mov_b32_e32 v27, 0
	v_or_b32_e32 v49, 0x4000, v48
	v_and_or_b32 v68, v48, s9, 0x4000
	v_mov_b32_e32 v1, v17
	s_lshl_b64 s[22:23], s[38:39], 4
	s_lshl_b64 s[40:41], s[18:19], 4
	s_branch .LBB157_15
.LBB157_14:                             ;   in Loop: Header=BB157_15 Depth=1
	s_or_b32 exec_lo, exec_lo, s9
	s_waitcnt_vscnt null, 0x0
	s_barrier
	buffer_gl0_inv
	ds_load_b64 v[26:27], v17 offset:20736
	v_ashrrev_i32_e32 v4, 31, v6
	v_add_co_u32 v24, vcc_lo, v24, v6
	s_waitcnt lgkmcnt(0)
	s_barrier
	s_delay_alu instid0(VALU_DEP_2) | instskip(SKIP_3) | instid1(VALU_DEP_1)
	v_add_co_ci_u32_e32 v25, vcc_lo, v25, v4, vcc_lo
	buffer_gl0_inv
	v_cmp_le_i64_e32 vcc_lo, s[36:37], v[26:27]
	v_add_co_u32 v28, s9, v26, 64
	v_add_co_ci_u32_e64 v29, s9, 0, v27, s9
	s_cbranch_vccnz .LBB157_101
.LBB157_15:                             ; =>This Loop Header: Depth=1
                                        ;     Child Loop BB157_18 Depth 2
                                        ;     Child Loop BB157_24 Depth 2
                                        ;       Child Loop BB157_39 Depth 3
                                        ;         Child Loop BB157_51 Depth 4
                                        ;         Child Loop BB157_47 Depth 4
	;; [unrolled: 1-line block ×4, first 2 shown]
                                        ;     Child Loop BB157_65 Depth 2
                                        ;       Child Loop BB157_70 Depth 3
                                        ;       Child Loop BB157_72 Depth 3
                                        ;     Child Loop BB157_77 Depth 2
                                        ;     Child Loop BB157_98 Depth 2
	s_and_saveexec_b32 s9, s0
	s_cbranch_execz .LBB157_17
; %bb.16:                               ;   in Loop: Header=BB157_15 Depth=1
	ds_store_b32 v56, v17
.LBB157_17:                             ;   in Loop: Header=BB157_15 Depth=1
	s_or_b32 exec_lo, exec_lo, s9
	v_dual_mov_b32 v4, v48 :: v_dual_mov_b32 v5, v66
	s_mov_b32 s9, 0
.LBB157_18:                             ;   Parent Loop BB157_15 Depth=1
                                        ; =>  This Inner Loop Header: Depth=2
	s_delay_alu instid0(VALU_DEP_1) | instskip(SKIP_4) | instid1(SALU_CYCLE_1)
	v_add_nc_u32_e32 v5, 0x100, v5
	ds_store_b128 v4, v[0:3]
	v_add_nc_u32_e32 v4, 0x1000, v4
	v_cmp_lt_u32_e32 vcc_lo, 0x2ff, v5
	s_or_b32 s9, vcc_lo, s9
	s_and_not1_b32 exec_lo, exec_lo, s9
	s_cbranch_execnz .LBB157_18
; %bb.19:                               ;   in Loop: Header=BB157_15 Depth=1
	s_or_b32 exec_lo, exec_lo, s9
	s_and_saveexec_b32 s9, s1
	s_cbranch_execz .LBB157_21
; %bb.20:                               ;   in Loop: Header=BB157_15 Depth=1
	v_dual_mov_b32 v4, s36 :: v_dual_mov_b32 v5, s37
	ds_store_b64 v17, v[4:5] offset:20736
.LBB157_21:                             ;   in Loop: Header=BB157_15 Depth=1
	s_or_b32 exec_lo, exec_lo, s9
	v_dual_mov_b32 v30, s36 :: v_dual_mov_b32 v31, s37
	s_and_not1_b32 vcc_lo, exec_lo, s53
	s_waitcnt vmcnt(0) lgkmcnt(0)
	s_waitcnt_vscnt null, 0x0
	s_barrier
	buffer_gl0_inv
	s_cbranch_vccnz .LBB157_60
; %bb.22:                               ;   in Loop: Header=BB157_15 Depth=1
	v_cmp_ne_u64_e64 s9, 0, v[26:27]
	v_dual_mov_b32 v30, s36 :: v_dual_mov_b32 v31, s37
	s_mov_b64 s[42:43], s[44:45]
	s_branch .LBB157_24
.LBB157_23:                             ;   in Loop: Header=BB157_24 Depth=2
	s_or_b32 exec_lo, exec_lo, s11
	s_add_u32 s42, s42, 16
	s_addc_u32 s43, s43, 0
	s_delay_alu instid0(SALU_CYCLE_1) | instskip(NEXT) | instid1(VALU_DEP_1)
	v_cmp_lt_i64_e64 s10, s[42:43], s[34:35]
	s_and_b32 vcc_lo, exec_lo, s10
	s_cbranch_vccz .LBB157_60
.LBB157_24:                             ;   Parent Loop BB157_15 Depth=1
                                        ; =>  This Loop Header: Depth=2
                                        ;       Child Loop BB157_39 Depth 3
                                        ;         Child Loop BB157_51 Depth 4
                                        ;         Child Loop BB157_47 Depth 4
	;; [unrolled: 1-line block ×4, first 2 shown]
	v_add_co_u32 v4, s10, s42, v16
	s_delay_alu instid0(VALU_DEP_1) | instskip(NEXT) | instid1(VALU_DEP_1)
	v_add_co_ci_u32_e64 v5, null, s43, 0, s10
	s_waitcnt_vscnt null, 0x0
	s_barrier
	buffer_gl0_inv
	v_cmp_gt_i64_e64 s10, s[34:35], v[4:5]
	s_delay_alu instid0(VALU_DEP_1)
	s_and_saveexec_b32 s11, s10
	s_cbranch_execz .LBB157_29
; %bb.25:                               ;   in Loop: Header=BB157_24 Depth=2
	s_and_saveexec_b32 s48, s54
	s_delay_alu instid0(SALU_CYCLE_1)
	s_xor_b32 s48, exec_lo, s48
	s_cbranch_execz .LBB157_27
; %bb.26:                               ;   in Loop: Header=BB157_24 Depth=2
	v_mul_lo_u32 v32, v5, s18
	v_mul_lo_u32 v33, v4, s19
	v_mad_u64_u32 v[6:7], null, v4, s18, 0
	s_delay_alu instid0(VALU_DEP_1) | instskip(NEXT) | instid1(VALU_DEP_1)
	v_add3_u32 v7, v7, v33, v32
	v_lshlrev_b64 v[6:7], 4, v[6:7]
	s_delay_alu instid0(VALU_DEP_1) | instskip(NEXT) | instid1(VALU_DEP_2)
	v_add_co_u32 v6, vcc_lo, v19, v6
	v_add_co_ci_u32_e32 v7, vcc_lo, v50, v7, vcc_lo
	global_load_b128 v[32:35], v[6:7], off
	s_waitcnt vmcnt(0)
	ds_store_2addr_b64 v49, v[32:33], v[34:35] offset1:1
.LBB157_27:                             ;   in Loop: Header=BB157_24 Depth=2
	s_and_not1_saveexec_b32 s48, s48
	s_cbranch_execz .LBB157_29
; %bb.28:                               ;   in Loop: Header=BB157_24 Depth=2
	ds_store_b128 v49, v[0:3]
.LBB157_29:                             ;   in Loop: Header=BB157_24 Depth=2
	s_or_b32 exec_lo, exec_lo, s11
	v_mov_b32_e32 v6, 0
	v_lshlrev_b64 v[4:5], 3, v[4:5]
	v_mov_b32_e32 v7, 0
	s_waitcnt lgkmcnt(0)
	s_barrier
	buffer_gl0_inv
	s_and_saveexec_b32 s59, s10
	s_cbranch_execz .LBB157_58
; %bb.30:                               ;   in Loop: Header=BB157_24 Depth=2
	v_add_co_u32 v6, vcc_lo, s20, v4
	v_add_co_ci_u32_e32 v7, vcc_lo, s21, v5, vcc_lo
	s_and_b32 vcc_lo, exec_lo, s9
	global_load_b64 v[32:33], v[6:7], off
	s_cbranch_vccz .LBB157_32
; %bb.31:                               ;   in Loop: Header=BB157_24 Depth=2
	v_add_co_u32 v6, vcc_lo, s46, v4
	v_add_co_ci_u32_e32 v7, vcc_lo, s47, v5, vcc_lo
	s_mov_b32 s11, 0
	global_load_b64 v[6:7], v[6:7], off
	s_branch .LBB157_33
.LBB157_32:                             ;   in Loop: Header=BB157_24 Depth=2
	s_mov_b32 s11, -1
                                        ; implicit-def: $vgpr6_vgpr7
.LBB157_33:                             ;   in Loop: Header=BB157_24 Depth=2
	s_waitcnt vmcnt(0)
	v_sub_co_u32 v32, vcc_lo, v32, s28
	v_subrev_co_ci_u32_e32 v33, vcc_lo, 0, v33, vcc_lo
	s_and_not1_b32 vcc_lo, exec_lo, s11
	s_delay_alu instid0(VALU_DEP_1)
	v_lshlrev_b64 v[32:33], 3, v[32:33]
	s_cbranch_vccnz .LBB157_35
; %bb.34:                               ;   in Loop: Header=BB157_24 Depth=2
	s_delay_alu instid0(VALU_DEP_1) | instskip(NEXT) | instid1(VALU_DEP_2)
	v_add_co_u32 v6, vcc_lo, s24, v32
	v_add_co_ci_u32_e32 v7, vcc_lo, s25, v33, vcc_lo
	global_load_b64 v[6:7], v[6:7], off
	s_waitcnt vmcnt(0)
	v_sub_co_u32 v6, vcc_lo, v6, s29
	v_subrev_co_ci_u32_e32 v7, vcc_lo, 0, v7, vcc_lo
.LBB157_35:                             ;   in Loop: Header=BB157_24 Depth=2
	s_delay_alu instid0(VALU_DEP_1) | instskip(NEXT) | instid1(VALU_DEP_2)
	v_add_co_u32 v32, vcc_lo, s55, v32
	v_add_co_ci_u32_e32 v33, vcc_lo, s56, v33, vcc_lo
	s_mov_b32 s60, exec_lo
	global_load_b64 v[32:33], v[32:33], off
	s_waitcnt vmcnt(0)
	v_sub_co_u32 v32, vcc_lo, v32, s29
	v_subrev_co_ci_u32_e32 v33, vcc_lo, 0, v33, vcc_lo
	s_delay_alu instid0(VALU_DEP_1)
	v_cmpx_lt_i64_e64 v[6:7], v[32:33]
	s_cbranch_execz .LBB157_57
; %bb.36:                               ;   in Loop: Header=BB157_24 Depth=2
	v_mad_u64_u32 v[38:39], null, s22, v6, v[20:21]
	v_mul_lo_u32 v36, s22, v7
	v_mul_lo_u32 v37, s23, v6
	v_mad_u64_u32 v[34:35], null, s40, v6, v[22:23]
	v_mul_lo_u32 v40, s40, v7
	v_mul_lo_u32 v41, s41, v6
	;; [unrolled: 1-line block ×3, first 2 shown]
	s_mov_b32 s61, 0
	v_add3_u32 v39, v37, v39, v36
	v_mad_u64_u32 v[36:37], null, s38, v38, s[16:17]
	s_delay_alu instid0(VALU_DEP_4) | instskip(NEXT) | instid1(VALU_DEP_3)
	v_add3_u32 v35, v41, v35, v40
	v_mul_lo_u32 v38, s38, v39
	s_delay_alu instid0(VALU_DEP_1)
	v_add3_u32 v37, v42, v37, v38
	v_dual_mov_b32 v39, v7 :: v_dual_mov_b32 v38, v6
	s_branch .LBB157_39
.LBB157_37:                             ;   in Loop: Header=BB157_39 Depth=3
	s_or_b32 exec_lo, exec_lo, s63
	s_delay_alu instid0(SALU_CYCLE_1)
	s_or_b32 s11, s11, exec_lo
.LBB157_38:                             ;   in Loop: Header=BB157_39 Depth=3
	s_or_b32 exec_lo, exec_lo, s62
	v_add_co_u32 v38, vcc_lo, v38, 1
	v_add_co_ci_u32_e32 v39, vcc_lo, 0, v39, vcc_lo
	s_xor_b32 s48, s11, -1
	v_add_co_u32 v36, s11, v36, s40
	s_delay_alu instid0(VALU_DEP_2)
	v_cmp_ge_i64_e32 vcc_lo, v[38:39], v[32:33]
	v_add_co_ci_u32_e64 v37, s11, s41, v37, s11
	s_or_b32 s11, s48, vcc_lo
	v_add_co_u32 v34, vcc_lo, v34, s40
	v_add_co_ci_u32_e32 v35, vcc_lo, s41, v35, vcc_lo
	s_and_b32 s11, exec_lo, s11
	s_delay_alu instid0(SALU_CYCLE_1) | instskip(NEXT) | instid1(SALU_CYCLE_1)
	s_or_b32 s61, s11, s61
	s_and_not1_b32 exec_lo, exec_lo, s61
	s_cbranch_execz .LBB157_56
.LBB157_39:                             ;   Parent Loop BB157_15 Depth=1
                                        ;     Parent Loop BB157_24 Depth=2
                                        ; =>    This Loop Header: Depth=3
                                        ;         Child Loop BB157_51 Depth 4
                                        ;         Child Loop BB157_47 Depth 4
	;; [unrolled: 1-line block ×4, first 2 shown]
	s_delay_alu instid0(VALU_DEP_1) | instskip(NEXT) | instid1(VALU_DEP_1)
	v_lshlrev_b64 v[40:41], 3, v[38:39]
	v_add_co_u32 v40, vcc_lo, s26, v40
	s_delay_alu instid0(VALU_DEP_2) | instskip(SKIP_4) | instid1(VALU_DEP_1)
	v_add_co_ci_u32_e32 v41, vcc_lo, s27, v41, vcc_lo
	global_load_b64 v[40:41], v[40:41], off
	s_waitcnt vmcnt(0)
	v_sub_co_u32 v40, vcc_lo, v40, s29
	v_subrev_co_ci_u32_e32 v41, vcc_lo, 0, v41, vcc_lo
	v_cmp_lt_i64_e64 s11, v[40:41], v[26:27]
	v_cmp_ge_i64_e32 vcc_lo, v[40:41], v[28:29]
	s_delay_alu instid0(VALU_DEP_2) | instskip(NEXT) | instid1(SALU_CYCLE_1)
	s_or_b32 s48, s11, vcc_lo
                                        ; implicit-def: $sgpr11
	s_and_saveexec_b32 s49, s48
	s_delay_alu instid0(SALU_CYCLE_1)
	s_xor_b32 s48, exec_lo, s49
	s_cbranch_execz .LBB157_43
; %bb.40:                               ;   in Loop: Header=BB157_39 Depth=3
	s_mov_b32 s49, -1
	s_and_saveexec_b32 s11, vcc_lo
; %bb.41:                               ;   in Loop: Header=BB157_39 Depth=3
	v_cmp_lt_i64_e32 vcc_lo, v[40:41], v[30:31]
	v_dual_mov_b32 v6, v38 :: v_dual_mov_b32 v7, v39
	s_xor_b32 s49, exec_lo, -1
	v_dual_cndmask_b32 v31, v31, v41 :: v_dual_cndmask_b32 v30, v30, v40
; %bb.42:                               ;   in Loop: Header=BB157_39 Depth=3
	s_or_b32 exec_lo, exec_lo, s11
	s_delay_alu instid0(SALU_CYCLE_1)
	s_and_b32 s11, s49, exec_lo
                                        ; implicit-def: $vgpr40_vgpr41
.LBB157_43:                             ;   in Loop: Header=BB157_39 Depth=3
	s_and_not1_saveexec_b32 s62, s48
	s_cbranch_execz .LBB157_38
; %bb.44:                               ;   in Loop: Header=BB157_39 Depth=3
	v_sub_nc_u32_e32 v46, v40, v26
	s_delay_alu instid0(VALU_DEP_1)
	v_lshlrev_b32_e32 v40, 2, v46
	ds_store_b32 v40, v70 offset:20480
	s_and_saveexec_b32 s63, s50
	s_cbranch_execz .LBB157_37
; %bb.45:                               ;   in Loop: Header=BB157_39 Depth=3
	s_and_not1_b32 vcc_lo, exec_lo, s51
	s_cbranch_vccnz .LBB157_49
; %bb.46:                               ;   in Loop: Header=BB157_39 Depth=3
	v_dual_mov_b32 v40, 0 :: v_dual_mov_b32 v47, v67
	v_mov_b32_e32 v41, 0
	v_dual_mov_b32 v45, v37 :: v_dual_mov_b32 v44, v36
	s_mov_b64 s[48:49], s[38:39]
	s_delay_alu instid0(VALU_DEP_2)
	v_dual_mov_b32 v43, v41 :: v_dual_mov_b32 v42, v40
	.p2align	6
.LBB157_47:                             ;   Parent Loop BB157_15 Depth=1
                                        ;     Parent Loop BB157_24 Depth=2
                                        ;       Parent Loop BB157_39 Depth=3
                                        ; =>      This Inner Loop Header: Depth=4
	global_load_b128 v[71:74], v[44:45], off offset:-8
	ds_load_b128 v[75:78], v47
	v_add_co_u32 v44, vcc_lo, v44, 16
	v_add_co_ci_u32_e32 v45, vcc_lo, 0, v45, vcc_lo
	s_add_u32 s48, s48, -1
	v_add_nc_u32_e32 v47, 64, v47
	s_addc_u32 s49, s49, -1
	s_delay_alu instid0(SALU_CYCLE_1) | instskip(SKIP_3) | instid1(VALU_DEP_2)
	s_cmp_lg_u64 s[48:49], 0
	s_waitcnt vmcnt(0) lgkmcnt(0)
	v_fma_f64 v[40:41], v[75:76], v[71:72], v[40:41]
	v_fma_f64 v[42:43], v[77:78], v[71:72], v[42:43]
	v_fma_f64 v[40:41], -v[77:78], v[73:74], v[40:41]
	s_delay_alu instid0(VALU_DEP_2)
	v_fma_f64 v[42:43], v[75:76], v[73:74], v[42:43]
	s_cbranch_scc1 .LBB157_47
; %bb.48:                               ;   in Loop: Header=BB157_39 Depth=3
	s_branch .LBB157_52
.LBB157_49:                             ;   in Loop: Header=BB157_39 Depth=3
                                        ; implicit-def: $vgpr40_vgpr41
                                        ; implicit-def: $vgpr42_vgpr43
	s_cbranch_execz .LBB157_52
; %bb.50:                               ;   in Loop: Header=BB157_39 Depth=3
	v_dual_mov_b32 v40, 0 :: v_dual_mov_b32 v47, v68
	v_mov_b32_e32 v41, 0
	v_dual_mov_b32 v45, v35 :: v_dual_mov_b32 v44, v34
	s_mov_b64 s[48:49], s[38:39]
	s_delay_alu instid0(VALU_DEP_2)
	v_dual_mov_b32 v43, v41 :: v_dual_mov_b32 v42, v40
	.p2align	6
.LBB157_51:                             ;   Parent Loop BB157_15 Depth=1
                                        ;     Parent Loop BB157_24 Depth=2
                                        ;       Parent Loop BB157_39 Depth=3
                                        ; =>      This Inner Loop Header: Depth=4
	global_load_b128 v[71:74], v[44:45], off offset:-8
	ds_load_b128 v[75:78], v47
	v_add_co_u32 v44, vcc_lo, v44, s22
	s_add_u32 s48, s48, -1
	v_add_co_ci_u32_e32 v45, vcc_lo, s23, v45, vcc_lo
	v_add_nc_u32_e32 v47, 16, v47
	s_addc_u32 s49, s49, -1
	s_delay_alu instid0(SALU_CYCLE_1) | instskip(SKIP_3) | instid1(VALU_DEP_2)
	s_cmp_eq_u64 s[48:49], 0
	s_waitcnt vmcnt(0) lgkmcnt(0)
	v_fma_f64 v[40:41], v[75:76], v[71:72], v[40:41]
	v_fma_f64 v[42:43], v[77:78], v[71:72], v[42:43]
	v_fma_f64 v[40:41], -v[77:78], v[73:74], v[40:41]
	s_delay_alu instid0(VALU_DEP_2)
	v_fma_f64 v[42:43], v[75:76], v[73:74], v[42:43]
	s_cbranch_scc0 .LBB157_51
.LBB157_52:                             ;   in Loop: Header=BB157_39 Depth=3
	s_delay_alu instid0(VALU_DEP_1) | instskip(SKIP_2) | instid1(VALU_DEP_1)
	v_mul_f64 v[44:45], v[42:43], -v[12:13]
	v_lshlrev_b32_e32 v46, 4, v46
	s_mov_b32 s48, 0
	v_or3_b32 v46, v46, v51, v18
	s_delay_alu instid0(VALU_DEP_1)
	v_lshlrev_b32_e32 v71, 4, v46
	ds_load_b64 v[46:47], v71
	v_fma_f64 v[44:45], v[8:9], v[40:41], v[44:45]
.LBB157_53:                             ;   Parent Loop BB157_15 Depth=1
                                        ;     Parent Loop BB157_24 Depth=2
                                        ;       Parent Loop BB157_39 Depth=3
                                        ; =>      This Inner Loop Header: Depth=4
	s_waitcnt lgkmcnt(0)
	s_delay_alu instid0(VALU_DEP_1)
	v_add_f64 v[72:73], v[46:47], v[44:45]
	ds_cmpstore_rtn_b64 v[72:73], v71, v[72:73], v[46:47]
	s_waitcnt lgkmcnt(0)
	v_cmp_eq_u64_e32 vcc_lo, v[72:73], v[46:47]
	v_dual_mov_b32 v46, v72 :: v_dual_mov_b32 v47, v73
	s_or_b32 s48, vcc_lo, s48
	s_delay_alu instid0(SALU_CYCLE_1)
	s_and_not1_b32 exec_lo, exec_lo, s48
	s_cbranch_execnz .LBB157_53
; %bb.54:                               ;   in Loop: Header=BB157_39 Depth=3
	s_or_b32 exec_lo, exec_lo, s48
	v_mul_f64 v[42:43], v[8:9], v[42:43]
	s_mov_b32 s48, 0
	s_delay_alu instid0(VALU_DEP_1)
	v_fma_f64 v[40:41], v[12:13], v[40:41], v[42:43]
	ds_load_b64 v[42:43], v71 offset:8
.LBB157_55:                             ;   Parent Loop BB157_15 Depth=1
                                        ;     Parent Loop BB157_24 Depth=2
                                        ;       Parent Loop BB157_39 Depth=3
                                        ; =>      This Inner Loop Header: Depth=4
	s_waitcnt lgkmcnt(0)
	v_add_f64 v[44:45], v[42:43], v[40:41]
	ds_cmpstore_rtn_b64 v[44:45], v71, v[44:45], v[42:43] offset:8
	s_waitcnt lgkmcnt(0)
	v_cmp_eq_u64_e32 vcc_lo, v[44:45], v[42:43]
	v_dual_mov_b32 v42, v44 :: v_dual_mov_b32 v43, v45
	s_or_b32 s48, vcc_lo, s48
	s_delay_alu instid0(SALU_CYCLE_1)
	s_and_not1_b32 exec_lo, exec_lo, s48
	s_cbranch_execnz .LBB157_55
	s_branch .LBB157_37
.LBB157_56:                             ;   in Loop: Header=BB157_24 Depth=2
	s_or_b32 exec_lo, exec_lo, s61
.LBB157_57:                             ;   in Loop: Header=BB157_24 Depth=2
	s_delay_alu instid0(SALU_CYCLE_1)
	s_or_b32 exec_lo, exec_lo, s60
.LBB157_58:                             ;   in Loop: Header=BB157_24 Depth=2
	s_delay_alu instid0(SALU_CYCLE_1)
	s_or_b32 exec_lo, exec_lo, s59
	s_waitcnt lgkmcnt(0)
	s_barrier
	buffer_gl0_inv
	s_and_saveexec_b32 s11, s10
	s_cbranch_execz .LBB157_23
; %bb.59:                               ;   in Loop: Header=BB157_24 Depth=2
	v_add_co_u32 v4, vcc_lo, s46, v4
	v_add_co_ci_u32_e32 v5, vcc_lo, s47, v5, vcc_lo
	global_store_b64 v[4:5], v[6:7], off
	s_branch .LBB157_23
.LBB157_60:                             ;   in Loop: Header=BB157_15 Depth=1
	s_and_not1_b32 vcc_lo, exec_lo, s33
	s_cbranch_vccnz .LBB157_75
; %bb.61:                               ;   in Loop: Header=BB157_15 Depth=1
	s_load_b128 s[60:63], s[12:13], 0x0
	s_mov_b32 s42, exec_lo
	s_waitcnt lgkmcnt(0)
	v_add_co_u32 v32, vcc_lo, s60, v52
	v_add_co_ci_u32_e32 v33, vcc_lo, s61, v53, vcc_lo
	s_sub_u32 s10, s62, s31
	s_subb_u32 s11, s63, 0
	s_delay_alu instid0(VALU_DEP_1) | instid1(SALU_CYCLE_1)
	v_cmpx_gt_i64_e64 s[10:11], v[32:33]
	s_cbranch_execz .LBB157_74
; %bb.62:                               ;   in Loop: Header=BB157_15 Depth=1
	s_mov_b32 s43, 0
	s_branch .LBB157_65
.LBB157_63:                             ;   in Loop: Header=BB157_65 Depth=2
	s_or_b32 exec_lo, exec_lo, s49
	s_delay_alu instid0(SALU_CYCLE_1)
	s_or_b32 s9, s9, exec_lo
.LBB157_64:                             ;   in Loop: Header=BB157_65 Depth=2
	s_or_b32 exec_lo, exec_lo, s48
	v_add_co_u32 v32, vcc_lo, v32, 16
	v_add_co_ci_u32_e32 v33, vcc_lo, 0, v33, vcc_lo
	s_xor_b32 s9, s9, -1
	s_delay_alu instid0(VALU_DEP_1) | instskip(SKIP_1) | instid1(SALU_CYCLE_1)
	v_cmp_le_i64_e32 vcc_lo, s[10:11], v[32:33]
	s_or_b32 s9, s9, vcc_lo
	s_and_b32 s9, exec_lo, s9
	s_delay_alu instid0(SALU_CYCLE_1) | instskip(NEXT) | instid1(SALU_CYCLE_1)
	s_or_b32 s43, s9, s43
	s_and_not1_b32 exec_lo, exec_lo, s43
	s_cbranch_execz .LBB157_73
.LBB157_65:                             ;   Parent Loop BB157_15 Depth=1
                                        ; =>  This Loop Header: Depth=2
                                        ;       Child Loop BB157_70 Depth 3
                                        ;       Child Loop BB157_72 Depth 3
	v_lshlrev_b64 v[4:5], 3, v[32:33]
	s_delay_alu instid0(VALU_DEP_1) | instskip(NEXT) | instid1(VALU_DEP_2)
	v_add_co_u32 v4, vcc_lo, s14, v4
	v_add_co_ci_u32_e32 v5, vcc_lo, s15, v5, vcc_lo
	global_load_b64 v[4:5], v[4:5], off
	s_waitcnt vmcnt(0)
	v_sub_co_u32 v4, vcc_lo, v4, s31
	v_subrev_co_ci_u32_e32 v5, vcc_lo, 0, v5, vcc_lo
	s_delay_alu instid0(VALU_DEP_1)
	v_cmp_lt_i64_e32 vcc_lo, v[4:5], v[28:29]
	v_cmp_lt_i64_e64 s9, v[4:5], v[26:27]
	s_xor_b32 s48, vcc_lo, -1
	s_delay_alu instid0(VALU_DEP_1) | instid1(SALU_CYCLE_1)
	s_or_b32 s48, s9, s48
                                        ; implicit-def: $sgpr9
	s_delay_alu instid0(SALU_CYCLE_1) | instskip(NEXT) | instid1(SALU_CYCLE_1)
	s_and_saveexec_b32 s49, s48
	s_xor_b32 s48, exec_lo, s49
; %bb.66:                               ;   in Loop: Header=BB157_65 Depth=2
	v_cmp_lt_i64_e64 s9, v[4:5], v[30:31]
	s_delay_alu instid0(VALU_DEP_1) | instskip(SKIP_2) | instid1(VALU_DEP_1)
	v_cndmask_b32_e64 v4, v30, v4, s9
	v_cndmask_b32_e64 v5, v31, v5, s9
	s_and_b32 s9, vcc_lo, exec_lo
	v_dual_cndmask_b32 v30, v4, v30 :: v_dual_cndmask_b32 v31, v5, v31
                                        ; implicit-def: $vgpr4
; %bb.67:                               ;   in Loop: Header=BB157_65 Depth=2
	s_and_not1_saveexec_b32 s48, s48
	s_cbranch_execz .LBB157_64
; %bb.68:                               ;   in Loop: Header=BB157_65 Depth=2
	v_sub_nc_u32_e32 v36, v4, v26
	s_delay_alu instid0(VALU_DEP_1)
	v_lshlrev_b32_e32 v4, 2, v36
	ds_store_b32 v4, v70 offset:20480
	s_and_saveexec_b32 s49, s54
	s_cbranch_execz .LBB157_63
; %bb.69:                               ;   in Loop: Header=BB157_65 Depth=2
	v_mul_lo_u32 v6, v33, s18
	v_mul_lo_u32 v7, v32, s19
	v_mad_u64_u32 v[4:5], null, v32, s18, 0
	v_lshlrev_b32_e32 v36, 4, v36
	s_mov_b32 s59, 0
	s_delay_alu instid0(VALU_DEP_1) | instskip(NEXT) | instid1(VALU_DEP_3)
	v_or3_b32 v36, v36, v51, v18
	v_add3_u32 v5, v5, v7, v6
	s_delay_alu instid0(VALU_DEP_2) | instskip(NEXT) | instid1(VALU_DEP_2)
	v_lshlrev_b32_e32 v38, 4, v36
	v_lshlrev_b64 v[4:5], 4, v[4:5]
	ds_load_b64 v[36:37], v38
	v_add_co_u32 v4, vcc_lo, v65, v4
	v_add_co_ci_u32_e32 v5, vcc_lo, v64, v5, vcc_lo
	global_load_b128 v[4:7], v[4:5], off
	s_waitcnt vmcnt(0)
	v_mul_f64 v[34:35], v[6:7], -v[10:11]
	s_delay_alu instid0(VALU_DEP_1)
	v_fma_f64 v[34:35], v[14:15], v[4:5], v[34:35]
.LBB157_70:                             ;   Parent Loop BB157_15 Depth=1
                                        ;     Parent Loop BB157_65 Depth=2
                                        ; =>    This Inner Loop Header: Depth=3
	s_waitcnt lgkmcnt(0)
	s_delay_alu instid0(VALU_DEP_1)
	v_add_f64 v[39:40], v[36:37], v[34:35]
	ds_cmpstore_rtn_b64 v[39:40], v38, v[39:40], v[36:37]
	s_waitcnt lgkmcnt(0)
	v_cmp_eq_u64_e32 vcc_lo, v[39:40], v[36:37]
	v_dual_mov_b32 v36, v39 :: v_dual_mov_b32 v37, v40
	s_or_b32 s59, vcc_lo, s59
	s_delay_alu instid0(SALU_CYCLE_1)
	s_and_not1_b32 exec_lo, exec_lo, s59
	s_cbranch_execnz .LBB157_70
; %bb.71:                               ;   in Loop: Header=BB157_65 Depth=2
	s_or_b32 exec_lo, exec_lo, s59
	v_mul_f64 v[6:7], v[14:15], v[6:7]
	s_mov_b32 s59, 0
	s_delay_alu instid0(VALU_DEP_1)
	v_fma_f64 v[4:5], v[10:11], v[4:5], v[6:7]
	ds_load_b64 v[6:7], v38 offset:8
.LBB157_72:                             ;   Parent Loop BB157_15 Depth=1
                                        ;     Parent Loop BB157_65 Depth=2
                                        ; =>    This Inner Loop Header: Depth=3
	s_waitcnt lgkmcnt(0)
	v_add_f64 v[34:35], v[6:7], v[4:5]
	ds_cmpstore_rtn_b64 v[34:35], v38, v[34:35], v[6:7] offset:8
	s_waitcnt lgkmcnt(0)
	v_cmp_eq_u64_e32 vcc_lo, v[34:35], v[6:7]
	v_dual_mov_b32 v6, v34 :: v_dual_mov_b32 v7, v35
	s_or_b32 s59, vcc_lo, s59
	s_delay_alu instid0(SALU_CYCLE_1)
	s_and_not1_b32 exec_lo, exec_lo, s59
	s_cbranch_execnz .LBB157_72
	s_branch .LBB157_63
.LBB157_73:                             ;   in Loop: Header=BB157_15 Depth=1
	s_or_b32 exec_lo, exec_lo, s43
.LBB157_74:                             ;   in Loop: Header=BB157_15 Depth=1
	s_delay_alu instid0(SALU_CYCLE_1)
	s_or_b32 exec_lo, exec_lo, s42
.LBB157_75:                             ;   in Loop: Header=BB157_15 Depth=1
	s_and_saveexec_b32 s9, s2
	s_cbranch_execz .LBB157_80
; %bb.76:                               ;   in Loop: Header=BB157_15 Depth=1
	s_mov_b32 s42, exec_lo
	s_mov_b64 s[10:11], -1
.LBB157_77:                             ;   Parent Loop BB157_15 Depth=1
                                        ; =>  This Inner Loop Header: Depth=2
	s_ctz_i32_b32 s43, s42
	s_delay_alu instid0(SALU_CYCLE_1) | instskip(SKIP_1) | instid1(VALU_DEP_1)
	v_readlane_b32 s49, v31, s43
	v_readlane_b32 s48, v30, s43
	v_cmp_lt_u64_e64 s59, s[10:11], s[48:49]
	s_delay_alu instid0(VALU_DEP_1) | instskip(SKIP_3) | instid1(SALU_CYCLE_1)
	s_and_b32 s59, s59, exec_lo
	s_cselect_b32 s11, s11, s49
	s_cselect_b32 s10, s10, s48
	s_lshl_b32 s43, 1, s43
	s_and_not1_b32 s42, s42, s43
	s_delay_alu instid0(SALU_CYCLE_1)
	s_cmp_lg_u32 s42, 0
	s_cbranch_scc1 .LBB157_77
; %bb.78:                               ;   in Loop: Header=BB157_15 Depth=1
	v_mbcnt_lo_u32_b32 v4, exec_lo, 0
	s_mov_b32 s42, exec_lo
	s_delay_alu instid0(VALU_DEP_1)
	v_cmpx_eq_u32_e32 0, v4
	s_xor_b32 s42, exec_lo, s42
	s_cbranch_execz .LBB157_80
; %bb.79:                               ;   in Loop: Header=BB157_15 Depth=1
	v_dual_mov_b32 v4, s10 :: v_dual_mov_b32 v5, s11
	ds_min_u64 v17, v[4:5] offset:20736
.LBB157_80:                             ;   in Loop: Header=BB157_15 Depth=1
	s_or_b32 exec_lo, exec_lo, s9
	s_waitcnt lgkmcnt(0)
	s_waitcnt_vscnt null, 0x0
	s_barrier
	buffer_gl0_inv
	ds_load_b32 v4, v54
	s_waitcnt lgkmcnt(0)
	s_barrier
	buffer_gl0_inv
	s_and_saveexec_b32 s9, s3
	s_cbranch_execz .LBB157_82
; %bb.81:                               ;   in Loop: Header=BB157_15 Depth=1
	ds_load_b32 v5, v55
	s_waitcnt lgkmcnt(0)
	v_add_nc_u32_e32 v4, v5, v4
.LBB157_82:                             ;   in Loop: Header=BB157_15 Depth=1
	s_or_b32 exec_lo, exec_lo, s9
	s_barrier
	buffer_gl0_inv
	ds_store_b32 v54, v4
	s_waitcnt lgkmcnt(0)
	s_barrier
	buffer_gl0_inv
	s_and_saveexec_b32 s9, s4
	s_cbranch_execz .LBB157_84
; %bb.83:                               ;   in Loop: Header=BB157_15 Depth=1
	ds_load_b32 v5, v57
	s_waitcnt lgkmcnt(0)
	v_add_nc_u32_e32 v4, v5, v4
.LBB157_84:                             ;   in Loop: Header=BB157_15 Depth=1
	s_or_b32 exec_lo, exec_lo, s9
	s_barrier
	buffer_gl0_inv
	ds_store_b32 v54, v4
	;; [unrolled: 14-line block ×6, first 2 shown]
	s_waitcnt lgkmcnt(0)
	s_barrier
	buffer_gl0_inv
	ds_load_b32 v6, v17 offset:20732
	v_mov_b32_e32 v5, 0
	s_and_saveexec_b32 s9, s52
	s_cbranch_execz .LBB157_94
; %bb.93:                               ;   in Loop: Header=BB157_15 Depth=1
	ds_load_b32 v5, v55
.LBB157_94:                             ;   in Loop: Header=BB157_15 Depth=1
	s_or_b32 exec_lo, exec_lo, s9
	s_waitcnt lgkmcnt(0)
	v_cmp_eq_u32_e32 vcc_lo, v4, v5
	s_barrier
	buffer_gl0_inv
	s_and_b32 s10, s52, vcc_lo
	s_delay_alu instid0(SALU_CYCLE_1)
	s_and_saveexec_b32 s9, s10
	s_cbranch_execz .LBB157_96
; %bb.95:                               ;   in Loop: Header=BB157_15 Depth=1
	ds_store_b32 v54, v17
.LBB157_96:                             ;   in Loop: Header=BB157_15 Depth=1
	s_or_b32 exec_lo, exec_lo, s9
	v_add_co_u32 v7, vcc_lo, v24, -1
	v_add_co_ci_u32_e32 v28, vcc_lo, -1, v25, vcc_lo
	v_add_co_u32 v26, vcc_lo, s30, v26
	v_add_co_ci_u32_e32 v27, vcc_lo, 0, v27, vcc_lo
	v_dual_mov_b32 v29, v69 :: v_dual_mov_b32 v30, v48
	v_dual_mov_b32 v4, v16 :: v_dual_mov_b32 v5, v17
	s_mov_b32 s9, 0
	s_waitcnt lgkmcnt(0)
	s_barrier
	buffer_gl0_inv
	s_branch .LBB157_98
.LBB157_97:                             ;   in Loop: Header=BB157_98 Depth=2
	s_or_b32 exec_lo, exec_lo, s10
	v_add_co_u32 v4, vcc_lo, v4, 16
	v_add_co_ci_u32_e32 v5, vcc_lo, 0, v5, vcc_lo
	v_add_nc_u32_e32 v30, 0x1000, v30
	s_delay_alu instid0(VALU_DEP_3) | instskip(SKIP_1) | instid1(VALU_DEP_2)
	v_add_nc_u32_e32 v31, -16, v4
	v_add_nc_u32_e32 v29, 64, v29
	v_cmp_lt_u32_e32 vcc_lo, 47, v31
	s_or_b32 s9, vcc_lo, s9
	s_delay_alu instid0(SALU_CYCLE_1)
	s_and_not1_b32 exec_lo, exec_lo, s9
	s_cbranch_execz .LBB157_14
.LBB157_98:                             ;   Parent Loop BB157_15 Depth=1
                                        ; =>  This Inner Loop Header: Depth=2
	ds_load_b32 v31, v29
	s_mov_b32 s10, exec_lo
	s_waitcnt lgkmcnt(0)
	v_cmpx_ne_u32_e32 0, v31
	s_cbranch_execz .LBB157_97
; %bb.99:                               ;   in Loop: Header=BB157_98 Depth=2
	v_ashrrev_i32_e32 v32, 31, v31
	v_add_co_u32 v33, vcc_lo, v24, v31
	s_delay_alu instid0(VALU_DEP_2) | instskip(SKIP_2) | instid1(VALU_DEP_3)
	v_add_co_ci_u32_e32 v34, vcc_lo, v25, v32, vcc_lo
	v_add_co_u32 v35, vcc_lo, v26, v4
	v_add_co_ci_u32_e32 v36, vcc_lo, v27, v5, vcc_lo
	v_lshlrev_b64 v[33:34], 3, v[33:34]
	s_delay_alu instid0(VALU_DEP_1) | instskip(NEXT) | instid1(VALU_DEP_2)
	v_add_co_u32 v33, vcc_lo, s57, v33
	v_add_co_ci_u32_e32 v34, vcc_lo, s58, v34, vcc_lo
	global_store_b64 v[33:34], v[35:36], off
	s_and_b32 exec_lo, exec_lo, s54
	s_cbranch_execz .LBB157_97
; %bb.100:                              ;   in Loop: Header=BB157_98 Depth=2
	v_add_co_u32 v31, vcc_lo, v7, v31
	v_add_co_ci_u32_e32 v32, vcc_lo, v28, v32, vcc_lo
	s_delay_alu instid0(VALU_DEP_2) | instskip(SKIP_1) | instid1(VALU_DEP_3)
	v_mul_lo_u32 v38, v31, s19
	v_mad_u64_u32 v[35:36], null, v31, s18, 0
	v_mul_lo_u32 v37, v32, s18
	ds_load_2addr_b64 v[31:34], v30 offset1:1
	v_add3_u32 v36, v36, v38, v37
	s_delay_alu instid0(VALU_DEP_1) | instskip(NEXT) | instid1(VALU_DEP_1)
	v_lshlrev_b64 v[35:36], 4, v[35:36]
	v_add_co_u32 v35, vcc_lo, v63, v35
	s_delay_alu instid0(VALU_DEP_2)
	v_add_co_ci_u32_e32 v36, vcc_lo, v62, v36, vcc_lo
	s_waitcnt lgkmcnt(0)
	global_store_b128 v[35:36], v[31:34], off
	s_branch .LBB157_97
.LBB157_101:
	s_endpgm
	.section	.rodata,"a",@progbits
	.p2align	6, 0x0
	.amdhsa_kernel _ZN9rocsparseL38bsrgemm_block_per_row_atomic_multipassILj256ELj64ELj4Ell21rocsparse_complex_numIdEEEv20rocsparse_direction_T3_S4_PKS4_S6_NS_24const_host_device_scalarIT4_EEPKT2_S6_PKS8_SC_S6_SE_S9_SC_S6_SE_SC_PS4_PS8_PSA_21rocsparse_index_base_SI_SI_SI_bbb
		.amdhsa_group_segment_fixed_size 20744
		.amdhsa_private_segment_fixed_size 24
		.amdhsa_kernarg_size 196
		.amdhsa_user_sgpr_count 15
		.amdhsa_user_sgpr_dispatch_ptr 0
		.amdhsa_user_sgpr_queue_ptr 0
		.amdhsa_user_sgpr_kernarg_segment_ptr 1
		.amdhsa_user_sgpr_dispatch_id 0
		.amdhsa_user_sgpr_private_segment_size 0
		.amdhsa_wavefront_size32 1
		.amdhsa_uses_dynamic_stack 0
		.amdhsa_enable_private_segment 1
		.amdhsa_system_sgpr_workgroup_id_x 1
		.amdhsa_system_sgpr_workgroup_id_y 0
		.amdhsa_system_sgpr_workgroup_id_z 0
		.amdhsa_system_sgpr_workgroup_info 0
		.amdhsa_system_vgpr_workitem_id 0
		.amdhsa_next_free_vgpr 79
		.amdhsa_next_free_sgpr 64
		.amdhsa_reserve_vcc 1
		.amdhsa_float_round_mode_32 0
		.amdhsa_float_round_mode_16_64 0
		.amdhsa_float_denorm_mode_32 3
		.amdhsa_float_denorm_mode_16_64 3
		.amdhsa_dx10_clamp 1
		.amdhsa_ieee_mode 1
		.amdhsa_fp16_overflow 0
		.amdhsa_workgroup_processor_mode 1
		.amdhsa_memory_ordered 1
		.amdhsa_forward_progress 0
		.amdhsa_shared_vgpr_count 0
		.amdhsa_exception_fp_ieee_invalid_op 0
		.amdhsa_exception_fp_denorm_src 0
		.amdhsa_exception_fp_ieee_div_zero 0
		.amdhsa_exception_fp_ieee_overflow 0
		.amdhsa_exception_fp_ieee_underflow 0
		.amdhsa_exception_fp_ieee_inexact 0
		.amdhsa_exception_int_div_zero 0
	.end_amdhsa_kernel
	.section	.text._ZN9rocsparseL38bsrgemm_block_per_row_atomic_multipassILj256ELj64ELj4Ell21rocsparse_complex_numIdEEEv20rocsparse_direction_T3_S4_PKS4_S6_NS_24const_host_device_scalarIT4_EEPKT2_S6_PKS8_SC_S6_SE_S9_SC_S6_SE_SC_PS4_PS8_PSA_21rocsparse_index_base_SI_SI_SI_bbb,"axG",@progbits,_ZN9rocsparseL38bsrgemm_block_per_row_atomic_multipassILj256ELj64ELj4Ell21rocsparse_complex_numIdEEEv20rocsparse_direction_T3_S4_PKS4_S6_NS_24const_host_device_scalarIT4_EEPKT2_S6_PKS8_SC_S6_SE_S9_SC_S6_SE_SC_PS4_PS8_PSA_21rocsparse_index_base_SI_SI_SI_bbb,comdat
.Lfunc_end157:
	.size	_ZN9rocsparseL38bsrgemm_block_per_row_atomic_multipassILj256ELj64ELj4Ell21rocsparse_complex_numIdEEEv20rocsparse_direction_T3_S4_PKS4_S6_NS_24const_host_device_scalarIT4_EEPKT2_S6_PKS8_SC_S6_SE_S9_SC_S6_SE_SC_PS4_PS8_PSA_21rocsparse_index_base_SI_SI_SI_bbb, .Lfunc_end157-_ZN9rocsparseL38bsrgemm_block_per_row_atomic_multipassILj256ELj64ELj4Ell21rocsparse_complex_numIdEEEv20rocsparse_direction_T3_S4_PKS4_S6_NS_24const_host_device_scalarIT4_EEPKT2_S6_PKS8_SC_S6_SE_S9_SC_S6_SE_SC_PS4_PS8_PSA_21rocsparse_index_base_SI_SI_SI_bbb
                                        ; -- End function
	.section	.AMDGPU.csdata,"",@progbits
; Kernel info:
; codeLenInByte = 4600
; NumSgprs: 66
; NumVgprs: 79
; ScratchSize: 24
; MemoryBound: 0
; FloatMode: 240
; IeeeMode: 1
; LDSByteSize: 20744 bytes/workgroup (compile time only)
; SGPRBlocks: 8
; VGPRBlocks: 9
; NumSGPRsForWavesPerEU: 66
; NumVGPRsForWavesPerEU: 79
; Occupancy: 12
; WaveLimiterHint : 1
; COMPUTE_PGM_RSRC2:SCRATCH_EN: 1
; COMPUTE_PGM_RSRC2:USER_SGPR: 15
; COMPUTE_PGM_RSRC2:TRAP_HANDLER: 0
; COMPUTE_PGM_RSRC2:TGID_X_EN: 1
; COMPUTE_PGM_RSRC2:TGID_Y_EN: 0
; COMPUTE_PGM_RSRC2:TGID_Z_EN: 0
; COMPUTE_PGM_RSRC2:TIDIG_COMP_CNT: 0
	.section	.text._ZN9rocsparseL38bsrgemm_block_per_row_atomic_multipassILj256ELj128ELj4Ell21rocsparse_complex_numIdEEEv20rocsparse_direction_T3_S4_PKS4_S6_NS_24const_host_device_scalarIT4_EEPKT2_S6_PKS8_SC_S6_SE_S9_SC_S6_SE_SC_PS4_PS8_PSA_21rocsparse_index_base_SI_SI_SI_bbb,"axG",@progbits,_ZN9rocsparseL38bsrgemm_block_per_row_atomic_multipassILj256ELj128ELj4Ell21rocsparse_complex_numIdEEEv20rocsparse_direction_T3_S4_PKS4_S6_NS_24const_host_device_scalarIT4_EEPKT2_S6_PKS8_SC_S6_SE_S9_SC_S6_SE_SC_PS4_PS8_PSA_21rocsparse_index_base_SI_SI_SI_bbb,comdat
	.globl	_ZN9rocsparseL38bsrgemm_block_per_row_atomic_multipassILj256ELj128ELj4Ell21rocsparse_complex_numIdEEEv20rocsparse_direction_T3_S4_PKS4_S6_NS_24const_host_device_scalarIT4_EEPKT2_S6_PKS8_SC_S6_SE_S9_SC_S6_SE_SC_PS4_PS8_PSA_21rocsparse_index_base_SI_SI_SI_bbb ; -- Begin function _ZN9rocsparseL38bsrgemm_block_per_row_atomic_multipassILj256ELj128ELj4Ell21rocsparse_complex_numIdEEEv20rocsparse_direction_T3_S4_PKS4_S6_NS_24const_host_device_scalarIT4_EEPKT2_S6_PKS8_SC_S6_SE_S9_SC_S6_SE_SC_PS4_PS8_PSA_21rocsparse_index_base_SI_SI_SI_bbb
	.p2align	8
	.type	_ZN9rocsparseL38bsrgemm_block_per_row_atomic_multipassILj256ELj128ELj4Ell21rocsparse_complex_numIdEEEv20rocsparse_direction_T3_S4_PKS4_S6_NS_24const_host_device_scalarIT4_EEPKT2_S6_PKS8_SC_S6_SE_S9_SC_S6_SE_SC_PS4_PS8_PSA_21rocsparse_index_base_SI_SI_SI_bbb,@function
_ZN9rocsparseL38bsrgemm_block_per_row_atomic_multipassILj256ELj128ELj4Ell21rocsparse_complex_numIdEEEv20rocsparse_direction_T3_S4_PKS4_S6_NS_24const_host_device_scalarIT4_EEPKT2_S6_PKS8_SC_S6_SE_S9_SC_S6_SE_SC_PS4_PS8_PSA_21rocsparse_index_base_SI_SI_SI_bbb: ; @_ZN9rocsparseL38bsrgemm_block_per_row_atomic_multipassILj256ELj128ELj4Ell21rocsparse_complex_numIdEEEv20rocsparse_direction_T3_S4_PKS4_S6_NS_24const_host_device_scalarIT4_EEPKT2_S6_PKS8_SC_S6_SE_S9_SC_S6_SE_SC_PS4_PS8_PSA_21rocsparse_index_base_SI_SI_SI_bbb
; %bb.0:
	s_mov_b32 s42, s15
	s_load_b32 s12, s[2:3], 0xc0
	s_load_b64 s[14:15], s[0:1], 0x4
	v_dual_mov_b32 v12, 0 :: v_dual_and_b32 v1, 0x3ff, v0
	s_clause 0x1
	s_load_b128 s[8:11], s[2:3], 0x28
	s_load_b128 s[4:7], s[2:3], 0x68
	v_bfe_u32 v3, v0, 10, 10
	s_load_b128 s[28:31], s[2:3], 0xb0
	v_bfe_u32 v0, v0, 20, 10
	v_mov_b32_e32 v13, 0
	s_waitcnt lgkmcnt(0)
	s_bitcmp1_b32 s12, 0
	s_cselect_b32 s41, -1, 0
	s_bitcmp1_b32 s12, 16
	v_mov_b32_e32 v4, s4
	s_cselect_b32 s0, -1, 0
	s_lshr_b32 s1, s14, 16
	s_delay_alu instid0(SALU_CYCLE_1) | instskip(NEXT) | instid1(SALU_CYCLE_1)
	s_mul_i32 s1, s1, s15
	v_mul_lo_u32 v2, s1, v1
	s_xor_b32 s1, s0, -1
	s_bitcmp0_b32 s12, 0
	v_cndmask_b32_e64 v6, 0, 1, s1
	s_delay_alu instid0(VALU_DEP_2) | instskip(NEXT) | instid1(VALU_DEP_2)
	v_mad_u32_u24 v2, v3, s15, v2
	v_cmp_ne_u32_e32 vcc_lo, 1, v6
	s_delay_alu instid0(VALU_DEP_2) | instskip(SKIP_3) | instid1(VALU_DEP_4)
	v_add_lshl_u32 v0, v2, v0, 3
	v_dual_mov_b32 v2, s8 :: v_dual_mov_b32 v3, s9
	v_mov_b32_e32 v5, s5
	v_dual_mov_b32 v15, v13 :: v_dual_mov_b32 v14, v12
	v_dual_mov_b32 v17, v13 :: v_dual_add_nc_u32 v6, 8, v0
	v_mov_b32_e32 v16, v12
	ds_store_2addr_stride64_b64 v6, v[4:5], v[2:3] offset0:73 offset1:77
	s_cbranch_scc1 .LBB158_3
; %bb.1:
	s_mov_b64 s[14:15], src_shared_base
	s_and_b32 s13, s0, exec_lo
	s_cselect_b32 s13, s15, s9
	s_delay_alu instid0(SALU_CYCLE_1) | instskip(SKIP_2) | instid1(VALU_DEP_2)
	v_dual_mov_b32 v3, s13 :: v_dual_add_nc_u32 v2, 0x9a08, v0
	v_dual_mov_b32 v17, s11 :: v_dual_mov_b32 v16, s10
	s_and_b32 vcc_lo, exec_lo, vcc_lo
	v_cndmask_b32_e64 v2, s8, v2, s0
	flat_load_b64 v[14:15], v[2:3]
	s_cbranch_vccnz .LBB158_3
; %bb.2:
	v_dual_mov_b32 v2, s8 :: v_dual_mov_b32 v3, s9
	flat_load_b64 v[16:17], v[2:3] offset:8
.LBB158_3:
	s_load_b64 s[8:9], s[2:3], 0x20
	s_bitcmp1_b32 s12, 8
	v_dual_mov_b32 v19, v13 :: v_dual_mov_b32 v18, v12
	s_cselect_b32 s33, -1, 0
	s_bfe_u32 s10, s12, 0x10008
	s_delay_alu instid0(SALU_CYCLE_1)
	s_cmp_eq_u32 s10, 0
	s_cbranch_scc1 .LBB158_6
; %bb.4:
	s_mov_b64 s[10:11], src_shared_base
	s_and_b32 s10, s0, exec_lo
	s_cselect_b32 s10, s11, s5
	s_delay_alu instid0(SALU_CYCLE_1) | instskip(SKIP_2) | instid1(VALU_DEP_2)
	v_dual_mov_b32 v3, s10 :: v_dual_add_nc_u32 v0, 0x9208, v0
	v_dual_mov_b32 v13, s7 :: v_dual_mov_b32 v12, s6
	s_and_not1_b32 vcc_lo, exec_lo, s1
	v_cndmask_b32_e64 v2, s4, v0, s0
	flat_load_b64 v[18:19], v[2:3]
	s_cbranch_vccnz .LBB158_6
; %bb.5:
	v_dual_mov_b32 v2, s4 :: v_dual_mov_b32 v3, s5
	flat_load_b64 v[12:13], v[2:3] offset:8
.LBB158_6:
	s_load_b64 s[0:1], s[2:3], 0x38
	s_waitcnt lgkmcnt(0)
	s_cmp_eq_u64 s[8:9], 0
	s_mov_b32 s43, 0
	s_cbranch_scc1 .LBB158_8
; %bb.7:
	s_load_b64 s[4:5], s[2:3], 0x18
	s_waitcnt lgkmcnt(0)
	s_load_b64 s[4:5], s[4:5], 0x0
	s_waitcnt lgkmcnt(0)
	s_lshl_b64 s[4:5], s[4:5], 3
	s_delay_alu instid0(SALU_CYCLE_1) | instskip(SKIP_2) | instid1(SALU_CYCLE_1)
	s_add_u32 s6, s8, s4
	s_addc_u32 s7, s9, s5
	s_lshl_b64 s[4:5], s[42:43], 3
	s_add_u32 s4, s6, s4
	s_addc_u32 s5, s7, s5
	s_load_b64 s[42:43], s[4:5], 0x0
.LBB158_8:
	s_mov_b64 s[34:35], 0
	s_and_not1_b32 vcc_lo, exec_lo, s41
	s_mov_b64 s[48:49], 0
	s_cbranch_vccz .LBB158_11
; %bb.9:
	s_and_not1_b32 vcc_lo, exec_lo, s41
	s_cbranch_vccz .LBB158_12
.LBB158_10:
	s_load_b128 s[36:39], s[2:3], 0x8
	s_waitcnt lgkmcnt(0)
	v_cmp_lt_i64_e64 s0, s[36:37], 1
	s_delay_alu instid0(VALU_DEP_1)
	s_and_b32 vcc_lo, exec_lo, s0
	s_cbranch_vccz .LBB158_13
	s_branch .LBB158_103
.LBB158_11:
	s_waitcnt lgkmcnt(0)
	s_lshl_b64 s[4:5], s[42:43], 3
	s_delay_alu instid0(SALU_CYCLE_1)
	s_add_u32 s4, s0, s4
	s_addc_u32 s5, s1, s5
	s_load_b64 s[4:5], s[4:5], 0x0
	s_waitcnt lgkmcnt(0)
	s_sub_u32 s48, s4, s28
	s_subb_u32 s49, s5, 0
	s_and_not1_b32 vcc_lo, exec_lo, s41
	s_cbranch_vccnz .LBB158_10
.LBB158_12:
	s_waitcnt lgkmcnt(0)
	s_lshl_b64 s[4:5], s[42:43], 3
	s_delay_alu instid0(SALU_CYCLE_1)
	s_add_u32 s0, s0, s4
	s_addc_u32 s1, s1, s5
	s_load_b64 s[0:1], s[0:1], 0x8
	s_waitcnt lgkmcnt(0)
	s_sub_u32 s34, s0, s28
	s_subb_u32 s35, s1, 0
	s_load_b128 s[36:39], s[2:3], 0x8
	s_waitcnt lgkmcnt(0)
	v_cmp_lt_i64_e64 s0, s[36:37], 1
	s_delay_alu instid0(VALU_DEP_1)
	s_and_b32 vcc_lo, exec_lo, s0
	s_cbranch_vccnz .LBB158_103
.LBB158_13:
	v_bfe_u32 v2, v1, 2, 2
	s_clause 0x4
	s_load_b256 s[12:19], s[2:3], 0x78
	s_load_b64 s[50:51], s[2:3], 0xa8
	s_load_b128 s[44:47], s[2:3], 0x98
	s_load_b64 s[52:53], s[2:3], 0x60
	s_load_b256 s[20:27], s[2:3], 0x40
	s_lshl_b64 s[6:7], s[42:43], 3
	s_load_b32 s5, s[2:3], 0x0
	s_mul_i32 s4, s38, s39
	v_mad_u64_u32 v[4:5], null, v2, s38, 0
	v_and_b32_e32 v10, 15, v1
	s_mul_hi_u32 s9, s38, s38
	v_lshrrev_b32_e32 v20, 4, v1
	v_cmp_lt_i64_e64 s8, s[48:49], s[34:35]
	v_cmp_gt_u32_e64 s0, 0x80, v1
	v_cmp_eq_u32_e64 s1, 0, v1
	v_mov_b32_e32 v3, v5
	v_dual_mov_b32 v30, 0 :: v_dual_and_b32 v53, 12, v1
	v_lshl_or_b32 v58, v1, 2, 0x9000
	s_waitcnt lgkmcnt(0)
	s_add_u32 s2, s18, s6
	v_mad_u64_u32 v[8:9], null, v2, s39, v[3:4]
	s_addc_u32 s3, s19, s7
	v_mov_b32_e32 v0, 0
	s_load_b64 s[2:3], s[2:3], 0x0
	s_mov_b32 s40, 0
	s_movk_i32 s11, 0xfc0
	s_mov_b32 s42, s40
	s_delay_alu instid0(VALU_DEP_2) | instskip(SKIP_2) | instid1(VALU_DEP_3)
	v_dual_mov_b32 v5, v8 :: v_dual_and_b32 v22, 3, v1
	v_dual_mov_b32 v21, v0 :: v_dual_lshlrev_b32 v50, 4, v1
	v_mov_b32_e32 v23, v0
	v_lshlrev_b64 v[4:5], 4, v[4:5]
	s_delay_alu instid0(VALU_DEP_4) | instskip(SKIP_4) | instid1(VALU_DEP_3)
	v_mad_u64_u32 v[6:7], null, v22, s38, 0
	v_dual_mov_b32 v3, v0 :: v_dual_lshlrev_b32 v24, 4, v22
	s_mov_b32 s43, s40
	v_or_b32_e32 v51, 0x8000, v50
	v_and_or_b32 v70, v50, s11, 0x8000
	v_cmp_gt_u64_e32 vcc_lo, s[38:39], v[2:3]
	v_mad_u64_u32 v[8:9], null, v22, s39, v[7:8]
	s_waitcnt lgkmcnt(0)
	s_sub_u32 s54, s2, s30
	s_subb_u32 s55, s3, 0
	s_add_i32 s2, s9, s4
	v_cmp_gt_i64_e64 s3, s[38:39], v[22:23]
	s_add_i32 s19, s2, s4
	v_add_co_u32 v9, s2, s22, v4
	v_mov_b32_e32 v7, v8
	v_add_co_ci_u32_e64 v11, s2, s23, v5, s2
	v_cmp_gt_i64_e64 s2, s[38:39], v[2:3]
	s_delay_alu instid0(VALU_DEP_4) | instskip(NEXT) | instid1(VALU_DEP_4)
	v_add_co_u32 v23, s4, v9, v24
	v_lshlrev_b64 v[6:7], 4, v[6:7]
	v_lshlrev_b64 v[8:9], 4, v[2:3]
	v_add_co_ci_u32_e64 v52, s4, 0, v11, s4
	s_and_b32 s56, s3, s2
	s_cmp_eq_u32 s5, 0
	s_delay_alu instid0(VALU_DEP_3) | instskip(NEXT) | instid1(VALU_DEP_1)
	v_add_co_u32 v3, s2, s46, v6
	v_add_co_ci_u32_e64 v11, s2, s47, v7, s2
	v_add_co_u32 v26, s2, s46, v4
	s_delay_alu instid0(VALU_DEP_1) | instskip(NEXT) | instid1(VALU_DEP_4)
	v_add_co_ci_u32_e64 v27, s2, s47, v5, s2
	v_add_co_u32 v3, s2, v3, v8
	s_delay_alu instid0(VALU_DEP_1) | instskip(NEXT) | instid1(VALU_DEP_4)
	v_add_co_ci_u32_e64 v11, s2, v11, v9, s2
	v_add_co_u32 v26, s2, v26, v24
	s_delay_alu instid0(VALU_DEP_1) | instskip(SKIP_1) | instid1(VALU_DEP_1)
	v_add_co_ci_u32_e64 v27, s2, 0, v27, s2
	v_add_co_u32 v6, s2, s16, v6
	v_add_co_ci_u32_e64 v7, s2, s17, v7, s2
	v_sub_co_u32 v54, s2, v20, s31
	s_delay_alu instid0(VALU_DEP_1) | instskip(NEXT) | instid1(VALU_DEP_4)
	v_sub_co_ci_u32_e64 v55, null, 0, 0, s2
	v_add_co_u32 v6, s2, v6, v8
	v_and_b32_e32 v8, 0x7f, v1
	v_add_co_ci_u32_e64 v7, s2, v7, v9, s2
	v_add_co_u32 v4, s2, s16, v4
	s_delay_alu instid0(VALU_DEP_1) | instskip(SKIP_2) | instid1(VALU_DEP_2)
	v_add_co_ci_u32_e64 v5, s2, s17, v5, s2
	s_cselect_b32 s10, -1, 0
	s_cmp_lg_u32 s5, 0
	v_add_co_u32 v4, s2, v4, v24
	v_dual_mov_b32 v32, 0x80 :: v_dual_lshlrev_b32 v9, 2, v8
	v_add_co_u32 v28, s58, v8, -1
	s_cselect_b32 s57, -1, 0
	s_add_u32 s22, s12, s6
	v_add_co_ci_u32_e64 v5, s2, 0, v5, s2
	v_or_b32_e32 v1, 0x400, v1
	v_lshlrev_b32_e32 v2, 4, v2
	s_addc_u32 s23, s13, s7
	s_and_b32 s59, s41, s8
	s_and_b32 s60, s3, vcc_lo
	s_add_u32 s61, s24, 8
	s_addc_u32 s62, s25, 0
	v_lshl_add_u32 v57, v28, 2, 0x9000
	v_dual_mov_b32 v28, s54 :: v_dual_add_nc_u32 v59, 0x8ff8, v9
	s_add_u32 s63, s44, -8
	v_cndmask_b32_e64 v65, v11, v27, s10
	v_cndmask_b32_e64 v66, v3, v26, s10
	v_cndmask_b32_e64 v67, v7, v5, s10
	v_cndmask_b32_e64 v68, v6, v4, s10
	v_cmp_gt_u32_e64 s10, 0x700, v1
	s_addc_u32 s64, s45, -1
	v_mov_b32_e32 v29, s55
	v_lshl_or_b32 v1, v20, 8, v2
	s_add_u32 s16, s52, 8
	s_addc_u32 s17, s53, 0
	v_add_co_u32 v26, s12, s16, v24
	s_mov_b32 s41, s40
	v_dual_mov_b32 v4, s40 :: v_dual_add_nc_u32 v61, 0x8fe0, v9
	v_dual_mov_b32 v25, v0 :: v_dual_add_nc_u32 v60, 0x8ff0, v9
	v_cmp_eq_u32_e64 s2, 15, v10
	v_or_b32_e32 v56, 0x9000, v9
	v_cmp_ne_u32_e64 s3, 0, v8
	v_cmp_lt_u32_e64 s4, 1, v8
	v_cmp_lt_u32_e64 s5, 3, v8
	;; [unrolled: 1-line block ×4, first 2 shown]
	v_dual_mov_b32 v31, 0 :: v_dual_add_nc_u32 v62, 0x8fc0, v9
	v_cmp_lt_u32_e64 s8, 31, v8
	v_dual_mov_b32 v6, s42 :: v_dual_add_nc_u32 v63, 0x8f80, v9
	v_cmp_lt_u32_e64 s9, 63, v8
	v_dual_mov_b32 v33, 0 :: v_dual_add_nc_u32 v64, 0x8f00, v9
	v_dual_mov_b32 v72, 1 :: v_dual_add_nc_u32 v69, 0x8000, v1
	v_add_co_ci_u32_e64 v27, null, s17, 0, s12
	v_lshl_or_b32 v71, v20, 2, 0x9000
	v_mov_b32_e32 v5, s41
	v_mov_b32_e32 v7, s43
	s_mul_i32 s18, s38, s38
	s_lshl_b64 s[40:41], s[38:39], 4
	s_lshl_b64 s[42:43], s[18:19], 4
	s_branch .LBB158_15
.LBB158_14:                             ;   in Loop: Header=BB158_15 Depth=1
	s_or_b32 exec_lo, exec_lo, s11
	s_waitcnt_vscnt null, 0x0
	s_barrier
	buffer_gl0_inv
	ds_load_b64 v[30:31], v0 offset:37376
	v_ashrrev_i32_e32 v1, 31, v3
	v_add_co_u32 v28, vcc_lo, v28, v3
	s_waitcnt lgkmcnt(0)
	s_barrier
	s_delay_alu instid0(VALU_DEP_2) | instskip(SKIP_3) | instid1(VALU_DEP_1)
	v_add_co_ci_u32_e32 v29, vcc_lo, v29, v1, vcc_lo
	buffer_gl0_inv
	v_cmp_le_i64_e32 vcc_lo, s[36:37], v[30:31]
	v_add_co_u32 v32, s11, 0x80, v30
	v_add_co_ci_u32_e64 v33, s11, 0, v31, s11
	s_cbranch_vccnz .LBB158_103
.LBB158_15:                             ; =>This Loop Header: Depth=1
                                        ;     Child Loop BB158_24 Depth 2
                                        ;       Child Loop BB158_39 Depth 3
                                        ;         Child Loop BB158_51 Depth 4
                                        ;         Child Loop BB158_47 Depth 4
	;; [unrolled: 1-line block ×4, first 2 shown]
                                        ;     Child Loop BB158_65 Depth 2
                                        ;       Child Loop BB158_70 Depth 3
                                        ;       Child Loop BB158_72 Depth 3
                                        ;     Child Loop BB158_77 Depth 2
                                        ;     Child Loop BB158_100 Depth 2
	s_and_saveexec_b32 s11, s0
	s_cbranch_execz .LBB158_17
; %bb.16:                               ;   in Loop: Header=BB158_15 Depth=1
	ds_store_b32 v58, v0
.LBB158_17:                             ;   in Loop: Header=BB158_15 Depth=1
	s_or_b32 exec_lo, exec_lo, s11
	ds_store_b128 v50, v[4:7]
	ds_store_b128 v50, v[4:7] offset:4096
	ds_store_b128 v50, v[4:7] offset:8192
	;; [unrolled: 1-line block ×4, first 2 shown]
	s_and_saveexec_b32 s11, s10
	s_delay_alu instid0(SALU_CYCLE_1)
	s_xor_b32 s11, exec_lo, s11
	s_cbranch_execz .LBB158_19
; %bb.18:                               ;   in Loop: Header=BB158_15 Depth=1
	ds_store_b128 v50, v[4:7] offset:20480
	ds_store_b128 v50, v[4:7] offset:24576
	;; [unrolled: 1-line block ×3, first 2 shown]
.LBB158_19:                             ;   in Loop: Header=BB158_15 Depth=1
	s_or_b32 exec_lo, exec_lo, s11
	s_and_saveexec_b32 s11, s1
	s_cbranch_execz .LBB158_21
; %bb.20:                               ;   in Loop: Header=BB158_15 Depth=1
	v_dual_mov_b32 v1, s36 :: v_dual_mov_b32 v2, s37
	ds_store_b64 v0, v[1:2] offset:37376
.LBB158_21:                             ;   in Loop: Header=BB158_15 Depth=1
	s_or_b32 exec_lo, exec_lo, s11
	v_dual_mov_b32 v34, s36 :: v_dual_mov_b32 v35, s37
	s_and_not1_b32 vcc_lo, exec_lo, s59
	s_waitcnt vmcnt(0) lgkmcnt(0)
	s_barrier
	buffer_gl0_inv
	s_cbranch_vccnz .LBB158_60
; %bb.22:                               ;   in Loop: Header=BB158_15 Depth=1
	v_cmp_ne_u64_e64 s11, 0, v[30:31]
	v_dual_mov_b32 v34, s36 :: v_dual_mov_b32 v35, s37
	s_mov_b64 s[44:45], s[48:49]
	s_branch .LBB158_24
.LBB158_23:                             ;   in Loop: Header=BB158_24 Depth=2
	s_or_b32 exec_lo, exec_lo, s13
	s_add_u32 s44, s44, 16
	s_addc_u32 s45, s45, 0
	s_delay_alu instid0(SALU_CYCLE_1) | instskip(NEXT) | instid1(VALU_DEP_1)
	v_cmp_lt_i64_e64 s12, s[44:45], s[34:35]
	s_and_b32 vcc_lo, exec_lo, s12
	s_cbranch_vccz .LBB158_60
.LBB158_24:                             ;   Parent Loop BB158_15 Depth=1
                                        ; =>  This Loop Header: Depth=2
                                        ;       Child Loop BB158_39 Depth 3
                                        ;         Child Loop BB158_51 Depth 4
                                        ;         Child Loop BB158_47 Depth 4
	;; [unrolled: 1-line block ×4, first 2 shown]
	v_add_co_u32 v10, s12, s44, v20
	s_delay_alu instid0(VALU_DEP_1) | instskip(NEXT) | instid1(VALU_DEP_1)
	v_add_co_ci_u32_e64 v11, null, s45, 0, s12
	s_waitcnt_vscnt null, 0x0
	s_barrier
	buffer_gl0_inv
	v_cmp_gt_i64_e64 s12, s[34:35], v[10:11]
	s_delay_alu instid0(VALU_DEP_1)
	s_and_saveexec_b32 s13, s12
	s_cbranch_execz .LBB158_29
; %bb.25:                               ;   in Loop: Header=BB158_24 Depth=2
	s_and_saveexec_b32 s46, s60
	s_delay_alu instid0(SALU_CYCLE_1)
	s_xor_b32 s46, exec_lo, s46
	s_cbranch_execz .LBB158_27
; %bb.26:                               ;   in Loop: Header=BB158_24 Depth=2
	v_mul_lo_u32 v3, v11, s18
	v_mul_lo_u32 v8, v10, s19
	v_mad_u64_u32 v[1:2], null, v10, s18, 0
	s_delay_alu instid0(VALU_DEP_1) | instskip(NEXT) | instid1(VALU_DEP_1)
	v_add3_u32 v2, v2, v8, v3
	v_lshlrev_b64 v[1:2], 4, v[1:2]
	s_delay_alu instid0(VALU_DEP_1) | instskip(NEXT) | instid1(VALU_DEP_2)
	v_add_co_u32 v1, vcc_lo, v23, v1
	v_add_co_ci_u32_e32 v2, vcc_lo, v52, v2, vcc_lo
	global_load_b128 v[36:39], v[1:2], off
	s_waitcnt vmcnt(0)
	ds_store_2addr_b64 v51, v[36:37], v[38:39] offset1:1
.LBB158_27:                             ;   in Loop: Header=BB158_24 Depth=2
	s_and_not1_saveexec_b32 s46, s46
	s_cbranch_execz .LBB158_29
; %bb.28:                               ;   in Loop: Header=BB158_24 Depth=2
	v_mov_b32_e32 v1, v0
	v_mov_b32_e32 v2, v0
	;; [unrolled: 1-line block ×3, first 2 shown]
	ds_store_b128 v51, v[0:3]
.LBB158_29:                             ;   in Loop: Header=BB158_24 Depth=2
	s_or_b32 exec_lo, exec_lo, s13
	v_mov_b32_e32 v8, 0
	v_lshlrev_b64 v[1:2], 3, v[10:11]
	v_mov_b32_e32 v9, 0
	s_waitcnt lgkmcnt(0)
	s_barrier
	buffer_gl0_inv
	s_and_saveexec_b32 s52, s12
	s_cbranch_execz .LBB158_58
; %bb.30:                               ;   in Loop: Header=BB158_24 Depth=2
	v_add_co_u32 v8, vcc_lo, s20, v1
	v_add_co_ci_u32_e32 v9, vcc_lo, s21, v2, vcc_lo
	s_and_b32 vcc_lo, exec_lo, s11
	global_load_b64 v[10:11], v[8:9], off
	s_cbranch_vccz .LBB158_32
; %bb.31:                               ;   in Loop: Header=BB158_24 Depth=2
	v_add_co_u32 v8, vcc_lo, s50, v1
	v_add_co_ci_u32_e32 v9, vcc_lo, s51, v2, vcc_lo
	s_mov_b32 s13, 0
	global_load_b64 v[8:9], v[8:9], off
	s_branch .LBB158_33
.LBB158_32:                             ;   in Loop: Header=BB158_24 Depth=2
	s_mov_b32 s13, -1
                                        ; implicit-def: $vgpr8_vgpr9
.LBB158_33:                             ;   in Loop: Header=BB158_24 Depth=2
	s_waitcnt vmcnt(0)
	v_sub_co_u32 v10, vcc_lo, v10, s28
	v_subrev_co_ci_u32_e32 v11, vcc_lo, 0, v11, vcc_lo
	s_and_not1_b32 vcc_lo, exec_lo, s13
	s_delay_alu instid0(VALU_DEP_1)
	v_lshlrev_b64 v[10:11], 3, v[10:11]
	s_cbranch_vccnz .LBB158_35
; %bb.34:                               ;   in Loop: Header=BB158_24 Depth=2
	s_delay_alu instid0(VALU_DEP_1) | instskip(NEXT) | instid1(VALU_DEP_2)
	v_add_co_u32 v8, vcc_lo, s24, v10
	v_add_co_ci_u32_e32 v9, vcc_lo, s25, v11, vcc_lo
	global_load_b64 v[8:9], v[8:9], off
	s_waitcnt vmcnt(0)
	v_sub_co_u32 v8, vcc_lo, v8, s29
	v_subrev_co_ci_u32_e32 v9, vcc_lo, 0, v9, vcc_lo
.LBB158_35:                             ;   in Loop: Header=BB158_24 Depth=2
	s_delay_alu instid0(VALU_DEP_1) | instskip(NEXT) | instid1(VALU_DEP_2)
	v_add_co_u32 v10, vcc_lo, s61, v10
	v_add_co_ci_u32_e32 v11, vcc_lo, s62, v11, vcc_lo
	s_mov_b32 s53, exec_lo
	global_load_b64 v[10:11], v[10:11], off
	s_waitcnt vmcnt(0)
	v_sub_co_u32 v10, vcc_lo, v10, s29
	v_subrev_co_ci_u32_e32 v11, vcc_lo, 0, v11, vcc_lo
	s_delay_alu instid0(VALU_DEP_1)
	v_cmpx_lt_i64_e64 v[8:9], v[10:11]
	s_cbranch_execz .LBB158_57
; %bb.36:                               ;   in Loop: Header=BB158_24 Depth=2
	v_mad_u64_u32 v[40:41], null, s40, v8, v[24:25]
	v_mul_lo_u32 v3, s40, v9
	v_mul_lo_u32 v38, s41, v8
	v_mad_u64_u32 v[36:37], null, s42, v8, v[26:27]
	v_mul_lo_u32 v42, s42, v9
	s_mov_b32 s54, 0
	v_mul_lo_u32 v43, s39, v40
	s_delay_alu instid0(VALU_DEP_4) | instskip(SKIP_2) | instid1(VALU_DEP_3)
	v_add3_u32 v3, v38, v41, v3
	v_mul_lo_u32 v41, s43, v8
	v_mad_u64_u32 v[38:39], null, s38, v40, s[16:17]
	v_mul_lo_u32 v3, s38, v3
	s_delay_alu instid0(VALU_DEP_3) | instskip(SKIP_1) | instid1(VALU_DEP_3)
	v_add3_u32 v37, v41, v37, v42
	v_dual_mov_b32 v41, v9 :: v_dual_mov_b32 v40, v8
	v_add3_u32 v39, v43, v39, v3
	s_branch .LBB158_39
.LBB158_37:                             ;   in Loop: Header=BB158_39 Depth=3
	s_or_b32 exec_lo, exec_lo, s65
	s_delay_alu instid0(SALU_CYCLE_1)
	s_or_b32 s13, s13, exec_lo
.LBB158_38:                             ;   in Loop: Header=BB158_39 Depth=3
	s_or_b32 exec_lo, exec_lo, s55
	v_add_co_u32 v40, vcc_lo, v40, 1
	v_add_co_ci_u32_e32 v41, vcc_lo, 0, v41, vcc_lo
	s_xor_b32 s46, s13, -1
	v_add_co_u32 v38, s13, v38, s42
	s_delay_alu instid0(VALU_DEP_2)
	v_cmp_ge_i64_e32 vcc_lo, v[40:41], v[10:11]
	v_add_co_ci_u32_e64 v39, s13, s43, v39, s13
	s_or_b32 s13, s46, vcc_lo
	v_add_co_u32 v36, vcc_lo, v36, s42
	v_add_co_ci_u32_e32 v37, vcc_lo, s43, v37, vcc_lo
	s_and_b32 s13, exec_lo, s13
	s_delay_alu instid0(SALU_CYCLE_1) | instskip(NEXT) | instid1(SALU_CYCLE_1)
	s_or_b32 s54, s13, s54
	s_and_not1_b32 exec_lo, exec_lo, s54
	s_cbranch_execz .LBB158_56
.LBB158_39:                             ;   Parent Loop BB158_15 Depth=1
                                        ;     Parent Loop BB158_24 Depth=2
                                        ; =>    This Loop Header: Depth=3
                                        ;         Child Loop BB158_51 Depth 4
                                        ;         Child Loop BB158_47 Depth 4
                                        ;         Child Loop BB158_53 Depth 4
                                        ;         Child Loop BB158_55 Depth 4
	s_delay_alu instid0(VALU_DEP_2) | instskip(NEXT) | instid1(VALU_DEP_1)
	v_lshlrev_b64 v[42:43], 3, v[40:41]
	v_add_co_u32 v42, vcc_lo, s26, v42
	s_delay_alu instid0(VALU_DEP_2) | instskip(SKIP_4) | instid1(VALU_DEP_1)
	v_add_co_ci_u32_e32 v43, vcc_lo, s27, v43, vcc_lo
	global_load_b64 v[42:43], v[42:43], off
	s_waitcnt vmcnt(0)
	v_sub_co_u32 v42, vcc_lo, v42, s29
	v_subrev_co_ci_u32_e32 v43, vcc_lo, 0, v43, vcc_lo
	v_cmp_lt_i64_e64 s13, v[42:43], v[30:31]
	v_cmp_ge_i64_e32 vcc_lo, v[42:43], v[32:33]
	s_delay_alu instid0(VALU_DEP_2) | instskip(NEXT) | instid1(SALU_CYCLE_1)
	s_or_b32 s46, s13, vcc_lo
                                        ; implicit-def: $sgpr13
	s_and_saveexec_b32 s47, s46
	s_delay_alu instid0(SALU_CYCLE_1)
	s_xor_b32 s46, exec_lo, s47
	s_cbranch_execz .LBB158_43
; %bb.40:                               ;   in Loop: Header=BB158_39 Depth=3
	s_mov_b32 s47, -1
	s_and_saveexec_b32 s13, vcc_lo
; %bb.41:                               ;   in Loop: Header=BB158_39 Depth=3
	v_cmp_lt_i64_e32 vcc_lo, v[42:43], v[34:35]
	v_dual_mov_b32 v8, v40 :: v_dual_mov_b32 v9, v41
	s_xor_b32 s47, exec_lo, -1
	v_dual_cndmask_b32 v35, v35, v43 :: v_dual_cndmask_b32 v34, v34, v42
; %bb.42:                               ;   in Loop: Header=BB158_39 Depth=3
	s_or_b32 exec_lo, exec_lo, s13
	s_delay_alu instid0(SALU_CYCLE_1)
	s_and_b32 s13, s47, exec_lo
                                        ; implicit-def: $vgpr42_vgpr43
.LBB158_43:                             ;   in Loop: Header=BB158_39 Depth=3
	s_and_not1_saveexec_b32 s55, s46
	s_cbranch_execz .LBB158_38
; %bb.44:                               ;   in Loop: Header=BB158_39 Depth=3
	v_sub_nc_u32_e32 v3, v42, v30
	s_delay_alu instid0(VALU_DEP_1)
	v_lshlrev_b32_e32 v42, 2, v3
	ds_store_b32 v42, v72 offset:36864
	s_and_saveexec_b32 s65, s56
	s_cbranch_execz .LBB158_37
; %bb.45:                               ;   in Loop: Header=BB158_39 Depth=3
	s_and_not1_b32 vcc_lo, exec_lo, s57
	s_cbranch_vccnz .LBB158_49
; %bb.46:                               ;   in Loop: Header=BB158_39 Depth=3
	v_dual_mov_b32 v42, 0 :: v_dual_mov_b32 v47, v39
	v_dual_mov_b32 v43, 0 :: v_dual_mov_b32 v48, v69
	v_mov_b32_e32 v46, v38
	s_mov_b64 s[46:47], s[38:39]
	s_delay_alu instid0(VALU_DEP_2)
	v_dual_mov_b32 v45, v43 :: v_dual_mov_b32 v44, v42
	.p2align	6
.LBB158_47:                             ;   Parent Loop BB158_15 Depth=1
                                        ;     Parent Loop BB158_24 Depth=2
                                        ;       Parent Loop BB158_39 Depth=3
                                        ; =>      This Inner Loop Header: Depth=4
	global_load_b128 v[73:76], v[46:47], off offset:-8
	ds_load_b128 v[77:80], v48
	v_add_co_u32 v46, vcc_lo, v46, 16
	v_add_co_ci_u32_e32 v47, vcc_lo, 0, v47, vcc_lo
	s_add_u32 s46, s46, -1
	v_add_nc_u32_e32 v48, 64, v48
	s_addc_u32 s47, s47, -1
	s_delay_alu instid0(SALU_CYCLE_1) | instskip(SKIP_3) | instid1(VALU_DEP_2)
	s_cmp_lg_u64 s[46:47], 0
	s_waitcnt vmcnt(0) lgkmcnt(0)
	v_fma_f64 v[42:43], v[77:78], v[73:74], v[42:43]
	v_fma_f64 v[44:45], v[79:80], v[73:74], v[44:45]
	v_fma_f64 v[42:43], -v[79:80], v[75:76], v[42:43]
	s_delay_alu instid0(VALU_DEP_2)
	v_fma_f64 v[44:45], v[77:78], v[75:76], v[44:45]
	s_cbranch_scc1 .LBB158_47
; %bb.48:                               ;   in Loop: Header=BB158_39 Depth=3
	s_branch .LBB158_52
.LBB158_49:                             ;   in Loop: Header=BB158_39 Depth=3
                                        ; implicit-def: $vgpr42_vgpr43
                                        ; implicit-def: $vgpr44_vgpr45
	s_cbranch_execz .LBB158_52
; %bb.50:                               ;   in Loop: Header=BB158_39 Depth=3
	v_dual_mov_b32 v42, 0 :: v_dual_mov_b32 v47, v37
	v_dual_mov_b32 v43, 0 :: v_dual_mov_b32 v48, v70
	v_mov_b32_e32 v46, v36
	s_mov_b64 s[46:47], s[38:39]
	s_delay_alu instid0(VALU_DEP_2)
	v_dual_mov_b32 v45, v43 :: v_dual_mov_b32 v44, v42
	.p2align	6
.LBB158_51:                             ;   Parent Loop BB158_15 Depth=1
                                        ;     Parent Loop BB158_24 Depth=2
                                        ;       Parent Loop BB158_39 Depth=3
                                        ; =>      This Inner Loop Header: Depth=4
	global_load_b128 v[73:76], v[46:47], off offset:-8
	ds_load_b128 v[77:80], v48
	v_add_co_u32 v46, vcc_lo, v46, s40
	s_add_u32 s46, s46, -1
	v_add_co_ci_u32_e32 v47, vcc_lo, s41, v47, vcc_lo
	v_add_nc_u32_e32 v48, 16, v48
	s_addc_u32 s47, s47, -1
	s_delay_alu instid0(SALU_CYCLE_1) | instskip(SKIP_3) | instid1(VALU_DEP_2)
	s_cmp_eq_u64 s[46:47], 0
	s_waitcnt vmcnt(0) lgkmcnt(0)
	v_fma_f64 v[42:43], v[77:78], v[73:74], v[42:43]
	v_fma_f64 v[44:45], v[79:80], v[73:74], v[44:45]
	v_fma_f64 v[42:43], -v[79:80], v[75:76], v[42:43]
	s_delay_alu instid0(VALU_DEP_2)
	v_fma_f64 v[44:45], v[77:78], v[75:76], v[44:45]
	s_cbranch_scc0 .LBB158_51
.LBB158_52:                             ;   in Loop: Header=BB158_39 Depth=3
	s_delay_alu instid0(VALU_DEP_1) | instskip(SKIP_2) | instid1(VALU_DEP_1)
	v_mul_f64 v[46:47], v[44:45], -v[16:17]
	v_lshlrev_b32_e32 v3, 4, v3
	s_mov_b32 s46, 0
	v_or3_b32 v3, v3, v53, v22
	s_delay_alu instid0(VALU_DEP_1)
	v_lshlrev_b32_e32 v3, 4, v3
	ds_load_b64 v[48:49], v3
	v_fma_f64 v[46:47], v[14:15], v[42:43], v[46:47]
.LBB158_53:                             ;   Parent Loop BB158_15 Depth=1
                                        ;     Parent Loop BB158_24 Depth=2
                                        ;       Parent Loop BB158_39 Depth=3
                                        ; =>      This Inner Loop Header: Depth=4
	s_waitcnt lgkmcnt(0)
	s_delay_alu instid0(VALU_DEP_1)
	v_add_f64 v[73:74], v[48:49], v[46:47]
	ds_cmpstore_rtn_b64 v[73:74], v3, v[73:74], v[48:49]
	s_waitcnt lgkmcnt(0)
	v_cmp_eq_u64_e32 vcc_lo, v[73:74], v[48:49]
	v_dual_mov_b32 v48, v73 :: v_dual_mov_b32 v49, v74
	s_or_b32 s46, vcc_lo, s46
	s_delay_alu instid0(SALU_CYCLE_1)
	s_and_not1_b32 exec_lo, exec_lo, s46
	s_cbranch_execnz .LBB158_53
; %bb.54:                               ;   in Loop: Header=BB158_39 Depth=3
	s_or_b32 exec_lo, exec_lo, s46
	v_mul_f64 v[44:45], v[14:15], v[44:45]
	s_mov_b32 s46, 0
	s_delay_alu instid0(VALU_DEP_1)
	v_fma_f64 v[42:43], v[16:17], v[42:43], v[44:45]
	ds_load_b64 v[44:45], v3 offset:8
.LBB158_55:                             ;   Parent Loop BB158_15 Depth=1
                                        ;     Parent Loop BB158_24 Depth=2
                                        ;       Parent Loop BB158_39 Depth=3
                                        ; =>      This Inner Loop Header: Depth=4
	s_waitcnt lgkmcnt(0)
	v_add_f64 v[46:47], v[44:45], v[42:43]
	ds_cmpstore_rtn_b64 v[46:47], v3, v[46:47], v[44:45] offset:8
	s_waitcnt lgkmcnt(0)
	v_cmp_eq_u64_e32 vcc_lo, v[46:47], v[44:45]
	v_dual_mov_b32 v44, v46 :: v_dual_mov_b32 v45, v47
	s_or_b32 s46, vcc_lo, s46
	s_delay_alu instid0(SALU_CYCLE_1)
	s_and_not1_b32 exec_lo, exec_lo, s46
	s_cbranch_execnz .LBB158_55
	s_branch .LBB158_37
.LBB158_56:                             ;   in Loop: Header=BB158_24 Depth=2
	s_or_b32 exec_lo, exec_lo, s54
.LBB158_57:                             ;   in Loop: Header=BB158_24 Depth=2
	s_delay_alu instid0(SALU_CYCLE_1)
	s_or_b32 exec_lo, exec_lo, s53
.LBB158_58:                             ;   in Loop: Header=BB158_24 Depth=2
	s_delay_alu instid0(SALU_CYCLE_1)
	s_or_b32 exec_lo, exec_lo, s52
	s_waitcnt lgkmcnt(0)
	s_barrier
	buffer_gl0_inv
	s_and_saveexec_b32 s13, s12
	s_cbranch_execz .LBB158_23
; %bb.59:                               ;   in Loop: Header=BB158_24 Depth=2
	v_add_co_u32 v1, vcc_lo, s50, v1
	v_add_co_ci_u32_e32 v2, vcc_lo, s51, v2, vcc_lo
	global_store_b64 v[1:2], v[8:9], off
	s_branch .LBB158_23
.LBB158_60:                             ;   in Loop: Header=BB158_15 Depth=1
	s_and_not1_b32 vcc_lo, exec_lo, s33
	s_cbranch_vccnz .LBB158_75
; %bb.61:                               ;   in Loop: Header=BB158_15 Depth=1
	s_load_b128 s[44:47], s[22:23], 0x0
	s_waitcnt lgkmcnt(0)
	v_add_co_u32 v1, vcc_lo, s44, v54
	v_add_co_ci_u32_e32 v2, vcc_lo, s45, v55, vcc_lo
	s_sub_u32 s12, s46, s31
	s_subb_u32 s13, s47, 0
	s_mov_b32 s44, exec_lo
	s_delay_alu instid0(VALU_DEP_1)
	v_cmpx_gt_i64_e64 s[12:13], v[1:2]
	s_cbranch_execz .LBB158_74
; %bb.62:                               ;   in Loop: Header=BB158_15 Depth=1
	s_mov_b32 s45, 0
	s_branch .LBB158_65
.LBB158_63:                             ;   in Loop: Header=BB158_65 Depth=2
	s_or_b32 exec_lo, exec_lo, s47
	s_delay_alu instid0(SALU_CYCLE_1)
	s_or_b32 s11, s11, exec_lo
.LBB158_64:                             ;   in Loop: Header=BB158_65 Depth=2
	s_or_b32 exec_lo, exec_lo, s46
	v_add_co_u32 v1, vcc_lo, v1, 16
	v_add_co_ci_u32_e32 v2, vcc_lo, 0, v2, vcc_lo
	s_xor_b32 s11, s11, -1
	s_delay_alu instid0(VALU_DEP_1) | instskip(SKIP_1) | instid1(SALU_CYCLE_1)
	v_cmp_le_i64_e32 vcc_lo, s[12:13], v[1:2]
	s_or_b32 s11, s11, vcc_lo
	s_and_b32 s11, exec_lo, s11
	s_delay_alu instid0(SALU_CYCLE_1) | instskip(NEXT) | instid1(SALU_CYCLE_1)
	s_or_b32 s45, s11, s45
	s_and_not1_b32 exec_lo, exec_lo, s45
	s_cbranch_execz .LBB158_73
.LBB158_65:                             ;   Parent Loop BB158_15 Depth=1
                                        ; =>  This Loop Header: Depth=2
                                        ;       Child Loop BB158_70 Depth 3
                                        ;       Child Loop BB158_72 Depth 3
	v_lshlrev_b64 v[8:9], 3, v[1:2]
	s_delay_alu instid0(VALU_DEP_1) | instskip(NEXT) | instid1(VALU_DEP_2)
	v_add_co_u32 v8, vcc_lo, s14, v8
	v_add_co_ci_u32_e32 v9, vcc_lo, s15, v9, vcc_lo
	global_load_b64 v[8:9], v[8:9], off
	s_waitcnt vmcnt(0)
	v_sub_co_u32 v8, vcc_lo, v8, s31
	v_subrev_co_ci_u32_e32 v9, vcc_lo, 0, v9, vcc_lo
	s_delay_alu instid0(VALU_DEP_1)
	v_cmp_lt_i64_e32 vcc_lo, v[8:9], v[32:33]
	v_cmp_lt_i64_e64 s11, v[8:9], v[30:31]
	s_xor_b32 s46, vcc_lo, -1
	s_delay_alu instid0(VALU_DEP_1) | instid1(SALU_CYCLE_1)
	s_or_b32 s46, s11, s46
                                        ; implicit-def: $sgpr11
	s_delay_alu instid0(SALU_CYCLE_1) | instskip(NEXT) | instid1(SALU_CYCLE_1)
	s_and_saveexec_b32 s47, s46
	s_xor_b32 s46, exec_lo, s47
; %bb.66:                               ;   in Loop: Header=BB158_65 Depth=2
	v_cmp_lt_i64_e64 s11, v[8:9], v[34:35]
	s_delay_alu instid0(VALU_DEP_1) | instskip(SKIP_2) | instid1(VALU_DEP_1)
	v_cndmask_b32_e64 v3, v34, v8, s11
	v_cndmask_b32_e64 v8, v35, v9, s11
	s_and_b32 s11, vcc_lo, exec_lo
	v_dual_cndmask_b32 v34, v3, v34 :: v_dual_cndmask_b32 v35, v8, v35
                                        ; implicit-def: $vgpr8
; %bb.67:                               ;   in Loop: Header=BB158_65 Depth=2
	s_and_not1_saveexec_b32 s46, s46
	s_cbranch_execz .LBB158_64
; %bb.68:                               ;   in Loop: Header=BB158_65 Depth=2
	v_sub_nc_u32_e32 v3, v8, v30
	s_delay_alu instid0(VALU_DEP_1)
	v_lshlrev_b32_e32 v8, 2, v3
	ds_store_b32 v8, v72 offset:36864
	s_and_saveexec_b32 s47, s60
	s_cbranch_execz .LBB158_63
; %bb.69:                               ;   in Loop: Header=BB158_65 Depth=2
	v_mul_lo_u32 v10, v2, s18
	v_mul_lo_u32 v11, v1, s19
	v_mad_u64_u32 v[8:9], null, v1, s18, 0
	v_lshlrev_b32_e32 v3, 4, v3
	s_mov_b32 s52, 0
	s_delay_alu instid0(VALU_DEP_1) | instskip(NEXT) | instid1(VALU_DEP_3)
	v_or3_b32 v3, v3, v53, v22
	v_add3_u32 v9, v9, v11, v10
	s_delay_alu instid0(VALU_DEP_2) | instskip(NEXT) | instid1(VALU_DEP_2)
	v_lshlrev_b32_e32 v3, 4, v3
	v_lshlrev_b64 v[8:9], 4, v[8:9]
	ds_load_b64 v[38:39], v3
	v_add_co_u32 v8, vcc_lo, v68, v8
	v_add_co_ci_u32_e32 v9, vcc_lo, v67, v9, vcc_lo
	global_load_b128 v[8:11], v[8:9], off
	s_waitcnt vmcnt(0)
	v_mul_f64 v[36:37], v[10:11], -v[12:13]
	s_delay_alu instid0(VALU_DEP_1)
	v_fma_f64 v[36:37], v[18:19], v[8:9], v[36:37]
.LBB158_70:                             ;   Parent Loop BB158_15 Depth=1
                                        ;     Parent Loop BB158_65 Depth=2
                                        ; =>    This Inner Loop Header: Depth=3
	s_waitcnt lgkmcnt(0)
	s_delay_alu instid0(VALU_DEP_1)
	v_add_f64 v[40:41], v[38:39], v[36:37]
	ds_cmpstore_rtn_b64 v[40:41], v3, v[40:41], v[38:39]
	s_waitcnt lgkmcnt(0)
	v_cmp_eq_u64_e32 vcc_lo, v[40:41], v[38:39]
	v_dual_mov_b32 v38, v40 :: v_dual_mov_b32 v39, v41
	s_or_b32 s52, vcc_lo, s52
	s_delay_alu instid0(SALU_CYCLE_1)
	s_and_not1_b32 exec_lo, exec_lo, s52
	s_cbranch_execnz .LBB158_70
; %bb.71:                               ;   in Loop: Header=BB158_65 Depth=2
	s_or_b32 exec_lo, exec_lo, s52
	v_mul_f64 v[10:11], v[18:19], v[10:11]
	s_mov_b32 s52, 0
	s_delay_alu instid0(VALU_DEP_1)
	v_fma_f64 v[8:9], v[12:13], v[8:9], v[10:11]
	ds_load_b64 v[10:11], v3 offset:8
.LBB158_72:                             ;   Parent Loop BB158_15 Depth=1
                                        ;     Parent Loop BB158_65 Depth=2
                                        ; =>    This Inner Loop Header: Depth=3
	s_waitcnt lgkmcnt(0)
	v_add_f64 v[36:37], v[10:11], v[8:9]
	ds_cmpstore_rtn_b64 v[36:37], v3, v[36:37], v[10:11] offset:8
	s_waitcnt lgkmcnt(0)
	v_cmp_eq_u64_e32 vcc_lo, v[36:37], v[10:11]
	v_dual_mov_b32 v10, v36 :: v_dual_mov_b32 v11, v37
	s_or_b32 s52, vcc_lo, s52
	s_delay_alu instid0(SALU_CYCLE_1)
	s_and_not1_b32 exec_lo, exec_lo, s52
	s_cbranch_execnz .LBB158_72
	s_branch .LBB158_63
.LBB158_73:                             ;   in Loop: Header=BB158_15 Depth=1
	s_or_b32 exec_lo, exec_lo, s45
.LBB158_74:                             ;   in Loop: Header=BB158_15 Depth=1
	s_delay_alu instid0(SALU_CYCLE_1)
	s_or_b32 exec_lo, exec_lo, s44
.LBB158_75:                             ;   in Loop: Header=BB158_15 Depth=1
	s_and_saveexec_b32 s11, s2
	s_cbranch_execz .LBB158_80
; %bb.76:                               ;   in Loop: Header=BB158_15 Depth=1
	s_mov_b32 s44, exec_lo
	s_mov_b64 s[12:13], -1
.LBB158_77:                             ;   Parent Loop BB158_15 Depth=1
                                        ; =>  This Inner Loop Header: Depth=2
	s_ctz_i32_b32 s45, s44
	s_delay_alu instid0(SALU_CYCLE_1) | instskip(SKIP_1) | instid1(VALU_DEP_1)
	v_readlane_b32 s47, v35, s45
	v_readlane_b32 s46, v34, s45
	v_cmp_lt_u64_e64 s52, s[12:13], s[46:47]
	s_delay_alu instid0(VALU_DEP_1) | instskip(SKIP_3) | instid1(SALU_CYCLE_1)
	s_and_b32 s52, s52, exec_lo
	s_cselect_b32 s13, s13, s47
	s_cselect_b32 s12, s12, s46
	s_lshl_b32 s45, 1, s45
	s_and_not1_b32 s44, s44, s45
	s_delay_alu instid0(SALU_CYCLE_1)
	s_cmp_lg_u32 s44, 0
	s_cbranch_scc1 .LBB158_77
; %bb.78:                               ;   in Loop: Header=BB158_15 Depth=1
	v_mbcnt_lo_u32_b32 v1, exec_lo, 0
	s_mov_b32 s44, exec_lo
	s_delay_alu instid0(VALU_DEP_1)
	v_cmpx_eq_u32_e32 0, v1
	s_xor_b32 s44, exec_lo, s44
	s_cbranch_execz .LBB158_80
; %bb.79:                               ;   in Loop: Header=BB158_15 Depth=1
	v_dual_mov_b32 v1, s12 :: v_dual_mov_b32 v2, s13
	ds_min_u64 v0, v[1:2] offset:37376
.LBB158_80:                             ;   in Loop: Header=BB158_15 Depth=1
	s_or_b32 exec_lo, exec_lo, s11
	s_waitcnt lgkmcnt(0)
	s_waitcnt_vscnt null, 0x0
	s_barrier
	buffer_gl0_inv
	ds_load_b32 v1, v56
	s_waitcnt lgkmcnt(0)
	s_barrier
	buffer_gl0_inv
	s_and_saveexec_b32 s11, s3
	s_cbranch_execz .LBB158_82
; %bb.81:                               ;   in Loop: Header=BB158_15 Depth=1
	ds_load_b32 v2, v57
	s_waitcnt lgkmcnt(0)
	v_add_nc_u32_e32 v1, v2, v1
.LBB158_82:                             ;   in Loop: Header=BB158_15 Depth=1
	s_or_b32 exec_lo, exec_lo, s11
	s_barrier
	buffer_gl0_inv
	ds_store_b32 v56, v1
	s_waitcnt lgkmcnt(0)
	s_barrier
	buffer_gl0_inv
	s_and_saveexec_b32 s11, s4
	s_cbranch_execz .LBB158_84
; %bb.83:                               ;   in Loop: Header=BB158_15 Depth=1
	ds_load_b32 v2, v59
	s_waitcnt lgkmcnt(0)
	v_add_nc_u32_e32 v1, v2, v1
.LBB158_84:                             ;   in Loop: Header=BB158_15 Depth=1
	s_or_b32 exec_lo, exec_lo, s11
	s_barrier
	buffer_gl0_inv
	ds_store_b32 v56, v1
	;; [unrolled: 14-line block ×7, first 2 shown]
	s_waitcnt lgkmcnt(0)
	s_barrier
	buffer_gl0_inv
	ds_load_b32 v3, v0 offset:37372
	v_mov_b32_e32 v2, 0
	s_and_saveexec_b32 s11, s58
	s_cbranch_execz .LBB158_96
; %bb.95:                               ;   in Loop: Header=BB158_15 Depth=1
	ds_load_b32 v2, v57
.LBB158_96:                             ;   in Loop: Header=BB158_15 Depth=1
	s_or_b32 exec_lo, exec_lo, s11
	s_waitcnt lgkmcnt(0)
	v_cmp_eq_u32_e32 vcc_lo, v1, v2
	s_barrier
	buffer_gl0_inv
	s_and_b32 s12, s58, vcc_lo
	s_delay_alu instid0(SALU_CYCLE_1)
	s_and_saveexec_b32 s11, s12
	s_cbranch_execz .LBB158_98
; %bb.97:                               ;   in Loop: Header=BB158_15 Depth=1
	ds_store_b32 v56, v0
.LBB158_98:                             ;   in Loop: Header=BB158_15 Depth=1
	s_or_b32 exec_lo, exec_lo, s11
	v_add_co_u32 v8, vcc_lo, v28, -1
	v_add_co_ci_u32_e32 v9, vcc_lo, -1, v29, vcc_lo
	v_add_co_u32 v10, vcc_lo, s30, v30
	v_add_co_ci_u32_e32 v11, vcc_lo, 0, v31, vcc_lo
	v_dual_mov_b32 v30, v71 :: v_dual_mov_b32 v31, v50
	v_dual_mov_b32 v1, v20 :: v_dual_mov_b32 v2, v21
	s_mov_b32 s11, 0
	s_waitcnt lgkmcnt(0)
	s_barrier
	buffer_gl0_inv
	s_branch .LBB158_100
.LBB158_99:                             ;   in Loop: Header=BB158_100 Depth=2
	s_or_b32 exec_lo, exec_lo, s12
	v_add_co_u32 v1, vcc_lo, v1, 16
	v_add_co_ci_u32_e32 v2, vcc_lo, 0, v2, vcc_lo
	v_add_nc_u32_e32 v31, 0x1000, v31
	s_delay_alu instid0(VALU_DEP_3) | instskip(SKIP_1) | instid1(VALU_DEP_2)
	v_add_nc_u32_e32 v32, -16, v1
	v_add_nc_u32_e32 v30, 64, v30
	v_cmp_lt_u32_e32 vcc_lo, 0x6f, v32
	s_or_b32 s11, vcc_lo, s11
	s_delay_alu instid0(SALU_CYCLE_1)
	s_and_not1_b32 exec_lo, exec_lo, s11
	s_cbranch_execz .LBB158_14
.LBB158_100:                            ;   Parent Loop BB158_15 Depth=1
                                        ; =>  This Inner Loop Header: Depth=2
	ds_load_b32 v32, v30
	s_mov_b32 s12, exec_lo
	s_waitcnt lgkmcnt(0)
	v_cmpx_ne_u32_e32 0, v32
	s_cbranch_execz .LBB158_99
; %bb.101:                              ;   in Loop: Header=BB158_100 Depth=2
	v_ashrrev_i32_e32 v33, 31, v32
	v_add_co_u32 v34, vcc_lo, v28, v32
	s_delay_alu instid0(VALU_DEP_2) | instskip(SKIP_2) | instid1(VALU_DEP_3)
	v_add_co_ci_u32_e32 v35, vcc_lo, v29, v33, vcc_lo
	v_add_co_u32 v36, vcc_lo, v10, v1
	v_add_co_ci_u32_e32 v37, vcc_lo, v11, v2, vcc_lo
	v_lshlrev_b64 v[34:35], 3, v[34:35]
	s_delay_alu instid0(VALU_DEP_1) | instskip(NEXT) | instid1(VALU_DEP_2)
	v_add_co_u32 v34, vcc_lo, s63, v34
	v_add_co_ci_u32_e32 v35, vcc_lo, s64, v35, vcc_lo
	global_store_b64 v[34:35], v[36:37], off
	s_and_b32 exec_lo, exec_lo, s60
	s_cbranch_execz .LBB158_99
; %bb.102:                              ;   in Loop: Header=BB158_100 Depth=2
	v_add_co_u32 v32, vcc_lo, v8, v32
	v_add_co_ci_u32_e32 v33, vcc_lo, v9, v33, vcc_lo
	s_delay_alu instid0(VALU_DEP_2) | instskip(SKIP_1) | instid1(VALU_DEP_3)
	v_mul_lo_u32 v39, v32, s19
	v_mad_u64_u32 v[36:37], null, v32, s18, 0
	v_mul_lo_u32 v38, v33, s18
	ds_load_2addr_b64 v[32:35], v31 offset1:1
	v_add3_u32 v37, v37, v39, v38
	s_delay_alu instid0(VALU_DEP_1) | instskip(NEXT) | instid1(VALU_DEP_1)
	v_lshlrev_b64 v[36:37], 4, v[36:37]
	v_add_co_u32 v36, vcc_lo, v66, v36
	s_delay_alu instid0(VALU_DEP_2)
	v_add_co_ci_u32_e32 v37, vcc_lo, v65, v37, vcc_lo
	s_waitcnt lgkmcnt(0)
	global_store_b128 v[36:37], v[32:35], off
	s_branch .LBB158_99
.LBB158_103:
	s_endpgm
	.section	.rodata,"a",@progbits
	.p2align	6, 0x0
	.amdhsa_kernel _ZN9rocsparseL38bsrgemm_block_per_row_atomic_multipassILj256ELj128ELj4Ell21rocsparse_complex_numIdEEEv20rocsparse_direction_T3_S4_PKS4_S6_NS_24const_host_device_scalarIT4_EEPKT2_S6_PKS8_SC_S6_SE_S9_SC_S6_SE_SC_PS4_PS8_PSA_21rocsparse_index_base_SI_SI_SI_bbb
		.amdhsa_group_segment_fixed_size 41480
		.amdhsa_private_segment_fixed_size 0
		.amdhsa_kernarg_size 196
		.amdhsa_user_sgpr_count 15
		.amdhsa_user_sgpr_dispatch_ptr 1
		.amdhsa_user_sgpr_queue_ptr 0
		.amdhsa_user_sgpr_kernarg_segment_ptr 1
		.amdhsa_user_sgpr_dispatch_id 0
		.amdhsa_user_sgpr_private_segment_size 0
		.amdhsa_wavefront_size32 1
		.amdhsa_uses_dynamic_stack 0
		.amdhsa_enable_private_segment 0
		.amdhsa_system_sgpr_workgroup_id_x 1
		.amdhsa_system_sgpr_workgroup_id_y 0
		.amdhsa_system_sgpr_workgroup_id_z 0
		.amdhsa_system_sgpr_workgroup_info 0
		.amdhsa_system_vgpr_workitem_id 2
		.amdhsa_next_free_vgpr 81
		.amdhsa_next_free_sgpr 66
		.amdhsa_reserve_vcc 1
		.amdhsa_float_round_mode_32 0
		.amdhsa_float_round_mode_16_64 0
		.amdhsa_float_denorm_mode_32 3
		.amdhsa_float_denorm_mode_16_64 3
		.amdhsa_dx10_clamp 1
		.amdhsa_ieee_mode 1
		.amdhsa_fp16_overflow 0
		.amdhsa_workgroup_processor_mode 1
		.amdhsa_memory_ordered 1
		.amdhsa_forward_progress 0
		.amdhsa_shared_vgpr_count 0
		.amdhsa_exception_fp_ieee_invalid_op 0
		.amdhsa_exception_fp_denorm_src 0
		.amdhsa_exception_fp_ieee_div_zero 0
		.amdhsa_exception_fp_ieee_overflow 0
		.amdhsa_exception_fp_ieee_underflow 0
		.amdhsa_exception_fp_ieee_inexact 0
		.amdhsa_exception_int_div_zero 0
	.end_amdhsa_kernel
	.section	.text._ZN9rocsparseL38bsrgemm_block_per_row_atomic_multipassILj256ELj128ELj4Ell21rocsparse_complex_numIdEEEv20rocsparse_direction_T3_S4_PKS4_S6_NS_24const_host_device_scalarIT4_EEPKT2_S6_PKS8_SC_S6_SE_S9_SC_S6_SE_SC_PS4_PS8_PSA_21rocsparse_index_base_SI_SI_SI_bbb,"axG",@progbits,_ZN9rocsparseL38bsrgemm_block_per_row_atomic_multipassILj256ELj128ELj4Ell21rocsparse_complex_numIdEEEv20rocsparse_direction_T3_S4_PKS4_S6_NS_24const_host_device_scalarIT4_EEPKT2_S6_PKS8_SC_S6_SE_S9_SC_S6_SE_SC_PS4_PS8_PSA_21rocsparse_index_base_SI_SI_SI_bbb,comdat
.Lfunc_end158:
	.size	_ZN9rocsparseL38bsrgemm_block_per_row_atomic_multipassILj256ELj128ELj4Ell21rocsparse_complex_numIdEEEv20rocsparse_direction_T3_S4_PKS4_S6_NS_24const_host_device_scalarIT4_EEPKT2_S6_PKS8_SC_S6_SE_S9_SC_S6_SE_SC_PS4_PS8_PSA_21rocsparse_index_base_SI_SI_SI_bbb, .Lfunc_end158-_ZN9rocsparseL38bsrgemm_block_per_row_atomic_multipassILj256ELj128ELj4Ell21rocsparse_complex_numIdEEEv20rocsparse_direction_T3_S4_PKS4_S6_NS_24const_host_device_scalarIT4_EEPKT2_S6_PKS8_SC_S6_SE_S9_SC_S6_SE_SC_PS4_PS8_PSA_21rocsparse_index_base_SI_SI_SI_bbb
                                        ; -- End function
	.section	.AMDGPU.csdata,"",@progbits
; Kernel info:
; codeLenInByte = 4840
; NumSgprs: 68
; NumVgprs: 81
; ScratchSize: 0
; MemoryBound: 0
; FloatMode: 240
; IeeeMode: 1
; LDSByteSize: 41480 bytes/workgroup (compile time only)
; SGPRBlocks: 8
; VGPRBlocks: 10
; NumSGPRsForWavesPerEU: 68
; NumVGPRsForWavesPerEU: 81
; Occupancy: 6
; WaveLimiterHint : 1
; COMPUTE_PGM_RSRC2:SCRATCH_EN: 0
; COMPUTE_PGM_RSRC2:USER_SGPR: 15
; COMPUTE_PGM_RSRC2:TRAP_HANDLER: 0
; COMPUTE_PGM_RSRC2:TGID_X_EN: 1
; COMPUTE_PGM_RSRC2:TGID_Y_EN: 0
; COMPUTE_PGM_RSRC2:TGID_Z_EN: 0
; COMPUTE_PGM_RSRC2:TIDIG_COMP_CNT: 2
	.section	.text._ZN9rocsparseL23bsrgemm_fill_wf_per_rowILj256ELj64ELj8ELj137ELj8Ell21rocsparse_complex_numIdEEEv20rocsparse_direction_T5_S4_S4_PKS4_S6_NS_24const_host_device_scalarIT6_EEPKT4_S6_PKS8_SC_S6_SE_S9_SC_S6_SE_SC_PS4_PS8_21rocsparse_index_base_SH_SH_SH_bbb,"axG",@progbits,_ZN9rocsparseL23bsrgemm_fill_wf_per_rowILj256ELj64ELj8ELj137ELj8Ell21rocsparse_complex_numIdEEEv20rocsparse_direction_T5_S4_S4_PKS4_S6_NS_24const_host_device_scalarIT6_EEPKT4_S6_PKS8_SC_S6_SE_S9_SC_S6_SE_SC_PS4_PS8_21rocsparse_index_base_SH_SH_SH_bbb,comdat
	.globl	_ZN9rocsparseL23bsrgemm_fill_wf_per_rowILj256ELj64ELj8ELj137ELj8Ell21rocsparse_complex_numIdEEEv20rocsparse_direction_T5_S4_S4_PKS4_S6_NS_24const_host_device_scalarIT6_EEPKT4_S6_PKS8_SC_S6_SE_S9_SC_S6_SE_SC_PS4_PS8_21rocsparse_index_base_SH_SH_SH_bbb ; -- Begin function _ZN9rocsparseL23bsrgemm_fill_wf_per_rowILj256ELj64ELj8ELj137ELj8Ell21rocsparse_complex_numIdEEEv20rocsparse_direction_T5_S4_S4_PKS4_S6_NS_24const_host_device_scalarIT6_EEPKT4_S6_PKS8_SC_S6_SE_S9_SC_S6_SE_SC_PS4_PS8_21rocsparse_index_base_SH_SH_SH_bbb
	.p2align	8
	.type	_ZN9rocsparseL23bsrgemm_fill_wf_per_rowILj256ELj64ELj8ELj137ELj8Ell21rocsparse_complex_numIdEEEv20rocsparse_direction_T5_S4_S4_PKS4_S6_NS_24const_host_device_scalarIT6_EEPKT4_S6_PKS8_SC_S6_SE_S9_SC_S6_SE_SC_PS4_PS8_21rocsparse_index_base_SH_SH_SH_bbb,@function
_ZN9rocsparseL23bsrgemm_fill_wf_per_rowILj256ELj64ELj8ELj137ELj8Ell21rocsparse_complex_numIdEEEv20rocsparse_direction_T5_S4_S4_PKS4_S6_NS_24const_host_device_scalarIT6_EEPKT4_S6_PKS8_SC_S6_SE_S9_SC_S6_SE_SC_PS4_PS8_21rocsparse_index_base_SH_SH_SH_bbb: ; @_ZN9rocsparseL23bsrgemm_fill_wf_per_rowILj256ELj64ELj8ELj137ELj8Ell21rocsparse_complex_numIdEEEv20rocsparse_direction_T5_S4_S4_PKS4_S6_NS_24const_host_device_scalarIT6_EEPKT4_S6_PKS8_SC_S6_SE_S9_SC_S6_SE_SC_PS4_PS8_21rocsparse_index_base_SH_SH_SH_bbb
; %bb.0:
	s_load_b32 s13, s[2:3], 0xc0
	s_load_b64 s[16:17], s[0:1], 0x4
	v_dual_mov_b32 v4, 0 :: v_dual_and_b32 v45, 0x3ff, v0
	s_clause 0x1
	s_load_b128 s[8:11], s[2:3], 0x30
	s_load_b128 s[4:7], s[2:3], 0x70
	v_bfe_u32 v2, v0, 10, 10
	v_bfe_u32 v0, v0, 20, 10
	v_mov_b32_e32 v5, 0
	s_waitcnt lgkmcnt(0)
	s_bitcmp1_b32 s13, 0
	s_cselect_b32 s12, -1, 0
	s_bitcmp1_b32 s13, 16
	s_cselect_b32 s0, -1, 0
	s_lshr_b32 s1, s16, 16
	s_delay_alu instid0(SALU_CYCLE_1) | instskip(NEXT) | instid1(SALU_CYCLE_1)
	s_mul_i32 s1, s1, s17
	v_mul_lo_u32 v1, s1, v45
	s_xor_b32 s1, s0, -1
	s_bitcmp0_b32 s13, 0
	v_cndmask_b32_e64 v3, 0, 1, s1
	s_delay_alu instid0(VALU_DEP_1) | instskip(NEXT) | instid1(VALU_DEP_3)
	v_cmp_ne_u32_e32 vcc_lo, 1, v3
	v_mad_u32_u24 v1, v2, s17, v1
	s_delay_alu instid0(VALU_DEP_1)
	v_add_lshl_u32 v0, v1, v0, 3
	v_dual_mov_b32 v1, s8 :: v_dual_mov_b32 v2, s9
	v_mov_b32_e32 v7, s5
	v_dual_mov_b32 v15, v5 :: v_dual_mov_b32 v14, v4
	v_dual_mov_b32 v17, v5 :: v_dual_mov_b32 v6, s4
	v_dual_mov_b32 v16, v4 :: v_dual_add_nc_u32 v3, 0x100, v0
	ds_store_2addr_stride64_b64 v3, v[6:7], v[1:2] offset0:64 offset1:68
	s_cbranch_scc1 .LBB159_3
; %bb.1:
	s_mov_b64 s[16:17], src_shared_base
	s_and_b32 s14, s0, exec_lo
	s_cselect_b32 s14, s17, s9
	s_delay_alu instid0(SALU_CYCLE_1) | instskip(SKIP_2) | instid1(VALU_DEP_2)
	v_dual_mov_b32 v2, s14 :: v_dual_add_nc_u32 v1, 0x8900, v0
	v_dual_mov_b32 v17, s11 :: v_dual_mov_b32 v16, s10
	s_and_b32 vcc_lo, exec_lo, vcc_lo
	v_cndmask_b32_e64 v1, s8, v1, s0
	flat_load_b64 v[14:15], v[1:2]
	s_cbranch_vccnz .LBB159_3
; %bb.2:
	v_dual_mov_b32 v1, s8 :: v_dual_mov_b32 v2, s9
	flat_load_b64 v[16:17], v[1:2] offset:8
.LBB159_3:
	s_load_b128 s[36:39], s[2:3], 0xb0
	s_bitcmp1_b32 s13, 8
	v_dual_mov_b32 v7, v5 :: v_dual_mov_b32 v6, v4
	s_cselect_b32 s34, -1, 0
	s_bfe_u32 s8, s13, 0x10008
	s_delay_alu instid0(SALU_CYCLE_1)
	s_cmp_eq_u32 s8, 0
	s_cbranch_scc1 .LBB159_6
; %bb.4:
	s_mov_b64 s[8:9], src_shared_base
	s_and_b32 s8, s0, exec_lo
	s_cselect_b32 s8, s9, s5
	s_delay_alu instid0(SALU_CYCLE_1) | instskip(SKIP_2) | instid1(VALU_DEP_2)
	v_dual_mov_b32 v1, s8 :: v_dual_add_nc_u32 v0, 0x8100, v0
	v_dual_mov_b32 v4, s6 :: v_dual_mov_b32 v5, s7
	s_and_not1_b32 vcc_lo, exec_lo, s1
	v_cndmask_b32_e64 v0, s4, v0, s0
	flat_load_b64 v[6:7], v[0:1]
	s_cbranch_vccnz .LBB159_6
; %bb.5:
	v_dual_mov_b32 v0, s4 :: v_dual_mov_b32 v1, s5
	flat_load_b64 v[4:5], v[0:1] offset:8
.LBB159_6:
	s_clause 0x5
	s_load_b128 s[40:43], s[2:3], 0xa0
	s_load_b256 s[16:23], s[2:3], 0x80
	s_load_b128 s[44:47], s[2:3], 0x60
	s_load_b256 s[4:11], s[2:3], 0x8
	s_load_b64 s[0:1], s[2:3], 0x28
	s_load_b256 s[24:31], s[2:3], 0x40
	s_movk_i32 s13, 0xc0
	v_and_b32_e32 v8, 63, v45
	v_lshrrev_b32_e32 v46, 6, v45
	v_and_or_b32 v44, v45, s13, 0x8000
	s_mov_b32 s13, exec_lo
	s_delay_alu instid0(VALU_DEP_3)
	v_cmpx_gt_u32_e32 8, v8
	s_cbranch_execz .LBB159_8
; %bb.7:
	s_delay_alu instid0(VALU_DEP_2)
	v_lshl_add_u32 v2, v8, 3, v44
	s_waitcnt lgkmcnt(0)
	v_dual_mov_b32 v0, s6 :: v_dual_mov_b32 v1, s7
	ds_store_b64 v2, v[0:1]
.LBB159_8:
	s_or_b32 exec_lo, exec_lo, s13
	v_dual_mov_b32 v0, 0 :: v_dual_lshlrev_b32 v47, 13, v46
	v_or_b32_e32 v9, 0xffffffc0, v8
	s_mov_b32 s13, 0
	s_delay_alu instid0(VALU_DEP_2) | instskip(NEXT) | instid1(VALU_DEP_3)
	v_lshl_or_b32 v10, v8, 4, v47
	v_mov_b32_e32 v1, v0
	v_mov_b32_e32 v2, v0
	;; [unrolled: 1-line block ×3, first 2 shown]
.LBB159_9:                              ; =>This Inner Loop Header: Depth=1
	v_add_nc_u32_e32 v9, 64, v9
	ds_store_b128 v10, v[0:3]
	v_add_nc_u32_e32 v10, 0x400, v10
	v_cmp_lt_u32_e32 vcc_lo, 0x1bf, v9
	s_or_b32 s13, vcc_lo, s13
	s_delay_alu instid0(SALU_CYCLE_1)
	s_and_not1_b32 exec_lo, exec_lo, s13
	s_cbranch_execnz .LBB159_9
; %bb.10:
	s_or_b32 exec_lo, exec_lo, s13
	v_lshl_or_b32 v0, s15, 2, v46
	v_mov_b32_e32 v1, 0
	s_waitcnt vmcnt(0) lgkmcnt(0)
	s_barrier
	buffer_gl0_inv
	v_cmp_gt_i64_e32 vcc_lo, s[4:5], v[0:1]
	s_and_saveexec_b32 s4, vcc_lo
	s_cbranch_execz .LBB159_80
; %bb.11:
	s_cmp_eq_u64 s[0:1], 0
	s_cbranch_scc1 .LBB159_13
; %bb.12:
	s_load_b64 s[4:5], s[10:11], 0x0
	v_lshlrev_b64 v[0:1], 3, v[0:1]
	s_waitcnt lgkmcnt(0)
	s_lshl_b64 s[4:5], s[4:5], 3
	s_delay_alu instid0(SALU_CYCLE_1) | instskip(SKIP_1) | instid1(VALU_DEP_1)
	s_add_u32 s0, s0, s4
	s_addc_u32 s1, s1, s5
	v_add_co_u32 v0, vcc_lo, s0, v0
	v_add_co_ci_u32_e32 v1, vcc_lo, s1, v1, vcc_lo
	global_load_b64 v[0:1], v[0:1], off
.LBB159_13:
	s_load_b32 s33, s[2:3], 0x0
	v_lshlrev_b32_e32 v2, 7, v45
	s_waitcnt vmcnt(0)
	v_lshlrev_b64 v[12:13], 3, v[0:1]
	v_and_b32_e32 v10, 7, v45
	v_lshrrev_b32_e32 v8, 3, v8
	s_and_not1_b32 vcc_lo, exec_lo, s12
	v_and_b32_e32 v48, 0x6000, v2
	s_mul_i32 s14, s8, s9
	s_mul_hi_u32 s15, s8, s8
	s_mul_i32 s2, s8, s8
	s_cbranch_vccnz .LBB159_49
; %bb.14:
	v_add_co_u32 v0, vcc_lo, s24, v12
	v_add_co_ci_u32_e32 v1, vcc_lo, s25, v13, vcc_lo
	s_mov_b32 s24, exec_lo
	global_load_b128 v[0:3], v[0:1], off
	s_waitcnt vmcnt(0)
	v_cmpx_lt_i64_e64 v[0:1], v[2:3]
	s_cbranch_execz .LBB159_48
; %bb.15:
	v_sub_co_u32 v18, vcc_lo, v0, s36
	s_waitcnt lgkmcnt(0)
	s_cmp_lg_u32 s33, 0
	v_subrev_co_ci_u32_e32 v19, vcc_lo, 0, v1, vcc_lo
	s_cselect_b32 s25, -1, 0
	s_add_i32 s0, s15, s14
	v_mad_u64_u32 v[0:1], null, s2, v18, 0
	s_add_i32 s3, s0, s14
	v_mul_lo_u32 v22, s2, v19
	v_mul_lo_u32 v21, s3, v18
	v_dual_mov_b32 v11, 0 :: v_dual_lshlrev_b32 v20, 4, v10
	v_mul_lo_u32 v26, s9, v18
	v_mul_lo_u32 v27, s8, v19
	v_mad_u64_u32 v[24:25], null, s8, v18, 0
	s_delay_alu instid0(VALU_DEP_4)
	v_mov_b32_e32 v9, v11
	v_add3_u32 v1, v1, v22, v21
	v_and_b32_e32 v23, 56, v45
	v_cmp_gt_i64_e32 vcc_lo, s[8:9], v[10:11]
	v_sub_co_u32 v22, s1, v2, s36
	v_add3_u32 v25, v25, v27, v26
	v_cmp_gt_u64_e64 s0, s[8:9], v[8:9]
	v_lshlrev_b64 v[0:1], 4, v[0:1]
	v_lshlrev_b32_e32 v21, 4, v8
	v_lshlrev_b32_e32 v9, 4, v23
	v_subrev_co_ci_u32_e64 v23, s1, 0, v3, s1
	v_lshlrev_b64 v[2:3], 4, v[24:25]
	s_and_b32 s35, vcc_lo, s0
	v_add_co_u32 v0, vcc_lo, v0, v21
	v_add_co_ci_u32_e32 v1, vcc_lo, 0, v1, vcc_lo
	s_delay_alu instid0(VALU_DEP_3) | instskip(NEXT) | instid1(VALU_DEP_4)
	v_add_co_u32 v2, vcc_lo, v2, v21
	v_add_co_ci_u32_e32 v3, vcc_lo, 0, v3, vcc_lo
	s_delay_alu instid0(VALU_DEP_4) | instskip(NEXT) | instid1(VALU_DEP_4)
	v_add_co_u32 v21, vcc_lo, v0, s28
	v_add_co_ci_u32_e32 v25, vcc_lo, s29, v1, vcc_lo
	s_delay_alu instid0(VALU_DEP_3)
	v_mul_lo_u32 v3, s8, v3
	v_mul_lo_u32 v26, s9, v2
	v_mad_u64_u32 v[0:1], null, s8, v2, s[28:29]
	v_add_co_u32 v24, vcc_lo, v21, 8
	s_lshl_b64 s[4:5], s[2:3], 4
	s_lshl_b64 s[10:11], s[8:9], 4
	s_add_u32 s12, s46, 8
	v_add_co_ci_u32_e32 v25, vcc_lo, 0, v25, vcc_lo
	s_delay_alu instid0(VALU_DEP_3)
	v_add3_u32 v1, v26, v1, v3
	s_addc_u32 s13, s47, 0
	v_add_co_u32 v26, s0, s12, v20
	v_add_co_u32 v28, vcc_lo, v0, 8
	v_add3_u32 v9, v48, v20, v9
	v_mov_b32_e32 v21, v11
	v_add_co_ci_u32_e64 v27, null, s13, 0, s0
	v_add_co_ci_u32_e32 v29, vcc_lo, 0, v1, vcc_lo
	s_mov_b32 s3, 0
	s_mov_b32 s28, s37
	s_branch .LBB159_17
.LBB159_16:                             ;   in Loop: Header=BB159_17 Depth=1
	s_or_b32 exec_lo, exec_lo, s29
	v_add_co_u32 v18, vcc_lo, v18, 1
	v_add_co_ci_u32_e32 v19, vcc_lo, 0, v19, vcc_lo
	v_add_co_u32 v24, vcc_lo, v24, s4
	v_add_co_ci_u32_e32 v25, vcc_lo, s5, v25, vcc_lo
	s_delay_alu instid0(VALU_DEP_3) | instskip(SKIP_1) | instid1(VALU_DEP_1)
	v_cmp_ge_i64_e32 vcc_lo, v[18:19], v[22:23]
	v_add_co_u32 v28, s0, v28, s4
	v_add_co_ci_u32_e64 v29, s0, s5, v29, s0
	s_or_b32 s3, vcc_lo, s3
	s_delay_alu instid0(SALU_CYCLE_1)
	s_and_not1_b32 exec_lo, exec_lo, s3
	s_cbranch_execz .LBB159_48
.LBB159_17:                             ; =>This Loop Header: Depth=1
                                        ;     Child Loop BB159_20 Depth 2
                                        ;       Child Loop BB159_27 Depth 3
                                        ;       Child Loop BB159_23 Depth 3
	;; [unrolled: 1-line block ×3, first 2 shown]
                                        ;         Child Loop BB159_36 Depth 4
                                        ;         Child Loop BB159_38 Depth 4
	;; [unrolled: 1-line block ×4, first 2 shown]
	v_lshlrev_b64 v[0:1], 3, v[18:19]
	s_mov_b32 s29, exec_lo
	s_delay_alu instid0(VALU_DEP_1) | instskip(NEXT) | instid1(VALU_DEP_2)
	v_add_co_u32 v0, vcc_lo, s26, v0
	v_add_co_ci_u32_e32 v1, vcc_lo, s27, v1, vcc_lo
	global_load_b64 v[0:1], v[0:1], off
	s_waitcnt vmcnt(0)
	v_sub_co_u32 v0, vcc_lo, v0, s36
	v_subrev_co_ci_u32_e32 v1, vcc_lo, 0, v1, vcc_lo
	s_delay_alu instid0(VALU_DEP_1) | instskip(NEXT) | instid1(VALU_DEP_1)
	v_lshlrev_b64 v[0:1], 3, v[0:1]
	v_add_co_u32 v0, vcc_lo, s30, v0
	s_delay_alu instid0(VALU_DEP_2)
	v_add_co_ci_u32_e32 v1, vcc_lo, s31, v1, vcc_lo
	global_load_b128 v[0:3], v[0:1], off
	s_waitcnt vmcnt(0)
	v_cmpx_lt_i64_e64 v[0:1], v[2:3]
	s_cbranch_execz .LBB159_16
; %bb.18:                               ;   in Loop: Header=BB159_17 Depth=1
	v_sub_co_u32 v0, vcc_lo, v0, s28
	v_subrev_co_ci_u32_e32 v1, vcc_lo, 0, v1, vcc_lo
	v_sub_co_u32 v2, vcc_lo, v2, s28
	s_delay_alu instid0(VALU_DEP_3) | instskip(NEXT) | instid1(VALU_DEP_3)
	v_mul_lo_u32 v30, s11, v0
	v_mul_lo_u32 v11, s10, v1
	v_mad_u64_u32 v[32:33], null, s10, v0, v[20:21]
	v_mul_lo_u32 v34, s4, v1
	v_mul_lo_u32 v35, s5, v0
	v_subrev_co_ci_u32_e32 v3, vcc_lo, 0, v3, vcc_lo
	s_mov_b32 s37, 0
	s_delay_alu instid0(VALU_DEP_4) | instskip(SKIP_3) | instid1(VALU_DEP_4)
	v_add3_u32 v11, v30, v33, v11
	v_mul_lo_u32 v36, s9, v32
	v_mad_u64_u32 v[30:31], null, s8, v32, s[12:13]
	v_mad_u64_u32 v[32:33], null, s4, v0, v[26:27]
	v_mul_lo_u32 v11, s8, v11
	s_delay_alu instid0(VALU_DEP_2) | instskip(NEXT) | instid1(VALU_DEP_2)
	v_add3_u32 v33, v35, v33, v34
	v_add3_u32 v31, v36, v31, v11
	s_branch .LBB159_20
.LBB159_19:                             ;   in Loop: Header=BB159_20 Depth=2
	s_or_b32 exec_lo, exec_lo, s46
	v_add_co_u32 v0, vcc_lo, v0, 1
	v_add_co_ci_u32_e32 v1, vcc_lo, 0, v1, vcc_lo
	v_add_co_u32 v30, vcc_lo, v30, s4
	v_add_co_ci_u32_e32 v31, vcc_lo, s5, v31, vcc_lo
	s_delay_alu instid0(VALU_DEP_3) | instskip(SKIP_1) | instid1(VALU_DEP_1)
	v_cmp_ge_i64_e32 vcc_lo, v[0:1], v[2:3]
	v_add_co_u32 v32, s0, v32, s4
	v_add_co_ci_u32_e64 v33, s0, s5, v33, s0
	s_or_b32 s37, vcc_lo, s37
	s_delay_alu instid0(SALU_CYCLE_1)
	s_and_not1_b32 exec_lo, exec_lo, s37
	s_cbranch_execz .LBB159_16
.LBB159_20:                             ;   Parent Loop BB159_17 Depth=1
                                        ; =>  This Loop Header: Depth=2
                                        ;       Child Loop BB159_27 Depth 3
                                        ;       Child Loop BB159_23 Depth 3
	;; [unrolled: 1-line block ×3, first 2 shown]
                                        ;         Child Loop BB159_36 Depth 4
                                        ;         Child Loop BB159_38 Depth 4
	;; [unrolled: 1-line block ×4, first 2 shown]
	s_and_saveexec_b32 s46, s35
	s_cbranch_execz .LBB159_19
; %bb.21:                               ;   in Loop: Header=BB159_20 Depth=2
	v_lshlrev_b64 v[34:35], 3, v[0:1]
	s_delay_alu instid0(VALU_DEP_1) | instskip(NEXT) | instid1(VALU_DEP_2)
	v_add_co_u32 v34, vcc_lo, s44, v34
	v_add_co_ci_u32_e32 v35, vcc_lo, s45, v35, vcc_lo
	s_and_not1_b32 vcc_lo, exec_lo, s25
	global_load_b64 v[38:39], v[34:35], off
	s_cbranch_vccnz .LBB159_25
; %bb.22:                               ;   in Loop: Header=BB159_20 Depth=2
	v_dual_mov_b32 v36, 0 :: v_dual_mov_b32 v41, v31
	v_dual_mov_b32 v37, 0 :: v_dual_mov_b32 v40, v30
	;; [unrolled: 1-line block ×3, first 2 shown]
	s_delay_alu instid0(VALU_DEP_2)
	v_dual_mov_b32 v34, v36 :: v_dual_mov_b32 v35, v37
	s_mov_b64 s[0:1], s[8:9]
	.p2align	6
.LBB159_23:                             ;   Parent Loop BB159_17 Depth=1
                                        ;     Parent Loop BB159_20 Depth=2
                                        ; =>    This Inner Loop Header: Depth=3
	global_load_b128 v[49:52], v[42:43], off offset:-8
	global_load_b128 v[53:56], v[40:41], off offset:-8
	v_add_co_u32 v42, vcc_lo, v42, s10
	v_add_co_ci_u32_e32 v43, vcc_lo, s11, v43, vcc_lo
	v_add_co_u32 v40, vcc_lo, v40, 16
	v_add_co_ci_u32_e32 v41, vcc_lo, 0, v41, vcc_lo
	s_add_u32 s0, s0, -1
	s_addc_u32 s1, s1, -1
	s_delay_alu instid0(SALU_CYCLE_1) | instskip(SKIP_3) | instid1(VALU_DEP_2)
	s_cmp_lg_u64 s[0:1], 0
	s_waitcnt vmcnt(0)
	v_fma_f64 v[36:37], v[49:50], v[53:54], v[36:37]
	v_fma_f64 v[34:35], v[51:52], v[53:54], v[34:35]
	v_fma_f64 v[36:37], -v[51:52], v[55:56], v[36:37]
	s_delay_alu instid0(VALU_DEP_2)
	v_fma_f64 v[34:35], v[49:50], v[55:56], v[34:35]
	s_cbranch_scc1 .LBB159_23
; %bb.24:                               ;   in Loop: Header=BB159_20 Depth=2
	s_branch .LBB159_28
.LBB159_25:                             ;   in Loop: Header=BB159_20 Depth=2
                                        ; implicit-def: $vgpr36_vgpr37
                                        ; implicit-def: $vgpr34_vgpr35
	s_cbranch_execz .LBB159_28
; %bb.26:                               ;   in Loop: Header=BB159_20 Depth=2
	v_dual_mov_b32 v36, 0 :: v_dual_mov_b32 v41, v29
	v_dual_mov_b32 v37, 0 :: v_dual_mov_b32 v40, v28
	;; [unrolled: 1-line block ×3, first 2 shown]
	s_delay_alu instid0(VALU_DEP_2)
	v_dual_mov_b32 v34, v36 :: v_dual_mov_b32 v35, v37
	s_mov_b64 s[0:1], s[8:9]
	.p2align	6
.LBB159_27:                             ;   Parent Loop BB159_17 Depth=1
                                        ;     Parent Loop BB159_20 Depth=2
                                        ; =>    This Inner Loop Header: Depth=3
	global_load_b128 v[49:52], v[40:41], off offset:-8
	global_load_b128 v[53:56], v[42:43], off offset:-8
	v_add_co_u32 v42, vcc_lo, v42, s10
	v_add_co_ci_u32_e32 v43, vcc_lo, s11, v43, vcc_lo
	v_add_co_u32 v40, vcc_lo, v40, 16
	v_add_co_ci_u32_e32 v41, vcc_lo, 0, v41, vcc_lo
	s_add_u32 s0, s0, -1
	s_addc_u32 s1, s1, -1
	s_delay_alu instid0(SALU_CYCLE_1) | instskip(SKIP_3) | instid1(VALU_DEP_2)
	s_cmp_eq_u64 s[0:1], 0
	s_waitcnt vmcnt(0)
	v_fma_f64 v[36:37], v[49:50], v[53:54], v[36:37]
	v_fma_f64 v[34:35], v[51:52], v[53:54], v[34:35]
	v_fma_f64 v[36:37], -v[51:52], v[55:56], v[36:37]
	s_delay_alu instid0(VALU_DEP_2)
	v_fma_f64 v[34:35], v[49:50], v[55:56], v[34:35]
	s_cbranch_scc0 .LBB159_27
.LBB159_28:                             ;   in Loop: Header=BB159_20 Depth=2
	s_delay_alu instid0(VALU_DEP_1)
	v_mul_f64 v[40:41], v[34:35], -v[16:17]
	v_mul_f64 v[42:43], v[14:15], v[34:35]
	s_waitcnt vmcnt(0)
	v_sub_co_u32 v38, vcc_lo, v38, s28
	v_subrev_co_ci_u32_e32 v39, vcc_lo, 0, v39, vcc_lo
	s_mov_b32 s0, 0
	s_delay_alu instid0(VALU_DEP_2)
	v_and_b32_e32 v11, 7, v38
	v_fma_f64 v[34:35], v[14:15], v[36:37], v[40:41]
	v_fma_f64 v[36:37], v[16:17], v[36:37], v[42:43]
	s_branch .LBB159_30
.LBB159_29:                             ;   in Loop: Header=BB159_30 Depth=3
	s_or_b32 exec_lo, exec_lo, s1
	s_xor_b32 s1, s47, -1
	s_delay_alu instid0(SALU_CYCLE_1) | instskip(NEXT) | instid1(SALU_CYCLE_1)
	s_and_b32 s1, exec_lo, s1
	s_or_b32 s0, s1, s0
	s_delay_alu instid0(SALU_CYCLE_1)
	s_and_not1_b32 exec_lo, exec_lo, s0
	s_cbranch_execz .LBB159_19
.LBB159_30:                             ;   Parent Loop BB159_17 Depth=1
                                        ;     Parent Loop BB159_20 Depth=2
                                        ; =>    This Loop Header: Depth=3
                                        ;         Child Loop BB159_36 Depth 4
                                        ;         Child Loop BB159_38 Depth 4
	;; [unrolled: 1-line block ×4, first 2 shown]
	s_delay_alu instid0(VALU_DEP_3)
	v_lshl_add_u32 v42, v11, 3, v44
	s_mov_b32 s1, exec_lo
                                        ; implicit-def: $sgpr47
	ds_load_b64 v[40:41], v42
	s_waitcnt lgkmcnt(0)
	v_cmpx_ne_u64_e64 v[40:41], v[38:39]
	s_xor_b32 s1, exec_lo, s1
	s_cbranch_execz .LBB159_42
; %bb.31:                               ;   in Loop: Header=BB159_30 Depth=3
	s_mov_b32 s48, exec_lo
                                        ; implicit-def: $sgpr47
	v_cmpx_ne_u64_e64 s[6:7], v[40:41]
	s_xor_b32 s48, exec_lo, s48
; %bb.32:                               ;   in Loop: Header=BB159_30 Depth=3
	v_add_nc_u32_e32 v11, 1, v11
	s_mov_b32 s47, -1
                                        ; implicit-def: $vgpr42
	s_delay_alu instid0(VALU_DEP_1)
	v_and_b32_e32 v11, 7, v11
; %bb.33:                               ;   in Loop: Header=BB159_30 Depth=3
	s_and_not1_saveexec_b32 s48, s48
	s_cbranch_execz .LBB159_41
; %bb.34:                               ;   in Loop: Header=BB159_30 Depth=3
	v_dual_mov_b32 v41, s7 :: v_dual_mov_b32 v40, s6
	s_mov_b32 s50, -1
	s_mov_b32 s49, exec_lo
	ds_cmpstore_rtn_b64 v[40:41], v42, v[38:39], v[40:41]
	s_waitcnt lgkmcnt(0)
	v_cmpx_eq_u64_e64 s[6:7], v[40:41]
	s_cbranch_execz .LBB159_40
; %bb.35:                               ;   in Loop: Header=BB159_30 Depth=3
	v_lshlrev_b32_e32 v40, 10, v11
	s_mov_b32 s50, 0
	s_delay_alu instid0(VALU_DEP_1)
	v_add_nc_u32_e32 v42, v9, v40
	ds_load_b64 v[40:41], v42
.LBB159_36:                             ;   Parent Loop BB159_17 Depth=1
                                        ;     Parent Loop BB159_20 Depth=2
                                        ;       Parent Loop BB159_30 Depth=3
                                        ; =>      This Inner Loop Header: Depth=4
	s_waitcnt lgkmcnt(0)
	v_add_f64 v[49:50], v[40:41], v[34:35]
	ds_cmpstore_rtn_b64 v[49:50], v42, v[49:50], v[40:41]
	s_waitcnt lgkmcnt(0)
	v_cmp_eq_u64_e32 vcc_lo, v[49:50], v[40:41]
	v_dual_mov_b32 v40, v49 :: v_dual_mov_b32 v41, v50
	s_or_b32 s50, vcc_lo, s50
	s_delay_alu instid0(SALU_CYCLE_1)
	s_and_not1_b32 exec_lo, exec_lo, s50
	s_cbranch_execnz .LBB159_36
; %bb.37:                               ;   in Loop: Header=BB159_30 Depth=3
	s_or_b32 exec_lo, exec_lo, s50
	ds_load_b64 v[40:41], v42 offset:8
	s_mov_b32 s50, 0
.LBB159_38:                             ;   Parent Loop BB159_17 Depth=1
                                        ;     Parent Loop BB159_20 Depth=2
                                        ;       Parent Loop BB159_30 Depth=3
                                        ; =>      This Inner Loop Header: Depth=4
	s_waitcnt lgkmcnt(0)
	v_add_f64 v[49:50], v[40:41], v[36:37]
	ds_cmpstore_rtn_b64 v[49:50], v42, v[49:50], v[40:41] offset:8
	s_waitcnt lgkmcnt(0)
	v_cmp_eq_u64_e32 vcc_lo, v[49:50], v[40:41]
	v_dual_mov_b32 v40, v49 :: v_dual_mov_b32 v41, v50
	s_or_b32 s50, vcc_lo, s50
	s_delay_alu instid0(SALU_CYCLE_1)
	s_and_not1_b32 exec_lo, exec_lo, s50
	s_cbranch_execnz .LBB159_38
; %bb.39:                               ;   in Loop: Header=BB159_30 Depth=3
	s_or_b32 exec_lo, exec_lo, s50
	s_delay_alu instid0(SALU_CYCLE_1)
	s_xor_b32 s50, exec_lo, -1
.LBB159_40:                             ;   in Loop: Header=BB159_30 Depth=3
	s_or_b32 exec_lo, exec_lo, s49
	s_delay_alu instid0(SALU_CYCLE_1) | instskip(SKIP_1) | instid1(SALU_CYCLE_1)
	s_and_not1_b32 s47, s47, exec_lo
	s_and_b32 s49, s50, exec_lo
	s_or_b32 s47, s47, s49
.LBB159_41:                             ;   in Loop: Header=BB159_30 Depth=3
	s_or_b32 exec_lo, exec_lo, s48
	s_delay_alu instid0(SALU_CYCLE_1)
	s_and_b32 s47, s47, exec_lo
.LBB159_42:                             ;   in Loop: Header=BB159_30 Depth=3
	s_and_not1_saveexec_b32 s1, s1
	s_cbranch_execz .LBB159_29
; %bb.43:                               ;   in Loop: Header=BB159_30 Depth=3
	v_lshlrev_b32_e32 v40, 10, v11
	s_mov_b32 s48, 0
	s_delay_alu instid0(VALU_DEP_1)
	v_add_nc_u32_e32 v42, v9, v40
	ds_load_b64 v[40:41], v42
.LBB159_44:                             ;   Parent Loop BB159_17 Depth=1
                                        ;     Parent Loop BB159_20 Depth=2
                                        ;       Parent Loop BB159_30 Depth=3
                                        ; =>      This Inner Loop Header: Depth=4
	s_waitcnt lgkmcnt(0)
	v_add_f64 v[49:50], v[40:41], v[34:35]
	ds_cmpstore_rtn_b64 v[49:50], v42, v[49:50], v[40:41]
	s_waitcnt lgkmcnt(0)
	v_cmp_eq_u64_e32 vcc_lo, v[49:50], v[40:41]
	v_dual_mov_b32 v40, v49 :: v_dual_mov_b32 v41, v50
	s_or_b32 s48, vcc_lo, s48
	s_delay_alu instid0(SALU_CYCLE_1)
	s_and_not1_b32 exec_lo, exec_lo, s48
	s_cbranch_execnz .LBB159_44
; %bb.45:                               ;   in Loop: Header=BB159_30 Depth=3
	s_or_b32 exec_lo, exec_lo, s48
	ds_load_b64 v[40:41], v42 offset:8
	s_mov_b32 s48, 0
.LBB159_46:                             ;   Parent Loop BB159_17 Depth=1
                                        ;     Parent Loop BB159_20 Depth=2
                                        ;       Parent Loop BB159_30 Depth=3
                                        ; =>      This Inner Loop Header: Depth=4
	s_waitcnt lgkmcnt(0)
	v_add_f64 v[49:50], v[40:41], v[36:37]
	ds_cmpstore_rtn_b64 v[49:50], v42, v[49:50], v[40:41] offset:8
	s_waitcnt lgkmcnt(0)
	v_cmp_eq_u64_e32 vcc_lo, v[49:50], v[40:41]
	v_dual_mov_b32 v40, v49 :: v_dual_mov_b32 v41, v50
	s_or_b32 s48, vcc_lo, s48
	s_delay_alu instid0(SALU_CYCLE_1)
	s_and_not1_b32 exec_lo, exec_lo, s48
	s_cbranch_execnz .LBB159_46
; %bb.47:                               ;   in Loop: Header=BB159_30 Depth=3
	s_or_b32 exec_lo, exec_lo, s48
	s_delay_alu instid0(SALU_CYCLE_1)
	s_and_not1_b32 s47, s47, exec_lo
	s_branch .LBB159_29
.LBB159_48:
	s_or_b32 exec_lo, exec_lo, s24
.LBB159_49:
	s_delay_alu instid0(SALU_CYCLE_1)
	s_and_not1_b32 vcc_lo, exec_lo, s34
	s_waitcnt lgkmcnt(0)
	s_barrier
	buffer_gl0_inv
	s_cbranch_vccnz .LBB159_75
; %bb.50:
	v_add_co_u32 v0, vcc_lo, s16, v12
	v_add_co_ci_u32_e32 v1, vcc_lo, s17, v13, vcc_lo
	s_mov_b32 s3, exec_lo
	global_load_b128 v[0:3], v[0:1], off
	s_waitcnt vmcnt(0)
	v_cmpx_lt_i64_e64 v[0:1], v[2:3]
	s_cbranch_execz .LBB159_74
; %bb.51:
	v_mad_u64_u32 v[14:15], null, v10, s8, 0
	v_mad_u64_u32 v[16:17], null, v8, s8, 0
	v_mov_b32_e32 v11, 0
	v_sub_co_u32 v2, vcc_lo, v2, s39
	v_subrev_co_ci_u32_e32 v3, vcc_lo, 0, v3, vcc_lo
	v_dual_mov_b32 v9, v15 :: v_dual_lshlrev_b32 v20, 4, v10
	v_sub_co_u32 v0, vcc_lo, v0, s39
	v_subrev_co_ci_u32_e32 v1, vcc_lo, 0, v1, vcc_lo
	s_delay_alu instid0(VALU_DEP_3)
	v_mad_u64_u32 v[18:19], null, v10, s9, v[9:10]
	v_mov_b32_e32 v9, v17
	v_cmp_gt_i64_e32 vcc_lo, s[8:9], v[10:11]
	v_and_b32_e32 v21, 56, v45
	s_cmp_eq_u32 s33, 0
	s_mov_b32 s4, 0
	s_cselect_b32 s1, -1, 0
	s_delay_alu instid0(VALU_DEP_4) | instskip(SKIP_3) | instid1(VALU_DEP_3)
	v_mov_b32_e32 v15, v18
	v_mad_u64_u32 v[17:18], null, v8, s9, v[9:10]
	v_mov_b32_e32 v9, v11
	s_add_i32 s5, s15, s14
	v_lshlrev_b64 v[14:15], 4, v[14:15]
	s_add_i32 s5, s5, s14
	s_delay_alu instid0(VALU_DEP_2) | instskip(NEXT) | instid1(VALU_DEP_2)
	v_lshlrev_b64 v[18:19], 4, v[8:9]
	v_add_co_u32 v11, s0, s20, v14
	s_delay_alu instid0(VALU_DEP_1) | instskip(SKIP_1) | instid1(VALU_DEP_3)
	v_add_co_ci_u32_e64 v22, s0, s21, v15, s0
	v_lshlrev_b64 v[14:15], 4, v[16:17]
	v_add_co_u32 v16, s0, v11, v18
	s_delay_alu instid0(VALU_DEP_1) | instskip(SKIP_1) | instid1(VALU_DEP_4)
	v_add_co_ci_u32_e64 v11, s0, v22, v19, s0
	v_lshlrev_b32_e32 v17, 4, v21
	v_add_co_u32 v14, s0, s20, v14
	s_delay_alu instid0(VALU_DEP_1) | instskip(NEXT) | instid1(VALU_DEP_2)
	v_add_co_ci_u32_e64 v15, s0, s21, v15, s0
	v_add_co_u32 v14, s0, v14, v20
	s_delay_alu instid0(VALU_DEP_1) | instskip(SKIP_2) | instid1(VALU_DEP_4)
	v_add_co_ci_u32_e64 v15, s0, 0, v15, s0
	v_cmp_gt_u64_e64 s0, s[8:9], v[8:9]
	v_add3_u32 v9, v48, v20, v17
	v_cndmask_b32_e64 v22, v16, v14, s1
	s_delay_alu instid0(VALU_DEP_4) | instskip(SKIP_1) | instid1(VALU_DEP_4)
	v_cndmask_b32_e64 v11, v11, v15, s1
	s_mov_b32 s1, s39
	s_and_b32 s0, vcc_lo, s0
	s_branch .LBB159_53
.LBB159_52:                             ;   in Loop: Header=BB159_53 Depth=1
	s_or_b32 exec_lo, exec_lo, s10
	v_add_co_u32 v0, vcc_lo, v0, 1
	v_add_co_ci_u32_e32 v1, vcc_lo, 0, v1, vcc_lo
	s_delay_alu instid0(VALU_DEP_1) | instskip(SKIP_1) | instid1(SALU_CYCLE_1)
	v_cmp_ge_i64_e32 vcc_lo, v[0:1], v[2:3]
	s_or_b32 s4, vcc_lo, s4
	s_and_not1_b32 exec_lo, exec_lo, s4
	s_cbranch_execz .LBB159_74
.LBB159_53:                             ; =>This Loop Header: Depth=1
                                        ;     Child Loop BB159_56 Depth 2
                                        ;       Child Loop BB159_62 Depth 3
                                        ;       Child Loop BB159_64 Depth 3
	;; [unrolled: 1-line block ×4, first 2 shown]
	s_and_saveexec_b32 s10, s0
	s_cbranch_execz .LBB159_52
; %bb.54:                               ;   in Loop: Header=BB159_53 Depth=1
	v_mul_lo_u32 v16, s5, v0
	v_mul_lo_u32 v17, s2, v1
	v_mad_u64_u32 v[14:15], null, s2, v0, 0
	s_mov_b32 s11, 0
	s_delay_alu instid0(VALU_DEP_1) | instskip(NEXT) | instid1(VALU_DEP_1)
	v_add3_u32 v15, v15, v17, v16
	v_lshlrev_b64 v[14:15], 4, v[14:15]
	s_delay_alu instid0(VALU_DEP_1) | instskip(NEXT) | instid1(VALU_DEP_2)
	v_add_co_u32 v14, vcc_lo, v22, v14
	v_add_co_ci_u32_e32 v15, vcc_lo, v11, v15, vcc_lo
	global_load_b128 v[16:19], v[14:15], off
	v_lshlrev_b64 v[14:15], 3, v[0:1]
	s_delay_alu instid0(VALU_DEP_1) | instskip(NEXT) | instid1(VALU_DEP_2)
	v_add_co_u32 v14, vcc_lo, s18, v14
	v_add_co_ci_u32_e32 v15, vcc_lo, s19, v15, vcc_lo
	global_load_b64 v[20:21], v[14:15], off
	s_waitcnt vmcnt(1)
	v_mul_f64 v[14:15], v[18:19], -v[4:5]
	v_mul_f64 v[18:19], v[6:7], v[18:19]
	s_delay_alu instid0(VALU_DEP_2) | instskip(NEXT) | instid1(VALU_DEP_2)
	v_fma_f64 v[14:15], v[6:7], v[16:17], v[14:15]
	v_fma_f64 v[16:17], v[4:5], v[16:17], v[18:19]
	s_waitcnt vmcnt(0)
	v_sub_co_u32 v18, vcc_lo, v20, s1
	v_subrev_co_ci_u32_e32 v19, vcc_lo, 0, v21, vcc_lo
	s_delay_alu instid0(VALU_DEP_2)
	v_and_b32_e32 v23, 7, v18
	s_branch .LBB159_56
.LBB159_55:                             ;   in Loop: Header=BB159_56 Depth=2
	s_or_b32 exec_lo, exec_lo, s12
	s_xor_b32 s12, s13, -1
	s_delay_alu instid0(SALU_CYCLE_1) | instskip(NEXT) | instid1(SALU_CYCLE_1)
	s_and_b32 s12, exec_lo, s12
	s_or_b32 s11, s12, s11
	s_delay_alu instid0(SALU_CYCLE_1)
	s_and_not1_b32 exec_lo, exec_lo, s11
	s_cbranch_execz .LBB159_52
.LBB159_56:                             ;   Parent Loop BB159_53 Depth=1
                                        ; =>  This Loop Header: Depth=2
                                        ;       Child Loop BB159_62 Depth 3
                                        ;       Child Loop BB159_64 Depth 3
	;; [unrolled: 1-line block ×4, first 2 shown]
	s_delay_alu instid0(VALU_DEP_1)
	v_lshl_add_u32 v24, v23, 3, v44
	s_mov_b32 s12, exec_lo
                                        ; implicit-def: $sgpr13
	ds_load_b64 v[20:21], v24
	s_waitcnt lgkmcnt(0)
	v_cmpx_ne_u64_e64 v[20:21], v[18:19]
	s_xor_b32 s12, exec_lo, s12
	s_cbranch_execz .LBB159_68
; %bb.57:                               ;   in Loop: Header=BB159_56 Depth=2
	s_mov_b32 s16, exec_lo
                                        ; implicit-def: $sgpr13
	v_cmpx_ne_u64_e64 s[6:7], v[20:21]
	s_xor_b32 s16, exec_lo, s16
; %bb.58:                               ;   in Loop: Header=BB159_56 Depth=2
	v_add_nc_u32_e32 v20, 1, v23
	s_mov_b32 s13, -1
                                        ; implicit-def: $vgpr24
	s_delay_alu instid0(VALU_DEP_1)
	v_and_b32_e32 v23, 7, v20
; %bb.59:                               ;   in Loop: Header=BB159_56 Depth=2
	s_and_not1_saveexec_b32 s16, s16
	s_cbranch_execz .LBB159_67
; %bb.60:                               ;   in Loop: Header=BB159_56 Depth=2
	v_dual_mov_b32 v21, s7 :: v_dual_mov_b32 v20, s6
	s_mov_b32 s20, -1
	s_mov_b32 s17, exec_lo
	ds_cmpstore_rtn_b64 v[20:21], v24, v[18:19], v[20:21]
	s_waitcnt lgkmcnt(0)
	v_cmpx_eq_u64_e64 s[6:7], v[20:21]
	s_cbranch_execz .LBB159_66
; %bb.61:                               ;   in Loop: Header=BB159_56 Depth=2
	v_lshlrev_b32_e32 v20, 10, v23
	s_mov_b32 s20, 0
	s_delay_alu instid0(VALU_DEP_1)
	v_add_nc_u32_e32 v24, v9, v20
	ds_load_b64 v[20:21], v24
.LBB159_62:                             ;   Parent Loop BB159_53 Depth=1
                                        ;     Parent Loop BB159_56 Depth=2
                                        ; =>    This Inner Loop Header: Depth=3
	s_waitcnt lgkmcnt(0)
	v_add_f64 v[25:26], v[20:21], v[14:15]
	ds_cmpstore_rtn_b64 v[25:26], v24, v[25:26], v[20:21]
	s_waitcnt lgkmcnt(0)
	v_cmp_eq_u64_e32 vcc_lo, v[25:26], v[20:21]
	v_dual_mov_b32 v20, v25 :: v_dual_mov_b32 v21, v26
	s_or_b32 s20, vcc_lo, s20
	s_delay_alu instid0(SALU_CYCLE_1)
	s_and_not1_b32 exec_lo, exec_lo, s20
	s_cbranch_execnz .LBB159_62
; %bb.63:                               ;   in Loop: Header=BB159_56 Depth=2
	s_or_b32 exec_lo, exec_lo, s20
	ds_load_b64 v[20:21], v24 offset:8
	s_mov_b32 s20, 0
.LBB159_64:                             ;   Parent Loop BB159_53 Depth=1
                                        ;     Parent Loop BB159_56 Depth=2
                                        ; =>    This Inner Loop Header: Depth=3
	s_waitcnt lgkmcnt(0)
	v_add_f64 v[25:26], v[20:21], v[16:17]
	ds_cmpstore_rtn_b64 v[25:26], v24, v[25:26], v[20:21] offset:8
	s_waitcnt lgkmcnt(0)
	v_cmp_eq_u64_e32 vcc_lo, v[25:26], v[20:21]
	v_dual_mov_b32 v20, v25 :: v_dual_mov_b32 v21, v26
	s_or_b32 s20, vcc_lo, s20
	s_delay_alu instid0(SALU_CYCLE_1)
	s_and_not1_b32 exec_lo, exec_lo, s20
	s_cbranch_execnz .LBB159_64
; %bb.65:                               ;   in Loop: Header=BB159_56 Depth=2
	s_or_b32 exec_lo, exec_lo, s20
	s_delay_alu instid0(SALU_CYCLE_1)
	s_xor_b32 s20, exec_lo, -1
.LBB159_66:                             ;   in Loop: Header=BB159_56 Depth=2
	s_or_b32 exec_lo, exec_lo, s17
	s_delay_alu instid0(SALU_CYCLE_1) | instskip(SKIP_1) | instid1(SALU_CYCLE_1)
	s_and_not1_b32 s13, s13, exec_lo
	s_and_b32 s17, s20, exec_lo
	s_or_b32 s13, s13, s17
.LBB159_67:                             ;   in Loop: Header=BB159_56 Depth=2
	s_or_b32 exec_lo, exec_lo, s16
	s_delay_alu instid0(SALU_CYCLE_1)
	s_and_b32 s13, s13, exec_lo
.LBB159_68:                             ;   in Loop: Header=BB159_56 Depth=2
	s_and_not1_saveexec_b32 s12, s12
	s_cbranch_execz .LBB159_55
; %bb.69:                               ;   in Loop: Header=BB159_56 Depth=2
	v_lshlrev_b32_e32 v20, 10, v23
	s_mov_b32 s16, 0
	s_delay_alu instid0(VALU_DEP_1)
	v_add_nc_u32_e32 v24, v9, v20
	ds_load_b64 v[20:21], v24
.LBB159_70:                             ;   Parent Loop BB159_53 Depth=1
                                        ;     Parent Loop BB159_56 Depth=2
                                        ; =>    This Inner Loop Header: Depth=3
	s_waitcnt lgkmcnt(0)
	v_add_f64 v[25:26], v[20:21], v[14:15]
	ds_cmpstore_rtn_b64 v[25:26], v24, v[25:26], v[20:21]
	s_waitcnt lgkmcnt(0)
	v_cmp_eq_u64_e32 vcc_lo, v[25:26], v[20:21]
	v_dual_mov_b32 v20, v25 :: v_dual_mov_b32 v21, v26
	s_or_b32 s16, vcc_lo, s16
	s_delay_alu instid0(SALU_CYCLE_1)
	s_and_not1_b32 exec_lo, exec_lo, s16
	s_cbranch_execnz .LBB159_70
; %bb.71:                               ;   in Loop: Header=BB159_56 Depth=2
	s_or_b32 exec_lo, exec_lo, s16
	ds_load_b64 v[20:21], v24 offset:8
	s_mov_b32 s16, 0
.LBB159_72:                             ;   Parent Loop BB159_53 Depth=1
                                        ;     Parent Loop BB159_56 Depth=2
                                        ; =>    This Inner Loop Header: Depth=3
	s_waitcnt lgkmcnt(0)
	v_add_f64 v[25:26], v[20:21], v[16:17]
	ds_cmpstore_rtn_b64 v[25:26], v24, v[25:26], v[20:21] offset:8
	s_waitcnt lgkmcnt(0)
	v_cmp_eq_u64_e32 vcc_lo, v[25:26], v[20:21]
	v_dual_mov_b32 v20, v25 :: v_dual_mov_b32 v21, v26
	s_or_b32 s16, vcc_lo, s16
	s_delay_alu instid0(SALU_CYCLE_1)
	s_and_not1_b32 exec_lo, exec_lo, s16
	s_cbranch_execnz .LBB159_72
; %bb.73:                               ;   in Loop: Header=BB159_56 Depth=2
	s_or_b32 exec_lo, exec_lo, s16
	s_delay_alu instid0(SALU_CYCLE_1)
	s_and_not1_b32 s13, s13, exec_lo
	s_branch .LBB159_55
.LBB159_74:
	s_or_b32 exec_lo, exec_lo, s3
.LBB159_75:
	v_add_co_u32 v0, vcc_lo, s22, v12
	v_add_co_ci_u32_e32 v1, vcc_lo, s23, v13, vcc_lo
	s_barrier
	buffer_gl0_inv
	global_load_b64 v[0:1], v[0:1], off
	v_mad_u64_u32 v[2:3], null, v8, s8, 0
	s_cmp_eq_u32 s33, 0
	v_dual_mov_b32 v11, 0 :: v_dual_and_b32 v6, 56, v45
	s_cselect_b32 vcc_lo, -1, 0
	v_lshlrev_b32_e32 v7, 4, v10
	s_add_i32 s3, s15, s14
	s_delay_alu instid0(VALU_DEP_3) | instskip(SKIP_3) | instid1(VALU_DEP_2)
	v_mad_u64_u32 v[4:5], null, v8, s9, v[3:4]
	v_lshlrev_b32_e32 v5, 3, v10
	v_mov_b32_e32 v9, v11
	s_add_i32 s3, s3, s14
	v_dual_mov_b32 v3, v4 :: v_dual_cndmask_b32 v4, v5, v6
	v_cndmask_b32_e32 v5, v8, v10, vcc_lo
	v_cmp_gt_i64_e32 vcc_lo, s[8:9], v[10:11]
	v_cmp_gt_u64_e64 s0, s[8:9], v[8:9]
	s_delay_alu instid0(VALU_DEP_4) | instskip(SKIP_2) | instid1(VALU_DEP_4)
	v_lshlrev_b64 v[2:3], 4, v[2:3]
	v_lshl_or_b32 v9, v46, 6, 0x8000
	v_or_b32_e32 v4, v5, v4
	s_and_b32 s0, vcc_lo, s0
	s_delay_alu instid0(VALU_DEP_3) | instskip(NEXT) | instid1(VALU_DEP_1)
	v_add_co_u32 v2, s1, s42, v2
	v_add_co_ci_u32_e64 v3, s1, s43, v3, s1
	s_delay_alu instid0(VALU_DEP_3) | instskip(NEXT) | instid1(VALU_DEP_3)
	v_lshl_add_u32 v4, v4, 4, v47
	v_add_co_u32 v5, s1, v2, v7
	s_delay_alu instid0(VALU_DEP_1) | instskip(SKIP_2) | instid1(VALU_DEP_1)
	v_add_co_ci_u32_e64 v6, s1, 0, v3, s1
	s_waitcnt vmcnt(0)
	v_sub_co_u32 v7, s1, v0, s38
	v_subrev_co_ci_u32_e64 v8, s1, 0, v1, s1
	s_mov_b32 s1, 0
	s_branch .LBB159_77
.LBB159_76:                             ;   in Loop: Header=BB159_77 Depth=1
	s_or_b32 exec_lo, exec_lo, s4
	v_add_nc_u32_e32 v4, 0x400, v4
	s_add_i32 s1, s1, 8
	s_delay_alu instid0(SALU_CYCLE_1)
	s_cmp_lg_u32 s1, 64
	s_cbranch_scc0 .LBB159_80
.LBB159_77:                             ; =>This Inner Loop Header: Depth=1
	v_add_nc_u32_e32 v0, s1, v9
	s_mov_b32 s4, exec_lo
	ds_load_b64 v[0:1], v0
	s_waitcnt lgkmcnt(0)
	v_cmpx_gt_i64_e64 s[6:7], v[0:1]
	s_cbranch_execz .LBB159_76
; %bb.78:                               ;   in Loop: Header=BB159_77 Depth=1
	ds_load_b128 v[10:13], v44
	ds_load_b128 v[14:17], v44 offset:16
	ds_load_b128 v[18:21], v44 offset:32
	ds_load_b128 v[22:25], v44 offset:48
	s_waitcnt lgkmcnt(3)
	v_cmp_gt_i64_e32 vcc_lo, v[0:1], v[10:11]
	v_cndmask_b32_e64 v2, 0, 1, vcc_lo
	v_cmp_gt_i64_e32 vcc_lo, v[0:1], v[12:13]
	v_cndmask_b32_e64 v3, 0, 1, vcc_lo
	s_delay_alu instid0(VALU_DEP_3)
	v_add_co_u32 v2, vcc_lo, v7, v2
	v_add_co_ci_u32_e32 v10, vcc_lo, 0, v8, vcc_lo
	s_waitcnt lgkmcnt(2)
	v_cmp_gt_i64_e32 vcc_lo, v[0:1], v[14:15]
	v_cndmask_b32_e64 v11, 0, 1, vcc_lo
	v_add_co_u32 v2, vcc_lo, v2, v3
	v_add_co_ci_u32_e32 v3, vcc_lo, 0, v10, vcc_lo
	v_cmp_gt_i64_e32 vcc_lo, v[0:1], v[16:17]
	v_cndmask_b32_e64 v10, 0, 1, vcc_lo
	s_delay_alu instid0(VALU_DEP_4) | instskip(NEXT) | instid1(VALU_DEP_4)
	v_add_co_u32 v2, vcc_lo, v2, v11
	v_add_co_ci_u32_e32 v3, vcc_lo, 0, v3, vcc_lo
	s_waitcnt lgkmcnt(1)
	v_cmp_gt_i64_e32 vcc_lo, v[0:1], v[18:19]
	v_cndmask_b32_e64 v11, 0, 1, vcc_lo
	v_add_co_u32 v2, vcc_lo, v2, v10
	v_add_co_ci_u32_e32 v3, vcc_lo, 0, v3, vcc_lo
	v_cmp_gt_i64_e32 vcc_lo, v[0:1], v[20:21]
	v_cndmask_b32_e64 v10, 0, 1, vcc_lo
	s_delay_alu instid0(VALU_DEP_4) | instskip(NEXT) | instid1(VALU_DEP_4)
	;; [unrolled: 10-line block ×3, first 2 shown]
	v_add_co_u32 v2, vcc_lo, v2, v11
	v_add_co_ci_u32_e32 v3, vcc_lo, 0, v3, vcc_lo
	s_delay_alu instid0(VALU_DEP_2) | instskip(NEXT) | instid1(VALU_DEP_2)
	v_add_co_u32 v2, vcc_lo, v2, v10
	v_add_co_ci_u32_e32 v3, vcc_lo, 0, v3, vcc_lo
	v_add_co_u32 v0, vcc_lo, v0, s38
	v_add_co_ci_u32_e32 v1, vcc_lo, 0, v1, vcc_lo
	s_delay_alu instid0(VALU_DEP_3) | instskip(NEXT) | instid1(VALU_DEP_1)
	v_lshlrev_b64 v[10:11], 3, v[2:3]
	v_add_co_u32 v10, vcc_lo, s40, v10
	s_delay_alu instid0(VALU_DEP_2)
	v_add_co_ci_u32_e32 v11, vcc_lo, s41, v11, vcc_lo
	global_store_b64 v[10:11], v[0:1], off
	s_and_b32 exec_lo, exec_lo, s0
	s_cbranch_execz .LBB159_76
; %bb.79:                               ;   in Loop: Header=BB159_77 Depth=1
	v_mul_lo_u32 v12, s3, v2
	v_mul_lo_u32 v13, s2, v3
	v_mad_u64_u32 v[10:11], null, s2, v2, 0
	ds_load_2addr_b64 v[0:3], v4 offset1:1
	v_add3_u32 v11, v11, v13, v12
	s_delay_alu instid0(VALU_DEP_1) | instskip(NEXT) | instid1(VALU_DEP_1)
	v_lshlrev_b64 v[10:11], 4, v[10:11]
	v_add_co_u32 v10, vcc_lo, v5, v10
	s_delay_alu instid0(VALU_DEP_2)
	v_add_co_ci_u32_e32 v11, vcc_lo, v6, v11, vcc_lo
	s_waitcnt lgkmcnt(0)
	global_store_b128 v[10:11], v[0:3], off
	s_branch .LBB159_76
.LBB159_80:
	s_nop 0
	s_sendmsg sendmsg(MSG_DEALLOC_VGPRS)
	s_endpgm
	.section	.rodata,"a",@progbits
	.p2align	6, 0x0
	.amdhsa_kernel _ZN9rocsparseL23bsrgemm_fill_wf_per_rowILj256ELj64ELj8ELj137ELj8Ell21rocsparse_complex_numIdEEEv20rocsparse_direction_T5_S4_S4_PKS4_S6_NS_24const_host_device_scalarIT6_EEPKT4_S6_PKS8_SC_S6_SE_S9_SC_S6_SE_SC_PS4_PS8_21rocsparse_index_base_SH_SH_SH_bbb
		.amdhsa_group_segment_fixed_size 37120
		.amdhsa_private_segment_fixed_size 0
		.amdhsa_kernarg_size 196
		.amdhsa_user_sgpr_count 15
		.amdhsa_user_sgpr_dispatch_ptr 1
		.amdhsa_user_sgpr_queue_ptr 0
		.amdhsa_user_sgpr_kernarg_segment_ptr 1
		.amdhsa_user_sgpr_dispatch_id 0
		.amdhsa_user_sgpr_private_segment_size 0
		.amdhsa_wavefront_size32 1
		.amdhsa_uses_dynamic_stack 0
		.amdhsa_enable_private_segment 0
		.amdhsa_system_sgpr_workgroup_id_x 1
		.amdhsa_system_sgpr_workgroup_id_y 0
		.amdhsa_system_sgpr_workgroup_id_z 0
		.amdhsa_system_sgpr_workgroup_info 0
		.amdhsa_system_vgpr_workitem_id 2
		.amdhsa_next_free_vgpr 57
		.amdhsa_next_free_sgpr 51
		.amdhsa_reserve_vcc 1
		.amdhsa_float_round_mode_32 0
		.amdhsa_float_round_mode_16_64 0
		.amdhsa_float_denorm_mode_32 3
		.amdhsa_float_denorm_mode_16_64 3
		.amdhsa_dx10_clamp 1
		.amdhsa_ieee_mode 1
		.amdhsa_fp16_overflow 0
		.amdhsa_workgroup_processor_mode 1
		.amdhsa_memory_ordered 1
		.amdhsa_forward_progress 0
		.amdhsa_shared_vgpr_count 0
		.amdhsa_exception_fp_ieee_invalid_op 0
		.amdhsa_exception_fp_denorm_src 0
		.amdhsa_exception_fp_ieee_div_zero 0
		.amdhsa_exception_fp_ieee_overflow 0
		.amdhsa_exception_fp_ieee_underflow 0
		.amdhsa_exception_fp_ieee_inexact 0
		.amdhsa_exception_int_div_zero 0
	.end_amdhsa_kernel
	.section	.text._ZN9rocsparseL23bsrgemm_fill_wf_per_rowILj256ELj64ELj8ELj137ELj8Ell21rocsparse_complex_numIdEEEv20rocsparse_direction_T5_S4_S4_PKS4_S6_NS_24const_host_device_scalarIT6_EEPKT4_S6_PKS8_SC_S6_SE_S9_SC_S6_SE_SC_PS4_PS8_21rocsparse_index_base_SH_SH_SH_bbb,"axG",@progbits,_ZN9rocsparseL23bsrgemm_fill_wf_per_rowILj256ELj64ELj8ELj137ELj8Ell21rocsparse_complex_numIdEEEv20rocsparse_direction_T5_S4_S4_PKS4_S6_NS_24const_host_device_scalarIT6_EEPKT4_S6_PKS8_SC_S6_SE_S9_SC_S6_SE_SC_PS4_PS8_21rocsparse_index_base_SH_SH_SH_bbb,comdat
.Lfunc_end159:
	.size	_ZN9rocsparseL23bsrgemm_fill_wf_per_rowILj256ELj64ELj8ELj137ELj8Ell21rocsparse_complex_numIdEEEv20rocsparse_direction_T5_S4_S4_PKS4_S6_NS_24const_host_device_scalarIT6_EEPKT4_S6_PKS8_SC_S6_SE_S9_SC_S6_SE_SC_PS4_PS8_21rocsparse_index_base_SH_SH_SH_bbb, .Lfunc_end159-_ZN9rocsparseL23bsrgemm_fill_wf_per_rowILj256ELj64ELj8ELj137ELj8Ell21rocsparse_complex_numIdEEEv20rocsparse_direction_T5_S4_S4_PKS4_S6_NS_24const_host_device_scalarIT6_EEPKT4_S6_PKS8_SC_S6_SE_S9_SC_S6_SE_SC_PS4_PS8_21rocsparse_index_base_SH_SH_SH_bbb
                                        ; -- End function
	.section	.AMDGPU.csdata,"",@progbits
; Kernel info:
; codeLenInByte = 4232
; NumSgprs: 53
; NumVgprs: 57
; ScratchSize: 0
; MemoryBound: 0
; FloatMode: 240
; IeeeMode: 1
; LDSByteSize: 37120 bytes/workgroup (compile time only)
; SGPRBlocks: 6
; VGPRBlocks: 7
; NumSGPRsForWavesPerEU: 53
; NumVGPRsForWavesPerEU: 57
; Occupancy: 6
; WaveLimiterHint : 1
; COMPUTE_PGM_RSRC2:SCRATCH_EN: 0
; COMPUTE_PGM_RSRC2:USER_SGPR: 15
; COMPUTE_PGM_RSRC2:TRAP_HANDLER: 0
; COMPUTE_PGM_RSRC2:TGID_X_EN: 1
; COMPUTE_PGM_RSRC2:TGID_Y_EN: 0
; COMPUTE_PGM_RSRC2:TGID_Z_EN: 0
; COMPUTE_PGM_RSRC2:TIDIG_COMP_CNT: 2
	.section	.text._ZN9rocsparseL38bsrgemm_block_per_row_atomic_multipassILj256ELj16ELj8Ell21rocsparse_complex_numIdEEEv20rocsparse_direction_T3_S4_PKS4_S6_NS_24const_host_device_scalarIT4_EEPKT2_S6_PKS8_SC_S6_SE_S9_SC_S6_SE_SC_PS4_PS8_PSA_21rocsparse_index_base_SI_SI_SI_bbb,"axG",@progbits,_ZN9rocsparseL38bsrgemm_block_per_row_atomic_multipassILj256ELj16ELj8Ell21rocsparse_complex_numIdEEEv20rocsparse_direction_T3_S4_PKS4_S6_NS_24const_host_device_scalarIT4_EEPKT2_S6_PKS8_SC_S6_SE_S9_SC_S6_SE_SC_PS4_PS8_PSA_21rocsparse_index_base_SI_SI_SI_bbb,comdat
	.globl	_ZN9rocsparseL38bsrgemm_block_per_row_atomic_multipassILj256ELj16ELj8Ell21rocsparse_complex_numIdEEEv20rocsparse_direction_T3_S4_PKS4_S6_NS_24const_host_device_scalarIT4_EEPKT2_S6_PKS8_SC_S6_SE_S9_SC_S6_SE_SC_PS4_PS8_PSA_21rocsparse_index_base_SI_SI_SI_bbb ; -- Begin function _ZN9rocsparseL38bsrgemm_block_per_row_atomic_multipassILj256ELj16ELj8Ell21rocsparse_complex_numIdEEEv20rocsparse_direction_T3_S4_PKS4_S6_NS_24const_host_device_scalarIT4_EEPKT2_S6_PKS8_SC_S6_SE_S9_SC_S6_SE_SC_PS4_PS8_PSA_21rocsparse_index_base_SI_SI_SI_bbb
	.p2align	8
	.type	_ZN9rocsparseL38bsrgemm_block_per_row_atomic_multipassILj256ELj16ELj8Ell21rocsparse_complex_numIdEEEv20rocsparse_direction_T3_S4_PKS4_S6_NS_24const_host_device_scalarIT4_EEPKT2_S6_PKS8_SC_S6_SE_S9_SC_S6_SE_SC_PS4_PS8_PSA_21rocsparse_index_base_SI_SI_SI_bbb,@function
_ZN9rocsparseL38bsrgemm_block_per_row_atomic_multipassILj256ELj16ELj8Ell21rocsparse_complex_numIdEEEv20rocsparse_direction_T3_S4_PKS4_S6_NS_24const_host_device_scalarIT4_EEPKT2_S6_PKS8_SC_S6_SE_S9_SC_S6_SE_SC_PS4_PS8_PSA_21rocsparse_index_base_SI_SI_SI_bbb: ; @_ZN9rocsparseL38bsrgemm_block_per_row_atomic_multipassILj256ELj16ELj8Ell21rocsparse_complex_numIdEEEv20rocsparse_direction_T3_S4_PKS4_S6_NS_24const_host_device_scalarIT4_EEPKT2_S6_PKS8_SC_S6_SE_S9_SC_S6_SE_SC_PS4_PS8_PSA_21rocsparse_index_base_SI_SI_SI_bbb
; %bb.0:
	s_clause 0x3
	s_load_b32 s12, s[0:1], 0xc0
	s_load_b128 s[8:11], s[0:1], 0x28
	s_load_b128 s[4:7], s[0:1], 0x68
	;; [unrolled: 1-line block ×3, first 2 shown]
	v_mov_b32_e32 v10, 0
	v_mov_b32_e32 v11, 0
	s_mov_b32 s44, s15
	s_waitcnt lgkmcnt(0)
	s_bitcmp1_b32 s12, 0
	v_dual_mov_b32 v1, s8 :: v_dual_mov_b32 v2, s9
	s_cselect_b32 s51, -1, 0
	s_bitcmp1_b32 s12, 16
	v_dual_mov_b32 v8, v10 :: v_dual_mov_b32 v9, v11
	s_cselect_b32 s2, -1, 0
	v_dual_mov_b32 v13, v11 :: v_dual_mov_b32 v12, v10
	s_xor_b32 s3, s2, -1
	v_dual_mov_b32 v3, s4 :: v_dual_mov_b32 v4, s5
	v_cndmask_b32_e64 v5, 0, 1, s3
	s_bitcmp0_b32 s12, 0
	s_clause 0x1
	scratch_store_b64 off, v[1:2], off
	scratch_store_b64 off, v[3:4], off offset:8
	v_cmp_ne_u32_e32 vcc_lo, 1, v5
	s_cbranch_scc1 .LBB160_3
; %bb.1:
	s_mov_b64 s[14:15], src_private_base
	s_and_b32 s13, s2, exec_lo
	s_cselect_b32 s13, s15, s9
	s_delay_alu instid0(SALU_CYCLE_1) | instskip(SKIP_2) | instid1(VALU_DEP_2)
	v_dual_mov_b32 v1, 0 :: v_dual_mov_b32 v2, s13
	v_dual_mov_b32 v13, s11 :: v_dual_mov_b32 v12, s10
	s_and_b32 vcc_lo, exec_lo, vcc_lo
	v_cndmask_b32_e64 v1, s8, v1, s2
	flat_load_b64 v[8:9], v[1:2]
	s_cbranch_vccnz .LBB160_3
; %bb.2:
	v_dual_mov_b32 v1, s8 :: v_dual_mov_b32 v2, s9
	flat_load_b64 v[12:13], v[1:2] offset:8
.LBB160_3:
	s_load_b64 s[8:9], s[0:1], 0x20
	s_bitcmp1_b32 s12, 8
	v_dual_mov_b32 v15, v11 :: v_dual_mov_b32 v14, v10
	s_cselect_b32 s33, -1, 0
	s_bfe_u32 s10, s12, 0x10008
	s_delay_alu instid0(SALU_CYCLE_1)
	s_cmp_eq_u32 s10, 0
	s_cbranch_scc1 .LBB160_6
; %bb.4:
	s_mov_b64 s[10:11], src_private_base
	s_and_b32 s10, s2, exec_lo
	s_cselect_b32 s10, s11, s5
	s_delay_alu instid0(SALU_CYCLE_1) | instskip(SKIP_2) | instid1(VALU_DEP_2)
	v_dual_mov_b32 v1, 8 :: v_dual_mov_b32 v2, s10
	v_dual_mov_b32 v11, s7 :: v_dual_mov_b32 v10, s6
	s_and_not1_b32 vcc_lo, exec_lo, s3
	v_cndmask_b32_e64 v1, s4, v1, s2
	flat_load_b64 v[14:15], v[1:2]
	s_cbranch_vccnz .LBB160_6
; %bb.5:
	v_dual_mov_b32 v1, s4 :: v_dual_mov_b32 v2, s5
	flat_load_b64 v[10:11], v[1:2] offset:8
.LBB160_6:
	s_load_b64 s[2:3], s[0:1], 0x38
	s_waitcnt lgkmcnt(0)
	s_cmp_eq_u64 s[8:9], 0
	s_mov_b32 s45, 0
	s_cbranch_scc1 .LBB160_8
; %bb.7:
	s_load_b64 s[4:5], s[0:1], 0x18
	s_waitcnt lgkmcnt(0)
	s_load_b64 s[4:5], s[4:5], 0x0
	s_waitcnt lgkmcnt(0)
	s_lshl_b64 s[4:5], s[4:5], 3
	s_delay_alu instid0(SALU_CYCLE_1) | instskip(SKIP_2) | instid1(SALU_CYCLE_1)
	s_add_u32 s6, s8, s4
	s_addc_u32 s7, s9, s5
	s_lshl_b64 s[4:5], s[44:45], 3
	s_add_u32 s4, s6, s4
	s_addc_u32 s5, s7, s5
	s_load_b64 s[44:45], s[4:5], 0x0
.LBB160_8:
	s_mov_b64 s[34:35], 0
	s_and_not1_b32 vcc_lo, exec_lo, s51
	s_mov_b64 s[40:41], 0
	s_cbranch_vccz .LBB160_11
; %bb.9:
	s_and_not1_b32 vcc_lo, exec_lo, s51
	s_cbranch_vccz .LBB160_12
.LBB160_10:
	s_load_b128 s[28:31], s[0:1], 0x8
	s_waitcnt lgkmcnt(0)
	v_cmp_lt_i64_e64 s2, s[28:29], 1
	s_delay_alu instid0(VALU_DEP_1)
	s_and_b32 vcc_lo, exec_lo, s2
	s_cbranch_vccz .LBB160_13
	s_branch .LBB160_97
.LBB160_11:
	s_waitcnt lgkmcnt(0)
	s_lshl_b64 s[4:5], s[44:45], 3
	s_delay_alu instid0(SALU_CYCLE_1)
	s_add_u32 s4, s2, s4
	s_addc_u32 s5, s3, s5
	s_load_b64 s[4:5], s[4:5], 0x0
	s_waitcnt lgkmcnt(0)
	s_sub_u32 s40, s4, s24
	s_subb_u32 s41, s5, 0
	s_and_not1_b32 vcc_lo, exec_lo, s51
	s_cbranch_vccnz .LBB160_10
.LBB160_12:
	s_waitcnt lgkmcnt(0)
	s_lshl_b64 s[4:5], s[44:45], 3
	s_delay_alu instid0(SALU_CYCLE_1)
	s_add_u32 s2, s2, s4
	s_addc_u32 s3, s3, s5
	s_load_b64 s[2:3], s[2:3], 0x8
	s_waitcnt lgkmcnt(0)
	s_sub_u32 s34, s2, s24
	s_subb_u32 s35, s3, 0
	s_load_b128 s[28:31], s[0:1], 0x8
	s_waitcnt lgkmcnt(0)
	v_cmp_lt_i64_e64 s2, s[28:29], 1
	s_delay_alu instid0(VALU_DEP_1)
	s_and_b32 vcc_lo, exec_lo, s2
	s_cbranch_vccnz .LBB160_97
.LBB160_13:
	v_bfe_u32 v1, v0, 3, 3
	s_clause 0x4
	s_load_b256 s[8:15], s[0:1], 0x78
	s_load_b64 s[42:43], s[0:1], 0xa8
	s_load_b128 s[36:39], s[0:1], 0x98
	s_load_b64 s[46:47], s[0:1], 0x60
	s_load_b256 s[16:23], s[0:1], 0x40
	v_dual_mov_b32 v17, 0 :: v_dual_and_b32 v24, 63, v0
	s_lshl_b64 s[52:53], s[44:45], 3
	v_mad_u64_u32 v[3:4], null, v1, s30, 0
	v_and_b32_e32 v18, 7, v0
	s_mul_i32 s4, s30, s31
	s_mul_hi_u32 s7, s30, s30
	v_mov_b32_e32 v28, 16
	s_load_b32 s5, s[0:1], 0x0
	v_lshrrev_b32_e32 v16, 6, v0
	s_delay_alu instid0(VALU_DEP_4)
	v_dual_mov_b32 v2, v4 :: v_dual_mov_b32 v21, v17
	v_cmp_lt_i64_e64 s6, s[40:41], s[34:35]
	v_lshlrev_b32_e32 v48, 4, v0
	s_waitcnt lgkmcnt(0)
	s_add_u32 s2, s14, s52
	v_mad_u64_u32 v[19:20], null, v1, s31, v[2:3]
	s_addc_u32 s3, s15, s53
	v_cmp_gt_u32_e64 s0, 16, v0
	s_load_b64 s[2:3], s[2:3], 0x0
	v_cmp_eq_u32_e64 s1, 0, v0
	v_lshl_or_b32 v56, v0, 2, 0x5000
	v_or_b32_e32 v64, 0xffffff00, v0
	v_dual_mov_b32 v4, v19 :: v_dual_mov_b32 v19, v17
	v_mad_u64_u32 v[5:6], null, v18, s30, 0
	v_dual_mov_b32 v29, 0 :: v_dual_lshlrev_b32 v20, 4, v18
	v_lshl_or_b32 v67, v16, 2, 0x5000
	v_dual_mov_b32 v68, 1 :: v_dual_and_b32 v51, 56, v0
	s_mul_i32 s14, s30, s30
	s_delay_alu instid0(VALU_DEP_4) | instskip(NEXT) | instid1(VALU_DEP_1)
	v_mov_b32_e32 v2, v6
	v_mad_u64_u32 v[6:7], null, v18, s31, v[2:3]
	v_lshlrev_b64 v[3:4], 4, v[3:4]
	v_mov_b32_e32 v2, v17
	s_waitcnt lgkmcnt(0)
	s_sub_u32 s44, s2, s26
	s_subb_u32 s45, s3, 0
	s_add_i32 s3, s7, s4
	v_add_co_u32 v7, s2, s18, v3
	s_delay_alu instid0(VALU_DEP_1)
	v_add_co_ci_u32_e64 v22, s2, s19, v4, s2
	s_add_i32 s15, s3, s4
	v_cmp_gt_i64_e64 s3, s[30:31], v[18:19]
	v_cmp_gt_i64_e64 s2, s[30:31], v[1:2]
	v_lshlrev_b64 v[5:6], 4, v[5:6]
	v_add_co_u32 v19, s4, v7, v20
	v_cmp_gt_u64_e32 vcc_lo, s[30:31], v[1:2]
	v_add_co_ci_u32_e64 v50, s4, 0, v22, s4
	s_and_b32 s48, s3, s2
	v_lshlrev_b64 v[22:23], 4, v[1:2]
	v_add_co_u32 v2, s2, s38, v5
	s_delay_alu instid0(VALU_DEP_1) | instskip(SKIP_1) | instid1(VALU_DEP_1)
	v_add_co_ci_u32_e64 v7, s2, s39, v6, s2
	v_add_co_u32 v25, s2, s38, v3
	v_add_co_ci_u32_e64 v26, s2, s39, v4, s2
	s_delay_alu instid0(VALU_DEP_4) | instskip(NEXT) | instid1(VALU_DEP_1)
	v_add_co_u32 v2, s2, v2, v22
	v_add_co_ci_u32_e64 v7, s2, v7, v23, s2
	s_delay_alu instid0(VALU_DEP_4) | instskip(NEXT) | instid1(VALU_DEP_1)
	v_add_co_u32 v25, s2, v25, v20
	v_add_co_ci_u32_e64 v26, s2, 0, v26, s2
	v_add_co_u32 v5, s2, s12, v5
	s_delay_alu instid0(VALU_DEP_1) | instskip(SKIP_1) | instid1(VALU_DEP_1)
	v_add_co_ci_u32_e64 v6, s2, s13, v6, s2
	v_sub_co_u32 v52, s2, v16, s27
	v_sub_co_ci_u32_e64 v53, null, 0, 0, s2
	s_delay_alu instid0(VALU_DEP_4) | instskip(NEXT) | instid1(VALU_DEP_1)
	v_add_co_u32 v5, s2, v5, v22
	v_add_co_ci_u32_e64 v6, s2, v6, v23, s2
	v_add_co_u32 v3, s2, s12, v3
	s_cmp_eq_u32 s5, 0
	v_add_co_ci_u32_e64 v4, s2, s13, v4, s2
	s_cselect_b32 s7, -1, 0
	s_cmp_lg_u32 s5, 0
	v_and_b32_e32 v22, 15, v0
	s_cselect_b32 s49, -1, 0
	s_add_u32 s18, s8, s52
	v_add_co_u32 v3, s2, v3, v20
	v_lshlrev_b32_e32 v1, 4, v1
	s_addc_u32 s19, s9, s53
	s_and_b32 s51, s51, s6
	s_and_b32 s52, s3, vcc_lo
	v_add_co_ci_u32_e64 v4, s2, 0, v4, s2
	s_add_u32 s53, s20, 8
	v_cmp_eq_u32_e64 s2, 63, v24
	v_cndmask_b32_e64 v61, v2, v25, s7
	v_mov_b32_e32 v24, s44
	s_addc_u32 s54, s21, 0
	s_add_u32 s55, s36, -8
	v_mov_b32_e32 v25, s45
	v_lshlrev_b32_e32 v23, 2, v22
	v_add_co_u32 v27, s50, v22, -1
	v_lshl_or_b32 v1, v16, 10, v1
	s_addc_u32 s56, s37, -1
	s_add_u32 s12, s46, 8
	v_cmp_ne_u32_e64 s3, 0, v22
	v_cmp_lt_u32_e64 s4, 1, v22
	v_cmp_lt_u32_e64 s5, 3, v22
	;; [unrolled: 1-line block ×3, first 2 shown]
	v_cndmask_b32_e64 v60, v7, v26, s7
	v_cndmask_b32_e64 v62, v6, v4, s7
	;; [unrolled: 1-line block ×3, first 2 shown]
	s_addc_u32 s13, s47, 0
	s_movk_i32 s7, 0xf80
	v_add_co_u32 v22, s8, s12, v20
	v_lshl_add_u32 v55, v27, 2, 0x5000
	v_dual_mov_b32 v26, 0 :: v_dual_add_nc_u32 v59, 0x4fe0, v23
	v_or_b32_e32 v54, 0x5000, v23
	v_add_nc_u32_e32 v57, 0x4ff8, v23
	v_add_nc_u32_e32 v58, 0x4ff0, v23
	v_dual_mov_b32 v0, v17 :: v_dual_add_nc_u32 v65, 0x4000, v1
	v_add_co_ci_u32_e64 v23, null, s13, 0, s8
	v_mov_b32_e32 v27, 0
	v_or_b32_e32 v49, 0x4000, v48
	v_and_or_b32 v66, v48, s7, 0x4000
	v_mov_b32_e32 v1, v17
	v_mov_b32_e32 v2, v17
	;; [unrolled: 1-line block ×3, first 2 shown]
	s_lshl_b64 s[36:37], s[30:31], 4
	s_lshl_b64 s[38:39], s[14:15], 4
	s_branch .LBB160_15
.LBB160_14:                             ;   in Loop: Header=BB160_15 Depth=1
	s_or_b32 exec_lo, exec_lo, s7
	s_waitcnt_vscnt null, 0x0
	s_barrier
	buffer_gl0_inv
	ds_load_b64 v[26:27], v17 offset:20544
	v_ashrrev_i32_e32 v4, 31, v6
	v_add_co_u32 v24, vcc_lo, v24, v6
	s_waitcnt lgkmcnt(0)
	s_barrier
	s_delay_alu instid0(VALU_DEP_2) | instskip(SKIP_3) | instid1(VALU_DEP_1)
	v_add_co_ci_u32_e32 v25, vcc_lo, v25, v4, vcc_lo
	buffer_gl0_inv
	v_cmp_le_i64_e32 vcc_lo, s[28:29], v[26:27]
	v_add_co_u32 v28, s7, v26, 16
	v_add_co_ci_u32_e64 v29, s7, 0, v27, s7
	s_cbranch_vccnz .LBB160_97
.LBB160_15:                             ; =>This Loop Header: Depth=1
                                        ;     Child Loop BB160_18 Depth 2
                                        ;     Child Loop BB160_24 Depth 2
                                        ;       Child Loop BB160_39 Depth 3
                                        ;         Child Loop BB160_51 Depth 4
                                        ;         Child Loop BB160_47 Depth 4
	;; [unrolled: 1-line block ×4, first 2 shown]
                                        ;     Child Loop BB160_65 Depth 2
                                        ;       Child Loop BB160_70 Depth 3
                                        ;       Child Loop BB160_72 Depth 3
                                        ;     Child Loop BB160_77 Depth 2
                                        ;     Child Loop BB160_94 Depth 2
	s_and_saveexec_b32 s7, s0
	s_cbranch_execz .LBB160_17
; %bb.16:                               ;   in Loop: Header=BB160_15 Depth=1
	ds_store_b32 v56, v17
.LBB160_17:                             ;   in Loop: Header=BB160_15 Depth=1
	s_or_b32 exec_lo, exec_lo, s7
	v_mov_b32_e32 v4, v48
	v_mov_b32_e32 v5, v64
	s_mov_b32 s7, 0
.LBB160_18:                             ;   Parent Loop BB160_15 Depth=1
                                        ; =>  This Inner Loop Header: Depth=2
	s_delay_alu instid0(VALU_DEP_1) | instskip(SKIP_4) | instid1(SALU_CYCLE_1)
	v_add_nc_u32_e32 v5, 0x100, v5
	ds_store_b128 v4, v[0:3]
	v_add_nc_u32_e32 v4, 0x1000, v4
	v_cmp_lt_u32_e32 vcc_lo, 0x2ff, v5
	s_or_b32 s7, vcc_lo, s7
	s_and_not1_b32 exec_lo, exec_lo, s7
	s_cbranch_execnz .LBB160_18
; %bb.19:                               ;   in Loop: Header=BB160_15 Depth=1
	s_or_b32 exec_lo, exec_lo, s7
	s_and_saveexec_b32 s7, s1
	s_cbranch_execz .LBB160_21
; %bb.20:                               ;   in Loop: Header=BB160_15 Depth=1
	v_dual_mov_b32 v4, s28 :: v_dual_mov_b32 v5, s29
	ds_store_b64 v17, v[4:5] offset:20544
.LBB160_21:                             ;   in Loop: Header=BB160_15 Depth=1
	s_or_b32 exec_lo, exec_lo, s7
	v_dual_mov_b32 v31, s29 :: v_dual_mov_b32 v30, s28
	s_and_not1_b32 vcc_lo, exec_lo, s51
	s_waitcnt vmcnt(0) lgkmcnt(0)
	s_waitcnt_vscnt null, 0x0
	s_barrier
	buffer_gl0_inv
	s_cbranch_vccnz .LBB160_60
; %bb.22:                               ;   in Loop: Header=BB160_15 Depth=1
	v_cmp_ne_u64_e64 s7, 0, v[26:27]
	v_dual_mov_b32 v31, s29 :: v_dual_mov_b32 v30, s28
	s_mov_b64 s[44:45], s[40:41]
	s_branch .LBB160_24
.LBB160_23:                             ;   in Loop: Header=BB160_24 Depth=2
	s_or_b32 exec_lo, exec_lo, s9
	s_add_u32 s44, s44, 4
	s_addc_u32 s45, s45, 0
	s_delay_alu instid0(SALU_CYCLE_1) | instskip(NEXT) | instid1(VALU_DEP_1)
	v_cmp_lt_i64_e64 s8, s[44:45], s[34:35]
	s_and_b32 vcc_lo, exec_lo, s8
	s_cbranch_vccz .LBB160_60
.LBB160_24:                             ;   Parent Loop BB160_15 Depth=1
                                        ; =>  This Loop Header: Depth=2
                                        ;       Child Loop BB160_39 Depth 3
                                        ;         Child Loop BB160_51 Depth 4
                                        ;         Child Loop BB160_47 Depth 4
	;; [unrolled: 1-line block ×4, first 2 shown]
	v_add_co_u32 v4, s8, s44, v16
	s_delay_alu instid0(VALU_DEP_1) | instskip(NEXT) | instid1(VALU_DEP_1)
	v_add_co_ci_u32_e64 v5, null, s45, 0, s8
	s_waitcnt_vscnt null, 0x0
	s_barrier
	buffer_gl0_inv
	v_cmp_gt_i64_e64 s8, s[34:35], v[4:5]
	s_delay_alu instid0(VALU_DEP_1)
	s_and_saveexec_b32 s9, s8
	s_cbranch_execz .LBB160_29
; %bb.25:                               ;   in Loop: Header=BB160_24 Depth=2
	s_and_saveexec_b32 s46, s52
	s_delay_alu instid0(SALU_CYCLE_1)
	s_xor_b32 s46, exec_lo, s46
	s_cbranch_execz .LBB160_27
; %bb.26:                               ;   in Loop: Header=BB160_24 Depth=2
	v_mul_lo_u32 v32, v5, s14
	v_mul_lo_u32 v33, v4, s15
	v_mad_u64_u32 v[6:7], null, v4, s14, 0
	s_delay_alu instid0(VALU_DEP_1) | instskip(NEXT) | instid1(VALU_DEP_1)
	v_add3_u32 v7, v7, v33, v32
	v_lshlrev_b64 v[6:7], 4, v[6:7]
	s_delay_alu instid0(VALU_DEP_1) | instskip(NEXT) | instid1(VALU_DEP_2)
	v_add_co_u32 v6, vcc_lo, v19, v6
	v_add_co_ci_u32_e32 v7, vcc_lo, v50, v7, vcc_lo
	global_load_b128 v[32:35], v[6:7], off
	s_waitcnt vmcnt(0)
	ds_store_2addr_b64 v49, v[32:33], v[34:35] offset1:1
.LBB160_27:                             ;   in Loop: Header=BB160_24 Depth=2
	s_and_not1_saveexec_b32 s46, s46
	s_cbranch_execz .LBB160_29
; %bb.28:                               ;   in Loop: Header=BB160_24 Depth=2
	ds_store_b128 v49, v[0:3]
.LBB160_29:                             ;   in Loop: Header=BB160_24 Depth=2
	s_or_b32 exec_lo, exec_lo, s9
	v_mov_b32_e32 v6, 0
	v_lshlrev_b64 v[4:5], 3, v[4:5]
	v_mov_b32_e32 v7, 0
	s_waitcnt lgkmcnt(0)
	s_barrier
	buffer_gl0_inv
	s_and_saveexec_b32 s57, s8
	s_cbranch_execz .LBB160_58
; %bb.30:                               ;   in Loop: Header=BB160_24 Depth=2
	v_add_co_u32 v6, vcc_lo, s16, v4
	v_add_co_ci_u32_e32 v7, vcc_lo, s17, v5, vcc_lo
	s_and_b32 vcc_lo, exec_lo, s7
	global_load_b64 v[32:33], v[6:7], off
	s_cbranch_vccz .LBB160_32
; %bb.31:                               ;   in Loop: Header=BB160_24 Depth=2
	v_add_co_u32 v6, vcc_lo, s42, v4
	v_add_co_ci_u32_e32 v7, vcc_lo, s43, v5, vcc_lo
	s_mov_b32 s9, 0
	global_load_b64 v[6:7], v[6:7], off
	s_branch .LBB160_33
.LBB160_32:                             ;   in Loop: Header=BB160_24 Depth=2
	s_mov_b32 s9, -1
                                        ; implicit-def: $vgpr6_vgpr7
.LBB160_33:                             ;   in Loop: Header=BB160_24 Depth=2
	s_waitcnt vmcnt(0)
	v_sub_co_u32 v32, vcc_lo, v32, s24
	v_subrev_co_ci_u32_e32 v33, vcc_lo, 0, v33, vcc_lo
	s_and_not1_b32 vcc_lo, exec_lo, s9
	s_delay_alu instid0(VALU_DEP_1)
	v_lshlrev_b64 v[32:33], 3, v[32:33]
	s_cbranch_vccnz .LBB160_35
; %bb.34:                               ;   in Loop: Header=BB160_24 Depth=2
	s_delay_alu instid0(VALU_DEP_1) | instskip(NEXT) | instid1(VALU_DEP_2)
	v_add_co_u32 v6, vcc_lo, s20, v32
	v_add_co_ci_u32_e32 v7, vcc_lo, s21, v33, vcc_lo
	global_load_b64 v[6:7], v[6:7], off
	s_waitcnt vmcnt(0)
	v_sub_co_u32 v6, vcc_lo, v6, s25
	v_subrev_co_ci_u32_e32 v7, vcc_lo, 0, v7, vcc_lo
.LBB160_35:                             ;   in Loop: Header=BB160_24 Depth=2
	s_delay_alu instid0(VALU_DEP_1) | instskip(NEXT) | instid1(VALU_DEP_2)
	v_add_co_u32 v32, vcc_lo, s53, v32
	v_add_co_ci_u32_e32 v33, vcc_lo, s54, v33, vcc_lo
	s_mov_b32 s58, exec_lo
	global_load_b64 v[32:33], v[32:33], off
	s_waitcnt vmcnt(0)
	v_sub_co_u32 v32, vcc_lo, v32, s25
	v_subrev_co_ci_u32_e32 v33, vcc_lo, 0, v33, vcc_lo
	s_delay_alu instid0(VALU_DEP_1)
	v_cmpx_lt_i64_e64 v[6:7], v[32:33]
	s_cbranch_execz .LBB160_57
; %bb.36:                               ;   in Loop: Header=BB160_24 Depth=2
	v_mad_u64_u32 v[38:39], null, s36, v6, v[20:21]
	v_mul_lo_u32 v36, s36, v7
	v_mul_lo_u32 v37, s37, v6
	v_mad_u64_u32 v[34:35], null, s38, v6, v[22:23]
	v_mul_lo_u32 v40, s38, v7
	v_mul_lo_u32 v41, s39, v6
	;; [unrolled: 1-line block ×3, first 2 shown]
	s_mov_b32 s59, 0
	v_add3_u32 v39, v37, v39, v36
	v_mad_u64_u32 v[36:37], null, s30, v38, s[12:13]
	s_delay_alu instid0(VALU_DEP_4) | instskip(NEXT) | instid1(VALU_DEP_3)
	v_add3_u32 v35, v41, v35, v40
	v_mul_lo_u32 v38, s30, v39
	s_delay_alu instid0(VALU_DEP_1)
	v_add3_u32 v37, v42, v37, v38
	v_dual_mov_b32 v39, v7 :: v_dual_mov_b32 v38, v6
	s_branch .LBB160_39
.LBB160_37:                             ;   in Loop: Header=BB160_39 Depth=3
	s_or_b32 exec_lo, exec_lo, s61
	s_delay_alu instid0(SALU_CYCLE_1)
	s_or_b32 s9, s9, exec_lo
.LBB160_38:                             ;   in Loop: Header=BB160_39 Depth=3
	s_or_b32 exec_lo, exec_lo, s60
	v_add_co_u32 v38, vcc_lo, v38, 1
	v_add_co_ci_u32_e32 v39, vcc_lo, 0, v39, vcc_lo
	s_xor_b32 s46, s9, -1
	v_add_co_u32 v36, s9, v36, s38
	s_delay_alu instid0(VALU_DEP_2)
	v_cmp_ge_i64_e32 vcc_lo, v[38:39], v[32:33]
	v_add_co_ci_u32_e64 v37, s9, s39, v37, s9
	s_or_b32 s9, s46, vcc_lo
	v_add_co_u32 v34, vcc_lo, v34, s38
	v_add_co_ci_u32_e32 v35, vcc_lo, s39, v35, vcc_lo
	s_and_b32 s9, exec_lo, s9
	s_delay_alu instid0(SALU_CYCLE_1) | instskip(NEXT) | instid1(SALU_CYCLE_1)
	s_or_b32 s59, s9, s59
	s_and_not1_b32 exec_lo, exec_lo, s59
	s_cbranch_execz .LBB160_56
.LBB160_39:                             ;   Parent Loop BB160_15 Depth=1
                                        ;     Parent Loop BB160_24 Depth=2
                                        ; =>    This Loop Header: Depth=3
                                        ;         Child Loop BB160_51 Depth 4
                                        ;         Child Loop BB160_47 Depth 4
	;; [unrolled: 1-line block ×4, first 2 shown]
	s_delay_alu instid0(VALU_DEP_1) | instskip(NEXT) | instid1(VALU_DEP_1)
	v_lshlrev_b64 v[40:41], 3, v[38:39]
	v_add_co_u32 v40, vcc_lo, s22, v40
	s_delay_alu instid0(VALU_DEP_2) | instskip(SKIP_4) | instid1(VALU_DEP_1)
	v_add_co_ci_u32_e32 v41, vcc_lo, s23, v41, vcc_lo
	global_load_b64 v[40:41], v[40:41], off
	s_waitcnt vmcnt(0)
	v_sub_co_u32 v40, vcc_lo, v40, s25
	v_subrev_co_ci_u32_e32 v41, vcc_lo, 0, v41, vcc_lo
	v_cmp_lt_i64_e64 s9, v[40:41], v[26:27]
	v_cmp_ge_i64_e32 vcc_lo, v[40:41], v[28:29]
	s_delay_alu instid0(VALU_DEP_2) | instskip(NEXT) | instid1(SALU_CYCLE_1)
	s_or_b32 s46, s9, vcc_lo
                                        ; implicit-def: $sgpr9
	s_and_saveexec_b32 s47, s46
	s_delay_alu instid0(SALU_CYCLE_1)
	s_xor_b32 s46, exec_lo, s47
	s_cbranch_execz .LBB160_43
; %bb.40:                               ;   in Loop: Header=BB160_39 Depth=3
	s_mov_b32 s47, -1
	s_and_saveexec_b32 s9, vcc_lo
; %bb.41:                               ;   in Loop: Header=BB160_39 Depth=3
	v_cmp_lt_i64_e32 vcc_lo, v[40:41], v[30:31]
	v_dual_mov_b32 v6, v38 :: v_dual_mov_b32 v7, v39
	s_xor_b32 s47, exec_lo, -1
	v_dual_cndmask_b32 v31, v31, v41 :: v_dual_cndmask_b32 v30, v30, v40
; %bb.42:                               ;   in Loop: Header=BB160_39 Depth=3
	s_or_b32 exec_lo, exec_lo, s9
	s_delay_alu instid0(SALU_CYCLE_1)
	s_and_b32 s9, s47, exec_lo
                                        ; implicit-def: $vgpr40_vgpr41
.LBB160_43:                             ;   in Loop: Header=BB160_39 Depth=3
	s_and_not1_saveexec_b32 s60, s46
	s_cbranch_execz .LBB160_38
; %bb.44:                               ;   in Loop: Header=BB160_39 Depth=3
	v_sub_nc_u32_e32 v46, v40, v26
	s_delay_alu instid0(VALU_DEP_1)
	v_lshlrev_b32_e32 v40, 2, v46
	ds_store_b32 v40, v68 offset:20480
	s_and_saveexec_b32 s61, s48
	s_cbranch_execz .LBB160_37
; %bb.45:                               ;   in Loop: Header=BB160_39 Depth=3
	s_and_not1_b32 vcc_lo, exec_lo, s49
	s_cbranch_vccnz .LBB160_49
; %bb.46:                               ;   in Loop: Header=BB160_39 Depth=3
	v_dual_mov_b32 v40, 0 :: v_dual_mov_b32 v47, v65
	v_mov_b32_e32 v41, 0
	v_dual_mov_b32 v45, v37 :: v_dual_mov_b32 v44, v36
	s_mov_b64 s[46:47], s[30:31]
	s_delay_alu instid0(VALU_DEP_2)
	v_dual_mov_b32 v43, v41 :: v_dual_mov_b32 v42, v40
	.p2align	6
.LBB160_47:                             ;   Parent Loop BB160_15 Depth=1
                                        ;     Parent Loop BB160_24 Depth=2
                                        ;       Parent Loop BB160_39 Depth=3
                                        ; =>      This Inner Loop Header: Depth=4
	global_load_b128 v[69:72], v[44:45], off offset:-8
	ds_load_b128 v[73:76], v47
	v_add_co_u32 v44, vcc_lo, v44, 16
	v_add_co_ci_u32_e32 v45, vcc_lo, 0, v45, vcc_lo
	s_add_u32 s46, s46, -1
	v_add_nc_u32_e32 v47, 0x80, v47
	s_addc_u32 s47, s47, -1
	s_delay_alu instid0(SALU_CYCLE_1) | instskip(SKIP_3) | instid1(VALU_DEP_2)
	s_cmp_lg_u64 s[46:47], 0
	s_waitcnt vmcnt(0) lgkmcnt(0)
	v_fma_f64 v[40:41], v[73:74], v[69:70], v[40:41]
	v_fma_f64 v[42:43], v[75:76], v[69:70], v[42:43]
	v_fma_f64 v[40:41], -v[75:76], v[71:72], v[40:41]
	s_delay_alu instid0(VALU_DEP_2)
	v_fma_f64 v[42:43], v[73:74], v[71:72], v[42:43]
	s_cbranch_scc1 .LBB160_47
; %bb.48:                               ;   in Loop: Header=BB160_39 Depth=3
	s_branch .LBB160_52
.LBB160_49:                             ;   in Loop: Header=BB160_39 Depth=3
                                        ; implicit-def: $vgpr40_vgpr41
                                        ; implicit-def: $vgpr42_vgpr43
	s_cbranch_execz .LBB160_52
; %bb.50:                               ;   in Loop: Header=BB160_39 Depth=3
	v_dual_mov_b32 v40, 0 :: v_dual_mov_b32 v47, v66
	v_mov_b32_e32 v41, 0
	v_dual_mov_b32 v45, v35 :: v_dual_mov_b32 v44, v34
	s_mov_b64 s[46:47], s[30:31]
	s_delay_alu instid0(VALU_DEP_2)
	v_dual_mov_b32 v43, v41 :: v_dual_mov_b32 v42, v40
	.p2align	6
.LBB160_51:                             ;   Parent Loop BB160_15 Depth=1
                                        ;     Parent Loop BB160_24 Depth=2
                                        ;       Parent Loop BB160_39 Depth=3
                                        ; =>      This Inner Loop Header: Depth=4
	global_load_b128 v[69:72], v[44:45], off offset:-8
	ds_load_b128 v[73:76], v47
	v_add_co_u32 v44, vcc_lo, v44, s36
	s_add_u32 s46, s46, -1
	v_add_co_ci_u32_e32 v45, vcc_lo, s37, v45, vcc_lo
	v_add_nc_u32_e32 v47, 16, v47
	s_addc_u32 s47, s47, -1
	s_delay_alu instid0(SALU_CYCLE_1) | instskip(SKIP_3) | instid1(VALU_DEP_2)
	s_cmp_eq_u64 s[46:47], 0
	s_waitcnt vmcnt(0) lgkmcnt(0)
	v_fma_f64 v[40:41], v[73:74], v[69:70], v[40:41]
	v_fma_f64 v[42:43], v[75:76], v[69:70], v[42:43]
	v_fma_f64 v[40:41], -v[75:76], v[71:72], v[40:41]
	s_delay_alu instid0(VALU_DEP_2)
	v_fma_f64 v[42:43], v[73:74], v[71:72], v[42:43]
	s_cbranch_scc0 .LBB160_51
.LBB160_52:                             ;   in Loop: Header=BB160_39 Depth=3
	s_delay_alu instid0(VALU_DEP_1) | instskip(SKIP_2) | instid1(VALU_DEP_1)
	v_mul_f64 v[44:45], v[42:43], -v[12:13]
	v_lshlrev_b32_e32 v46, 6, v46
	s_mov_b32 s46, 0
	v_or3_b32 v46, v46, v51, v18
	s_delay_alu instid0(VALU_DEP_1)
	v_lshlrev_b32_e32 v69, 4, v46
	ds_load_b64 v[46:47], v69
	v_fma_f64 v[44:45], v[8:9], v[40:41], v[44:45]
.LBB160_53:                             ;   Parent Loop BB160_15 Depth=1
                                        ;     Parent Loop BB160_24 Depth=2
                                        ;       Parent Loop BB160_39 Depth=3
                                        ; =>      This Inner Loop Header: Depth=4
	s_waitcnt lgkmcnt(0)
	s_delay_alu instid0(VALU_DEP_1)
	v_add_f64 v[70:71], v[46:47], v[44:45]
	ds_cmpstore_rtn_b64 v[70:71], v69, v[70:71], v[46:47]
	s_waitcnt lgkmcnt(0)
	v_cmp_eq_u64_e32 vcc_lo, v[70:71], v[46:47]
	v_dual_mov_b32 v46, v70 :: v_dual_mov_b32 v47, v71
	s_or_b32 s46, vcc_lo, s46
	s_delay_alu instid0(SALU_CYCLE_1)
	s_and_not1_b32 exec_lo, exec_lo, s46
	s_cbranch_execnz .LBB160_53
; %bb.54:                               ;   in Loop: Header=BB160_39 Depth=3
	s_or_b32 exec_lo, exec_lo, s46
	v_mul_f64 v[42:43], v[8:9], v[42:43]
	s_mov_b32 s46, 0
	s_delay_alu instid0(VALU_DEP_1)
	v_fma_f64 v[40:41], v[12:13], v[40:41], v[42:43]
	ds_load_b64 v[42:43], v69 offset:8
.LBB160_55:                             ;   Parent Loop BB160_15 Depth=1
                                        ;     Parent Loop BB160_24 Depth=2
                                        ;       Parent Loop BB160_39 Depth=3
                                        ; =>      This Inner Loop Header: Depth=4
	s_waitcnt lgkmcnt(0)
	v_add_f64 v[44:45], v[42:43], v[40:41]
	ds_cmpstore_rtn_b64 v[44:45], v69, v[44:45], v[42:43] offset:8
	s_waitcnt lgkmcnt(0)
	v_cmp_eq_u64_e32 vcc_lo, v[44:45], v[42:43]
	v_dual_mov_b32 v42, v44 :: v_dual_mov_b32 v43, v45
	s_or_b32 s46, vcc_lo, s46
	s_delay_alu instid0(SALU_CYCLE_1)
	s_and_not1_b32 exec_lo, exec_lo, s46
	s_cbranch_execnz .LBB160_55
	s_branch .LBB160_37
.LBB160_56:                             ;   in Loop: Header=BB160_24 Depth=2
	s_or_b32 exec_lo, exec_lo, s59
.LBB160_57:                             ;   in Loop: Header=BB160_24 Depth=2
	s_delay_alu instid0(SALU_CYCLE_1)
	s_or_b32 exec_lo, exec_lo, s58
.LBB160_58:                             ;   in Loop: Header=BB160_24 Depth=2
	s_delay_alu instid0(SALU_CYCLE_1)
	s_or_b32 exec_lo, exec_lo, s57
	s_waitcnt lgkmcnt(0)
	s_barrier
	buffer_gl0_inv
	s_and_saveexec_b32 s9, s8
	s_cbranch_execz .LBB160_23
; %bb.59:                               ;   in Loop: Header=BB160_24 Depth=2
	v_add_co_u32 v4, vcc_lo, s42, v4
	v_add_co_ci_u32_e32 v5, vcc_lo, s43, v5, vcc_lo
	global_store_b64 v[4:5], v[6:7], off
	s_branch .LBB160_23
.LBB160_60:                             ;   in Loop: Header=BB160_15 Depth=1
	s_and_not1_b32 vcc_lo, exec_lo, s33
	s_cbranch_vccnz .LBB160_75
; %bb.61:                               ;   in Loop: Header=BB160_15 Depth=1
	s_load_b128 s[44:47], s[18:19], 0x0
	s_waitcnt lgkmcnt(0)
	v_add_co_u32 v32, vcc_lo, s44, v52
	v_add_co_ci_u32_e32 v33, vcc_lo, s45, v53, vcc_lo
	s_sub_u32 s8, s46, s27
	s_subb_u32 s9, s47, 0
	s_mov_b32 s44, exec_lo
	s_delay_alu instid0(VALU_DEP_1)
	v_cmpx_gt_i64_e64 s[8:9], v[32:33]
	s_cbranch_execz .LBB160_74
; %bb.62:                               ;   in Loop: Header=BB160_15 Depth=1
	s_mov_b32 s45, 0
	s_branch .LBB160_65
.LBB160_63:                             ;   in Loop: Header=BB160_65 Depth=2
	s_or_b32 exec_lo, exec_lo, s47
	s_delay_alu instid0(SALU_CYCLE_1)
	s_or_b32 s7, s7, exec_lo
.LBB160_64:                             ;   in Loop: Header=BB160_65 Depth=2
	s_or_b32 exec_lo, exec_lo, s46
	v_add_co_u32 v32, vcc_lo, v32, 4
	v_add_co_ci_u32_e32 v33, vcc_lo, 0, v33, vcc_lo
	s_xor_b32 s7, s7, -1
	s_delay_alu instid0(VALU_DEP_1) | instskip(SKIP_1) | instid1(SALU_CYCLE_1)
	v_cmp_le_i64_e32 vcc_lo, s[8:9], v[32:33]
	s_or_b32 s7, s7, vcc_lo
	s_and_b32 s7, exec_lo, s7
	s_delay_alu instid0(SALU_CYCLE_1) | instskip(NEXT) | instid1(SALU_CYCLE_1)
	s_or_b32 s45, s7, s45
	s_and_not1_b32 exec_lo, exec_lo, s45
	s_cbranch_execz .LBB160_73
.LBB160_65:                             ;   Parent Loop BB160_15 Depth=1
                                        ; =>  This Loop Header: Depth=2
                                        ;       Child Loop BB160_70 Depth 3
                                        ;       Child Loop BB160_72 Depth 3
	v_lshlrev_b64 v[4:5], 3, v[32:33]
	s_delay_alu instid0(VALU_DEP_1) | instskip(NEXT) | instid1(VALU_DEP_2)
	v_add_co_u32 v4, vcc_lo, s10, v4
	v_add_co_ci_u32_e32 v5, vcc_lo, s11, v5, vcc_lo
	global_load_b64 v[4:5], v[4:5], off
	s_waitcnt vmcnt(0)
	v_sub_co_u32 v4, vcc_lo, v4, s27
	v_subrev_co_ci_u32_e32 v5, vcc_lo, 0, v5, vcc_lo
	s_delay_alu instid0(VALU_DEP_1)
	v_cmp_lt_i64_e32 vcc_lo, v[4:5], v[28:29]
	v_cmp_lt_i64_e64 s7, v[4:5], v[26:27]
	s_xor_b32 s46, vcc_lo, -1
	s_delay_alu instid0(VALU_DEP_1) | instid1(SALU_CYCLE_1)
	s_or_b32 s46, s7, s46
                                        ; implicit-def: $sgpr7
	s_delay_alu instid0(SALU_CYCLE_1) | instskip(NEXT) | instid1(SALU_CYCLE_1)
	s_and_saveexec_b32 s47, s46
	s_xor_b32 s46, exec_lo, s47
; %bb.66:                               ;   in Loop: Header=BB160_65 Depth=2
	v_cmp_lt_i64_e64 s7, v[4:5], v[30:31]
	s_delay_alu instid0(VALU_DEP_1) | instskip(SKIP_2) | instid1(VALU_DEP_1)
	v_cndmask_b32_e64 v4, v30, v4, s7
	v_cndmask_b32_e64 v5, v31, v5, s7
	s_and_b32 s7, vcc_lo, exec_lo
	v_dual_cndmask_b32 v30, v4, v30 :: v_dual_cndmask_b32 v31, v5, v31
                                        ; implicit-def: $vgpr4
; %bb.67:                               ;   in Loop: Header=BB160_65 Depth=2
	s_and_not1_saveexec_b32 s46, s46
	s_cbranch_execz .LBB160_64
; %bb.68:                               ;   in Loop: Header=BB160_65 Depth=2
	v_sub_nc_u32_e32 v36, v4, v26
	s_delay_alu instid0(VALU_DEP_1)
	v_lshlrev_b32_e32 v4, 2, v36
	ds_store_b32 v4, v68 offset:20480
	s_and_saveexec_b32 s47, s52
	s_cbranch_execz .LBB160_63
; %bb.69:                               ;   in Loop: Header=BB160_65 Depth=2
	v_mul_lo_u32 v6, v33, s14
	v_mul_lo_u32 v7, v32, s15
	v_mad_u64_u32 v[4:5], null, v32, s14, 0
	v_lshlrev_b32_e32 v36, 6, v36
	s_mov_b32 s57, 0
	s_delay_alu instid0(VALU_DEP_1) | instskip(NEXT) | instid1(VALU_DEP_3)
	v_or3_b32 v36, v36, v51, v18
	v_add3_u32 v5, v5, v7, v6
	s_delay_alu instid0(VALU_DEP_2) | instskip(NEXT) | instid1(VALU_DEP_2)
	v_lshlrev_b32_e32 v38, 4, v36
	v_lshlrev_b64 v[4:5], 4, v[4:5]
	ds_load_b64 v[36:37], v38
	v_add_co_u32 v4, vcc_lo, v63, v4
	v_add_co_ci_u32_e32 v5, vcc_lo, v62, v5, vcc_lo
	global_load_b128 v[4:7], v[4:5], off
	s_waitcnt vmcnt(0)
	v_mul_f64 v[34:35], v[6:7], -v[10:11]
	s_delay_alu instid0(VALU_DEP_1)
	v_fma_f64 v[34:35], v[14:15], v[4:5], v[34:35]
.LBB160_70:                             ;   Parent Loop BB160_15 Depth=1
                                        ;     Parent Loop BB160_65 Depth=2
                                        ; =>    This Inner Loop Header: Depth=3
	s_waitcnt lgkmcnt(0)
	s_delay_alu instid0(VALU_DEP_1)
	v_add_f64 v[39:40], v[36:37], v[34:35]
	ds_cmpstore_rtn_b64 v[39:40], v38, v[39:40], v[36:37]
	s_waitcnt lgkmcnt(0)
	v_cmp_eq_u64_e32 vcc_lo, v[39:40], v[36:37]
	v_dual_mov_b32 v36, v39 :: v_dual_mov_b32 v37, v40
	s_or_b32 s57, vcc_lo, s57
	s_delay_alu instid0(SALU_CYCLE_1)
	s_and_not1_b32 exec_lo, exec_lo, s57
	s_cbranch_execnz .LBB160_70
; %bb.71:                               ;   in Loop: Header=BB160_65 Depth=2
	s_or_b32 exec_lo, exec_lo, s57
	v_mul_f64 v[6:7], v[14:15], v[6:7]
	s_mov_b32 s57, 0
	s_delay_alu instid0(VALU_DEP_1)
	v_fma_f64 v[4:5], v[10:11], v[4:5], v[6:7]
	ds_load_b64 v[6:7], v38 offset:8
.LBB160_72:                             ;   Parent Loop BB160_15 Depth=1
                                        ;     Parent Loop BB160_65 Depth=2
                                        ; =>    This Inner Loop Header: Depth=3
	s_waitcnt lgkmcnt(0)
	v_add_f64 v[34:35], v[6:7], v[4:5]
	ds_cmpstore_rtn_b64 v[34:35], v38, v[34:35], v[6:7] offset:8
	s_waitcnt lgkmcnt(0)
	v_cmp_eq_u64_e32 vcc_lo, v[34:35], v[6:7]
	v_dual_mov_b32 v6, v34 :: v_dual_mov_b32 v7, v35
	s_or_b32 s57, vcc_lo, s57
	s_delay_alu instid0(SALU_CYCLE_1)
	s_and_not1_b32 exec_lo, exec_lo, s57
	s_cbranch_execnz .LBB160_72
	s_branch .LBB160_63
.LBB160_73:                             ;   in Loop: Header=BB160_15 Depth=1
	s_or_b32 exec_lo, exec_lo, s45
.LBB160_74:                             ;   in Loop: Header=BB160_15 Depth=1
	s_delay_alu instid0(SALU_CYCLE_1)
	s_or_b32 exec_lo, exec_lo, s44
.LBB160_75:                             ;   in Loop: Header=BB160_15 Depth=1
	s_and_saveexec_b32 s7, s2
	s_cbranch_execz .LBB160_80
; %bb.76:                               ;   in Loop: Header=BB160_15 Depth=1
	s_mov_b32 s44, exec_lo
	s_mov_b64 s[8:9], -1
.LBB160_77:                             ;   Parent Loop BB160_15 Depth=1
                                        ; =>  This Inner Loop Header: Depth=2
	s_ctz_i32_b32 s45, s44
	s_delay_alu instid0(SALU_CYCLE_1) | instskip(SKIP_1) | instid1(VALU_DEP_1)
	v_readlane_b32 s47, v31, s45
	v_readlane_b32 s46, v30, s45
	v_cmp_lt_u64_e64 s57, s[8:9], s[46:47]
	s_delay_alu instid0(VALU_DEP_1) | instskip(SKIP_3) | instid1(SALU_CYCLE_1)
	s_and_b32 s57, s57, exec_lo
	s_cselect_b32 s9, s9, s47
	s_cselect_b32 s8, s8, s46
	s_lshl_b32 s45, 1, s45
	s_and_not1_b32 s44, s44, s45
	s_delay_alu instid0(SALU_CYCLE_1)
	s_cmp_lg_u32 s44, 0
	s_cbranch_scc1 .LBB160_77
; %bb.78:                               ;   in Loop: Header=BB160_15 Depth=1
	v_mbcnt_lo_u32_b32 v4, exec_lo, 0
	s_mov_b32 s44, exec_lo
	s_delay_alu instid0(VALU_DEP_1)
	v_cmpx_eq_u32_e32 0, v4
	s_xor_b32 s44, exec_lo, s44
	s_cbranch_execz .LBB160_80
; %bb.79:                               ;   in Loop: Header=BB160_15 Depth=1
	v_dual_mov_b32 v4, s8 :: v_dual_mov_b32 v5, s9
	ds_min_u64 v17, v[4:5] offset:20544
.LBB160_80:                             ;   in Loop: Header=BB160_15 Depth=1
	s_or_b32 exec_lo, exec_lo, s7
	s_waitcnt lgkmcnt(0)
	s_waitcnt_vscnt null, 0x0
	s_barrier
	buffer_gl0_inv
	ds_load_b32 v4, v54
	s_waitcnt lgkmcnt(0)
	s_barrier
	buffer_gl0_inv
	s_and_saveexec_b32 s7, s3
	s_cbranch_execz .LBB160_82
; %bb.81:                               ;   in Loop: Header=BB160_15 Depth=1
	ds_load_b32 v5, v55
	s_waitcnt lgkmcnt(0)
	v_add_nc_u32_e32 v4, v5, v4
.LBB160_82:                             ;   in Loop: Header=BB160_15 Depth=1
	s_or_b32 exec_lo, exec_lo, s7
	s_barrier
	buffer_gl0_inv
	ds_store_b32 v54, v4
	s_waitcnt lgkmcnt(0)
	s_barrier
	buffer_gl0_inv
	s_and_saveexec_b32 s7, s4
	s_cbranch_execz .LBB160_84
; %bb.83:                               ;   in Loop: Header=BB160_15 Depth=1
	ds_load_b32 v5, v57
	s_waitcnt lgkmcnt(0)
	v_add_nc_u32_e32 v4, v5, v4
.LBB160_84:                             ;   in Loop: Header=BB160_15 Depth=1
	s_or_b32 exec_lo, exec_lo, s7
	s_barrier
	buffer_gl0_inv
	ds_store_b32 v54, v4
	;; [unrolled: 14-line block ×4, first 2 shown]
	s_waitcnt lgkmcnt(0)
	s_barrier
	buffer_gl0_inv
	ds_load_b32 v6, v17 offset:20540
	v_mov_b32_e32 v5, 0
	s_and_saveexec_b32 s7, s50
	s_cbranch_execz .LBB160_90
; %bb.89:                               ;   in Loop: Header=BB160_15 Depth=1
	ds_load_b32 v5, v55
.LBB160_90:                             ;   in Loop: Header=BB160_15 Depth=1
	s_or_b32 exec_lo, exec_lo, s7
	s_waitcnt lgkmcnt(0)
	v_cmp_eq_u32_e32 vcc_lo, v4, v5
	s_barrier
	buffer_gl0_inv
	s_and_b32 s8, s50, vcc_lo
	s_delay_alu instid0(SALU_CYCLE_1)
	s_and_saveexec_b32 s7, s8
	s_cbranch_execz .LBB160_92
; %bb.91:                               ;   in Loop: Header=BB160_15 Depth=1
	ds_store_b32 v54, v17
.LBB160_92:                             ;   in Loop: Header=BB160_15 Depth=1
	s_or_b32 exec_lo, exec_lo, s7
	v_add_co_u32 v7, vcc_lo, v24, -1
	v_add_co_ci_u32_e32 v28, vcc_lo, -1, v25, vcc_lo
	v_add_co_u32 v26, vcc_lo, s26, v26
	v_add_co_ci_u32_e32 v27, vcc_lo, 0, v27, vcc_lo
	v_dual_mov_b32 v29, v67 :: v_dual_mov_b32 v30, v48
	v_dual_mov_b32 v4, v16 :: v_dual_mov_b32 v5, v17
	s_mov_b32 s7, 0
	s_waitcnt lgkmcnt(0)
	s_barrier
	buffer_gl0_inv
	s_branch .LBB160_94
.LBB160_93:                             ;   in Loop: Header=BB160_94 Depth=2
	s_or_b32 exec_lo, exec_lo, s8
	v_add_co_u32 v4, vcc_lo, v4, 4
	v_add_co_ci_u32_e32 v5, vcc_lo, 0, v5, vcc_lo
	v_add_nc_u32_e32 v30, 0x1000, v30
	s_delay_alu instid0(VALU_DEP_3) | instskip(SKIP_1) | instid1(VALU_DEP_2)
	v_add_nc_u32_e32 v31, -4, v4
	v_add_nc_u32_e32 v29, 16, v29
	v_cmp_lt_u32_e32 vcc_lo, 11, v31
	s_or_b32 s7, vcc_lo, s7
	s_delay_alu instid0(SALU_CYCLE_1)
	s_and_not1_b32 exec_lo, exec_lo, s7
	s_cbranch_execz .LBB160_14
.LBB160_94:                             ;   Parent Loop BB160_15 Depth=1
                                        ; =>  This Inner Loop Header: Depth=2
	ds_load_b32 v31, v29
	s_mov_b32 s8, exec_lo
	s_waitcnt lgkmcnt(0)
	v_cmpx_ne_u32_e32 0, v31
	s_cbranch_execz .LBB160_93
; %bb.95:                               ;   in Loop: Header=BB160_94 Depth=2
	v_ashrrev_i32_e32 v32, 31, v31
	v_add_co_u32 v33, vcc_lo, v24, v31
	s_delay_alu instid0(VALU_DEP_2) | instskip(SKIP_2) | instid1(VALU_DEP_3)
	v_add_co_ci_u32_e32 v34, vcc_lo, v25, v32, vcc_lo
	v_add_co_u32 v35, vcc_lo, v26, v4
	v_add_co_ci_u32_e32 v36, vcc_lo, v27, v5, vcc_lo
	v_lshlrev_b64 v[33:34], 3, v[33:34]
	s_delay_alu instid0(VALU_DEP_1) | instskip(NEXT) | instid1(VALU_DEP_2)
	v_add_co_u32 v33, vcc_lo, s55, v33
	v_add_co_ci_u32_e32 v34, vcc_lo, s56, v34, vcc_lo
	global_store_b64 v[33:34], v[35:36], off
	s_and_b32 exec_lo, exec_lo, s52
	s_cbranch_execz .LBB160_93
; %bb.96:                               ;   in Loop: Header=BB160_94 Depth=2
	v_add_co_u32 v31, vcc_lo, v7, v31
	v_add_co_ci_u32_e32 v32, vcc_lo, v28, v32, vcc_lo
	s_delay_alu instid0(VALU_DEP_2) | instskip(SKIP_1) | instid1(VALU_DEP_3)
	v_mul_lo_u32 v38, v31, s15
	v_mad_u64_u32 v[35:36], null, v31, s14, 0
	v_mul_lo_u32 v37, v32, s14
	ds_load_2addr_b64 v[31:34], v30 offset1:1
	v_add3_u32 v36, v36, v38, v37
	s_delay_alu instid0(VALU_DEP_1) | instskip(NEXT) | instid1(VALU_DEP_1)
	v_lshlrev_b64 v[35:36], 4, v[35:36]
	v_add_co_u32 v35, vcc_lo, v61, v35
	s_delay_alu instid0(VALU_DEP_2)
	v_add_co_ci_u32_e32 v36, vcc_lo, v60, v36, vcc_lo
	s_waitcnt lgkmcnt(0)
	global_store_b128 v[35:36], v[31:34], off
	s_branch .LBB160_93
.LBB160_97:
	s_endpgm
	.section	.rodata,"a",@progbits
	.p2align	6, 0x0
	.amdhsa_kernel _ZN9rocsparseL38bsrgemm_block_per_row_atomic_multipassILj256ELj16ELj8Ell21rocsparse_complex_numIdEEEv20rocsparse_direction_T3_S4_PKS4_S6_NS_24const_host_device_scalarIT4_EEPKT2_S6_PKS8_SC_S6_SE_S9_SC_S6_SE_SC_PS4_PS8_PSA_21rocsparse_index_base_SI_SI_SI_bbb
		.amdhsa_group_segment_fixed_size 20552
		.amdhsa_private_segment_fixed_size 24
		.amdhsa_kernarg_size 196
		.amdhsa_user_sgpr_count 15
		.amdhsa_user_sgpr_dispatch_ptr 0
		.amdhsa_user_sgpr_queue_ptr 0
		.amdhsa_user_sgpr_kernarg_segment_ptr 1
		.amdhsa_user_sgpr_dispatch_id 0
		.amdhsa_user_sgpr_private_segment_size 0
		.amdhsa_wavefront_size32 1
		.amdhsa_uses_dynamic_stack 0
		.amdhsa_enable_private_segment 1
		.amdhsa_system_sgpr_workgroup_id_x 1
		.amdhsa_system_sgpr_workgroup_id_y 0
		.amdhsa_system_sgpr_workgroup_id_z 0
		.amdhsa_system_sgpr_workgroup_info 0
		.amdhsa_system_vgpr_workitem_id 0
		.amdhsa_next_free_vgpr 77
		.amdhsa_next_free_sgpr 62
		.amdhsa_reserve_vcc 1
		.amdhsa_float_round_mode_32 0
		.amdhsa_float_round_mode_16_64 0
		.amdhsa_float_denorm_mode_32 3
		.amdhsa_float_denorm_mode_16_64 3
		.amdhsa_dx10_clamp 1
		.amdhsa_ieee_mode 1
		.amdhsa_fp16_overflow 0
		.amdhsa_workgroup_processor_mode 1
		.amdhsa_memory_ordered 1
		.amdhsa_forward_progress 0
		.amdhsa_shared_vgpr_count 0
		.amdhsa_exception_fp_ieee_invalid_op 0
		.amdhsa_exception_fp_denorm_src 0
		.amdhsa_exception_fp_ieee_div_zero 0
		.amdhsa_exception_fp_ieee_overflow 0
		.amdhsa_exception_fp_ieee_underflow 0
		.amdhsa_exception_fp_ieee_inexact 0
		.amdhsa_exception_int_div_zero 0
	.end_amdhsa_kernel
	.section	.text._ZN9rocsparseL38bsrgemm_block_per_row_atomic_multipassILj256ELj16ELj8Ell21rocsparse_complex_numIdEEEv20rocsparse_direction_T3_S4_PKS4_S6_NS_24const_host_device_scalarIT4_EEPKT2_S6_PKS8_SC_S6_SE_S9_SC_S6_SE_SC_PS4_PS8_PSA_21rocsparse_index_base_SI_SI_SI_bbb,"axG",@progbits,_ZN9rocsparseL38bsrgemm_block_per_row_atomic_multipassILj256ELj16ELj8Ell21rocsparse_complex_numIdEEEv20rocsparse_direction_T3_S4_PKS4_S6_NS_24const_host_device_scalarIT4_EEPKT2_S6_PKS8_SC_S6_SE_S9_SC_S6_SE_SC_PS4_PS8_PSA_21rocsparse_index_base_SI_SI_SI_bbb,comdat
.Lfunc_end160:
	.size	_ZN9rocsparseL38bsrgemm_block_per_row_atomic_multipassILj256ELj16ELj8Ell21rocsparse_complex_numIdEEEv20rocsparse_direction_T3_S4_PKS4_S6_NS_24const_host_device_scalarIT4_EEPKT2_S6_PKS8_SC_S6_SE_S9_SC_S6_SE_SC_PS4_PS8_PSA_21rocsparse_index_base_SI_SI_SI_bbb, .Lfunc_end160-_ZN9rocsparseL38bsrgemm_block_per_row_atomic_multipassILj256ELj16ELj8Ell21rocsparse_complex_numIdEEEv20rocsparse_direction_T3_S4_PKS4_S6_NS_24const_host_device_scalarIT4_EEPKT2_S6_PKS8_SC_S6_SE_S9_SC_S6_SE_SC_PS4_PS8_PSA_21rocsparse_index_base_SI_SI_SI_bbb
                                        ; -- End function
	.section	.AMDGPU.csdata,"",@progbits
; Kernel info:
; codeLenInByte = 4444
; NumSgprs: 64
; NumVgprs: 77
; ScratchSize: 24
; MemoryBound: 0
; FloatMode: 240
; IeeeMode: 1
; LDSByteSize: 20552 bytes/workgroup (compile time only)
; SGPRBlocks: 7
; VGPRBlocks: 9
; NumSGPRsForWavesPerEU: 64
; NumVGPRsForWavesPerEU: 77
; Occupancy: 12
; WaveLimiterHint : 1
; COMPUTE_PGM_RSRC2:SCRATCH_EN: 1
; COMPUTE_PGM_RSRC2:USER_SGPR: 15
; COMPUTE_PGM_RSRC2:TRAP_HANDLER: 0
; COMPUTE_PGM_RSRC2:TGID_X_EN: 1
; COMPUTE_PGM_RSRC2:TGID_Y_EN: 0
; COMPUTE_PGM_RSRC2:TGID_Z_EN: 0
; COMPUTE_PGM_RSRC2:TIDIG_COMP_CNT: 0
	.section	.text._ZN9rocsparseL38bsrgemm_block_per_row_atomic_multipassILj256ELj32ELj8Ell21rocsparse_complex_numIdEEEv20rocsparse_direction_T3_S4_PKS4_S6_NS_24const_host_device_scalarIT4_EEPKT2_S6_PKS8_SC_S6_SE_S9_SC_S6_SE_SC_PS4_PS8_PSA_21rocsparse_index_base_SI_SI_SI_bbb,"axG",@progbits,_ZN9rocsparseL38bsrgemm_block_per_row_atomic_multipassILj256ELj32ELj8Ell21rocsparse_complex_numIdEEEv20rocsparse_direction_T3_S4_PKS4_S6_NS_24const_host_device_scalarIT4_EEPKT2_S6_PKS8_SC_S6_SE_S9_SC_S6_SE_SC_PS4_PS8_PSA_21rocsparse_index_base_SI_SI_SI_bbb,comdat
	.globl	_ZN9rocsparseL38bsrgemm_block_per_row_atomic_multipassILj256ELj32ELj8Ell21rocsparse_complex_numIdEEEv20rocsparse_direction_T3_S4_PKS4_S6_NS_24const_host_device_scalarIT4_EEPKT2_S6_PKS8_SC_S6_SE_S9_SC_S6_SE_SC_PS4_PS8_PSA_21rocsparse_index_base_SI_SI_SI_bbb ; -- Begin function _ZN9rocsparseL38bsrgemm_block_per_row_atomic_multipassILj256ELj32ELj8Ell21rocsparse_complex_numIdEEEv20rocsparse_direction_T3_S4_PKS4_S6_NS_24const_host_device_scalarIT4_EEPKT2_S6_PKS8_SC_S6_SE_S9_SC_S6_SE_SC_PS4_PS8_PSA_21rocsparse_index_base_SI_SI_SI_bbb
	.p2align	8
	.type	_ZN9rocsparseL38bsrgemm_block_per_row_atomic_multipassILj256ELj32ELj8Ell21rocsparse_complex_numIdEEEv20rocsparse_direction_T3_S4_PKS4_S6_NS_24const_host_device_scalarIT4_EEPKT2_S6_PKS8_SC_S6_SE_S9_SC_S6_SE_SC_PS4_PS8_PSA_21rocsparse_index_base_SI_SI_SI_bbb,@function
_ZN9rocsparseL38bsrgemm_block_per_row_atomic_multipassILj256ELj32ELj8Ell21rocsparse_complex_numIdEEEv20rocsparse_direction_T3_S4_PKS4_S6_NS_24const_host_device_scalarIT4_EEPKT2_S6_PKS8_SC_S6_SE_S9_SC_S6_SE_SC_PS4_PS8_PSA_21rocsparse_index_base_SI_SI_SI_bbb: ; @_ZN9rocsparseL38bsrgemm_block_per_row_atomic_multipassILj256ELj32ELj8Ell21rocsparse_complex_numIdEEEv20rocsparse_direction_T3_S4_PKS4_S6_NS_24const_host_device_scalarIT4_EEPKT2_S6_PKS8_SC_S6_SE_S9_SC_S6_SE_SC_PS4_PS8_PSA_21rocsparse_index_base_SI_SI_SI_bbb
; %bb.0:
	s_mov_b32 s42, s15
	s_load_b32 s12, s[2:3], 0xc0
	s_load_b64 s[14:15], s[0:1], 0x4
	v_dual_mov_b32 v12, 0 :: v_dual_and_b32 v1, 0x3ff, v0
	s_clause 0x1
	s_load_b128 s[8:11], s[2:3], 0x28
	s_load_b128 s[4:7], s[2:3], 0x68
	v_bfe_u32 v3, v0, 10, 10
	s_load_b128 s[28:31], s[2:3], 0xb0
	v_bfe_u32 v0, v0, 20, 10
	v_mov_b32_e32 v13, 0
	s_waitcnt lgkmcnt(0)
	s_bitcmp1_b32 s12, 0
	s_cselect_b32 s41, -1, 0
	s_bitcmp1_b32 s12, 16
	v_mov_b32_e32 v4, s4
	s_cselect_b32 s0, -1, 0
	s_lshr_b32 s1, s14, 16
	s_delay_alu instid0(SALU_CYCLE_1) | instskip(NEXT) | instid1(SALU_CYCLE_1)
	s_mul_i32 s1, s1, s15
	v_mul_lo_u32 v2, s1, v1
	s_xor_b32 s1, s0, -1
	s_bitcmp0_b32 s12, 0
	v_cndmask_b32_e64 v6, 0, 1, s1
	s_delay_alu instid0(VALU_DEP_2) | instskip(NEXT) | instid1(VALU_DEP_2)
	v_mad_u32_u24 v2, v3, s15, v2
	v_cmp_ne_u32_e32 vcc_lo, 1, v6
	s_delay_alu instid0(VALU_DEP_2) | instskip(SKIP_3) | instid1(VALU_DEP_4)
	v_add_lshl_u32 v0, v2, v0, 3
	v_dual_mov_b32 v2, s8 :: v_dual_mov_b32 v3, s9
	v_mov_b32_e32 v5, s5
	v_dual_mov_b32 v15, v13 :: v_dual_mov_b32 v14, v12
	v_dual_mov_b32 v17, v13 :: v_dual_add_nc_u32 v6, 0x88, v0
	v_mov_b32_e32 v16, v12
	ds_store_2addr_stride64_b64 v6, v[4:5], v[2:3] offset0:72 offset1:76
	s_cbranch_scc1 .LBB161_3
; %bb.1:
	s_mov_b64 s[14:15], src_shared_base
	s_and_b32 s13, s0, exec_lo
	s_cselect_b32 s13, s15, s9
	s_delay_alu instid0(SALU_CYCLE_1) | instskip(SKIP_2) | instid1(VALU_DEP_2)
	v_dual_mov_b32 v3, s13 :: v_dual_add_nc_u32 v2, 0x9888, v0
	v_dual_mov_b32 v17, s11 :: v_dual_mov_b32 v16, s10
	s_and_b32 vcc_lo, exec_lo, vcc_lo
	v_cndmask_b32_e64 v2, s8, v2, s0
	flat_load_b64 v[14:15], v[2:3]
	s_cbranch_vccnz .LBB161_3
; %bb.2:
	v_dual_mov_b32 v2, s8 :: v_dual_mov_b32 v3, s9
	flat_load_b64 v[16:17], v[2:3] offset:8
.LBB161_3:
	s_load_b64 s[8:9], s[2:3], 0x20
	s_bitcmp1_b32 s12, 8
	v_dual_mov_b32 v19, v13 :: v_dual_mov_b32 v18, v12
	s_cselect_b32 s33, -1, 0
	s_bfe_u32 s10, s12, 0x10008
	s_delay_alu instid0(SALU_CYCLE_1)
	s_cmp_eq_u32 s10, 0
	s_cbranch_scc1 .LBB161_6
; %bb.4:
	s_mov_b64 s[10:11], src_shared_base
	s_and_b32 s10, s0, exec_lo
	s_cselect_b32 s10, s11, s5
	s_delay_alu instid0(SALU_CYCLE_1) | instskip(SKIP_2) | instid1(VALU_DEP_2)
	v_dual_mov_b32 v3, s10 :: v_dual_add_nc_u32 v0, 0x9088, v0
	v_dual_mov_b32 v13, s7 :: v_dual_mov_b32 v12, s6
	s_and_not1_b32 vcc_lo, exec_lo, s1
	v_cndmask_b32_e64 v2, s4, v0, s0
	flat_load_b64 v[18:19], v[2:3]
	s_cbranch_vccnz .LBB161_6
; %bb.5:
	v_dual_mov_b32 v2, s4 :: v_dual_mov_b32 v3, s5
	flat_load_b64 v[12:13], v[2:3] offset:8
.LBB161_6:
	s_load_b64 s[0:1], s[2:3], 0x38
	s_waitcnt lgkmcnt(0)
	s_cmp_eq_u64 s[8:9], 0
	s_mov_b32 s43, 0
	s_cbranch_scc1 .LBB161_8
; %bb.7:
	s_load_b64 s[4:5], s[2:3], 0x18
	s_waitcnt lgkmcnt(0)
	s_load_b64 s[4:5], s[4:5], 0x0
	s_waitcnt lgkmcnt(0)
	s_lshl_b64 s[4:5], s[4:5], 3
	s_delay_alu instid0(SALU_CYCLE_1) | instskip(SKIP_2) | instid1(SALU_CYCLE_1)
	s_add_u32 s6, s8, s4
	s_addc_u32 s7, s9, s5
	s_lshl_b64 s[4:5], s[42:43], 3
	s_add_u32 s4, s6, s4
	s_addc_u32 s5, s7, s5
	s_load_b64 s[42:43], s[4:5], 0x0
.LBB161_8:
	s_mov_b64 s[34:35], 0
	s_and_not1_b32 vcc_lo, exec_lo, s41
	s_mov_b64 s[48:49], 0
	s_cbranch_vccz .LBB161_11
; %bb.9:
	s_and_not1_b32 vcc_lo, exec_lo, s41
	s_cbranch_vccz .LBB161_12
.LBB161_10:
	s_load_b128 s[36:39], s[2:3], 0x8
	s_waitcnt lgkmcnt(0)
	v_cmp_lt_i64_e64 s0, s[36:37], 1
	s_delay_alu instid0(VALU_DEP_1)
	s_and_b32 vcc_lo, exec_lo, s0
	s_cbranch_vccz .LBB161_13
	s_branch .LBB161_99
.LBB161_11:
	s_waitcnt lgkmcnt(0)
	s_lshl_b64 s[4:5], s[42:43], 3
	s_delay_alu instid0(SALU_CYCLE_1)
	s_add_u32 s4, s0, s4
	s_addc_u32 s5, s1, s5
	s_load_b64 s[4:5], s[4:5], 0x0
	s_waitcnt lgkmcnt(0)
	s_sub_u32 s48, s4, s28
	s_subb_u32 s49, s5, 0
	s_and_not1_b32 vcc_lo, exec_lo, s41
	s_cbranch_vccnz .LBB161_10
.LBB161_12:
	s_waitcnt lgkmcnt(0)
	s_lshl_b64 s[4:5], s[42:43], 3
	s_delay_alu instid0(SALU_CYCLE_1)
	s_add_u32 s0, s0, s4
	s_addc_u32 s1, s1, s5
	s_load_b64 s[0:1], s[0:1], 0x8
	s_waitcnt lgkmcnt(0)
	s_sub_u32 s34, s0, s28
	s_subb_u32 s35, s1, 0
	s_load_b128 s[36:39], s[2:3], 0x8
	s_waitcnt lgkmcnt(0)
	v_cmp_lt_i64_e64 s0, s[36:37], 1
	s_delay_alu instid0(VALU_DEP_1)
	s_and_b32 vcc_lo, exec_lo, s0
	s_cbranch_vccnz .LBB161_99
.LBB161_13:
	v_bfe_u32 v2, v1, 3, 3
	s_clause 0x4
	s_load_b256 s[12:19], s[2:3], 0x78
	s_load_b64 s[50:51], s[2:3], 0xa8
	s_load_b128 s[44:47], s[2:3], 0x98
	s_load_b64 s[10:11], s[2:3], 0x60
	s_load_b256 s[20:27], s[2:3], 0x40
	s_lshl_b64 s[6:7], s[42:43], 3
	s_load_b32 s5, s[2:3], 0x0
	s_mul_i32 s4, s38, s39
	v_mad_u64_u32 v[4:5], null, v2, s38, 0
	v_and_b32_e32 v10, 63, v1
	s_mul_hi_u32 s8, s38, s38
	v_lshrrev_b32_e32 v20, 6, v1
	v_cmp_lt_i64_e64 s9, s[48:49], s[34:35]
	v_cmp_gt_u32_e64 s0, 32, v1
	v_cmp_eq_u32_e64 s1, 0, v1
	v_mov_b32_e32 v3, v5
	v_dual_mov_b32 v30, 0 :: v_dual_and_b32 v53, 56, v1
	v_lshl_or_b32 v58, v1, 2, 0x9000
	s_waitcnt lgkmcnt(0)
	s_add_u32 s2, s18, s6
	v_mad_u64_u32 v[8:9], null, v2, s39, v[3:4]
	s_addc_u32 s3, s19, s7
	v_mov_b32_e32 v0, 0
	s_load_b64 s[2:3], s[2:3], 0x0
	s_mov_b32 s40, 0
	v_lshl_or_b32 v69, v20, 2, 0x9000
	s_mov_b32 s42, s40
	s_delay_alu instid0(VALU_DEP_3) | instskip(SKIP_2) | instid1(VALU_DEP_3)
	v_dual_mov_b32 v5, v8 :: v_dual_and_b32 v22, 7, v1
	v_dual_mov_b32 v21, v0 :: v_dual_lshlrev_b32 v50, 4, v1
	v_mov_b32_e32 v23, v0
	v_lshlrev_b64 v[4:5], 4, v[4:5]
	s_delay_alu instid0(VALU_DEP_4) | instskip(SKIP_4) | instid1(VALU_DEP_2)
	v_mad_u64_u32 v[6:7], null, v22, s38, 0
	v_dual_mov_b32 v3, v0 :: v_dual_lshlrev_b32 v24, 4, v22
	s_mov_b32 s43, s40
	v_or_b32_e32 v51, 0x8000, v50
	s_mul_i32 s18, s38, s38
	v_cmp_gt_u64_e32 vcc_lo, s[38:39], v[2:3]
	s_delay_alu instid0(VALU_DEP_4)
	v_mad_u64_u32 v[8:9], null, v22, s39, v[7:8]
	s_waitcnt lgkmcnt(0)
	s_sub_u32 s52, s2, s30
	s_subb_u32 s53, s3, 0
	s_add_i32 s2, s8, s4
	v_cmp_gt_i64_e64 s3, s[38:39], v[22:23]
	s_add_i32 s19, s2, s4
	v_add_co_u32 v9, s2, s22, v4
	v_mov_b32_e32 v7, v8
	v_add_co_ci_u32_e64 v11, s2, s23, v5, s2
	v_cmp_gt_i64_e64 s2, s[38:39], v[2:3]
	s_delay_alu instid0(VALU_DEP_4) | instskip(NEXT) | instid1(VALU_DEP_4)
	v_add_co_u32 v23, s4, v9, v24
	v_lshlrev_b64 v[6:7], 4, v[6:7]
	v_lshlrev_b64 v[8:9], 4, v[2:3]
	v_add_co_ci_u32_e64 v52, s4, 0, v11, s4
	s_and_b32 s54, s3, s2
	s_cmp_eq_u32 s5, 0
	s_delay_alu instid0(VALU_DEP_3) | instskip(NEXT) | instid1(VALU_DEP_1)
	v_add_co_u32 v3, s2, s46, v6
	v_add_co_ci_u32_e64 v11, s2, s47, v7, s2
	v_add_co_u32 v26, s2, s46, v4
	s_delay_alu instid0(VALU_DEP_1) | instskip(NEXT) | instid1(VALU_DEP_4)
	v_add_co_ci_u32_e64 v27, s2, s47, v5, s2
	v_add_co_u32 v3, s2, v3, v8
	s_delay_alu instid0(VALU_DEP_1) | instskip(NEXT) | instid1(VALU_DEP_4)
	v_add_co_ci_u32_e64 v11, s2, v11, v9, s2
	v_add_co_u32 v26, s2, v26, v24
	s_delay_alu instid0(VALU_DEP_1) | instskip(SKIP_1) | instid1(VALU_DEP_1)
	v_add_co_ci_u32_e64 v27, s2, 0, v27, s2
	v_add_co_u32 v6, s2, s16, v6
	v_add_co_ci_u32_e64 v7, s2, s17, v7, s2
	v_sub_co_u32 v54, s2, v20, s31
	s_delay_alu instid0(VALU_DEP_1) | instskip(NEXT) | instid1(VALU_DEP_4)
	v_sub_co_ci_u32_e64 v55, null, 0, 0, s2
	v_add_co_u32 v6, s2, v6, v8
	v_and_b32_e32 v8, 31, v1
	v_add_co_ci_u32_e64 v7, s2, v7, v9, s2
	v_add_co_u32 v4, s2, s16, v4
	s_delay_alu instid0(VALU_DEP_1) | instskip(SKIP_2) | instid1(VALU_DEP_2)
	v_add_co_ci_u32_e64 v5, s2, s17, v5, s2
	s_cselect_b32 s8, -1, 0
	s_cmp_lg_u32 s5, 0
	v_add_co_u32 v4, s2, v4, v24
	s_cselect_b32 s46, -1, 0
	s_add_u32 s12, s12, s6
	v_add_co_ci_u32_e64 v5, s2, 0, v5, s2
	v_or_b32_e32 v1, 0x400, v1
	v_lshlrev_b32_e32 v2, 4, v2
	s_addc_u32 s13, s13, s7
	s_and_b32 s55, s41, s9
	s_and_b32 s56, s3, vcc_lo
	s_add_u32 s57, s24, 8
	s_addc_u32 s58, s25, 0
	v_dual_mov_b32 v32, 32 :: v_dual_lshlrev_b32 v9, 2, v8
	v_add_co_u32 v28, s47, v8, -1
	s_add_u32 s59, s44, -8
	v_cndmask_b32_e64 v63, v11, v27, s8
	v_cndmask_b32_e64 v64, v3, v26, s8
	;; [unrolled: 1-line block ×4, first 2 shown]
	v_cmp_gt_u32_e64 s8, 0x700, v1
	s_addc_u32 s60, s45, -1
	v_mov_b32_e32 v33, 0
	v_lshl_or_b32 v1, v20, 10, v2
	s_add_u32 s16, s10, 8
	s_addc_u32 s17, s11, 0
	s_movk_i32 s9, 0xf80
	v_add_co_u32 v26, s10, s16, v24
	s_mov_b32 s41, s40
	v_lshl_add_u32 v57, v28, 2, 0x9000
	v_dual_mov_b32 v28, s52 :: v_dual_add_nc_u32 v59, 0x8ff8, v9
	v_dual_mov_b32 v4, s40 :: v_dual_add_nc_u32 v61, 0x8fe0, v9
	;; [unrolled: 1-line block ×3, first 2 shown]
	v_cmp_eq_u32_e64 s2, 63, v10
	v_or_b32_e32 v56, 0x9000, v9
	v_cmp_ne_u32_e64 s3, 0, v8
	v_cmp_lt_u32_e64 s4, 1, v8
	v_cmp_lt_u32_e64 s5, 3, v8
	;; [unrolled: 1-line block ×4, first 2 shown]
	v_dual_mov_b32 v31, 0 :: v_dual_add_nc_u32 v62, 0x8fc0, v9
	v_dual_mov_b32 v6, s42 :: v_dual_add_nc_u32 v67, 0x8000, v1
	v_add_co_ci_u32_e64 v27, null, s17, 0, s10
	v_and_or_b32 v68, v50, s9, 0x8000
	v_dual_mov_b32 v29, s53 :: v_dual_mov_b32 v70, 1
	v_mov_b32_e32 v5, s41
	v_mov_b32_e32 v7, s43
	s_lshl_b64 s[22:23], s[38:39], 4
	s_lshl_b64 s[40:41], s[18:19], 4
	s_branch .LBB161_15
.LBB161_14:                             ;   in Loop: Header=BB161_15 Depth=1
	s_or_b32 exec_lo, exec_lo, s9
	s_waitcnt_vscnt null, 0x0
	s_barrier
	buffer_gl0_inv
	ds_load_b64 v[30:31], v0 offset:36992
	v_ashrrev_i32_e32 v1, 31, v3
	v_add_co_u32 v28, vcc_lo, v28, v3
	s_waitcnt lgkmcnt(0)
	s_barrier
	s_delay_alu instid0(VALU_DEP_2) | instskip(SKIP_3) | instid1(VALU_DEP_1)
	v_add_co_ci_u32_e32 v29, vcc_lo, v29, v1, vcc_lo
	buffer_gl0_inv
	v_cmp_le_i64_e32 vcc_lo, s[36:37], v[30:31]
	v_add_co_u32 v32, s9, v30, 32
	v_add_co_ci_u32_e64 v33, s9, 0, v31, s9
	s_cbranch_vccnz .LBB161_99
.LBB161_15:                             ; =>This Loop Header: Depth=1
                                        ;     Child Loop BB161_24 Depth 2
                                        ;       Child Loop BB161_39 Depth 3
                                        ;         Child Loop BB161_51 Depth 4
                                        ;         Child Loop BB161_47 Depth 4
	;; [unrolled: 1-line block ×4, first 2 shown]
                                        ;     Child Loop BB161_65 Depth 2
                                        ;       Child Loop BB161_70 Depth 3
                                        ;       Child Loop BB161_72 Depth 3
                                        ;     Child Loop BB161_77 Depth 2
                                        ;     Child Loop BB161_96 Depth 2
	s_and_saveexec_b32 s9, s0
	s_cbranch_execz .LBB161_17
; %bb.16:                               ;   in Loop: Header=BB161_15 Depth=1
	ds_store_b32 v58, v0
.LBB161_17:                             ;   in Loop: Header=BB161_15 Depth=1
	s_or_b32 exec_lo, exec_lo, s9
	ds_store_b128 v50, v[4:7]
	ds_store_b128 v50, v[4:7] offset:4096
	ds_store_b128 v50, v[4:7] offset:8192
	;; [unrolled: 1-line block ×4, first 2 shown]
	s_and_saveexec_b32 s9, s8
	s_delay_alu instid0(SALU_CYCLE_1)
	s_xor_b32 s9, exec_lo, s9
	s_cbranch_execz .LBB161_19
; %bb.18:                               ;   in Loop: Header=BB161_15 Depth=1
	ds_store_b128 v50, v[4:7] offset:20480
	ds_store_b128 v50, v[4:7] offset:24576
	;; [unrolled: 1-line block ×3, first 2 shown]
.LBB161_19:                             ;   in Loop: Header=BB161_15 Depth=1
	s_or_b32 exec_lo, exec_lo, s9
	s_and_saveexec_b32 s9, s1
	s_cbranch_execz .LBB161_21
; %bb.20:                               ;   in Loop: Header=BB161_15 Depth=1
	v_dual_mov_b32 v1, s36 :: v_dual_mov_b32 v2, s37
	ds_store_b64 v0, v[1:2] offset:36992
.LBB161_21:                             ;   in Loop: Header=BB161_15 Depth=1
	s_or_b32 exec_lo, exec_lo, s9
	v_dual_mov_b32 v34, s36 :: v_dual_mov_b32 v35, s37
	s_and_not1_b32 vcc_lo, exec_lo, s55
	s_waitcnt vmcnt(0) lgkmcnt(0)
	s_barrier
	buffer_gl0_inv
	s_cbranch_vccnz .LBB161_60
; %bb.22:                               ;   in Loop: Header=BB161_15 Depth=1
	v_cmp_ne_u64_e64 s9, 0, v[30:31]
	v_dual_mov_b32 v34, s36 :: v_dual_mov_b32 v35, s37
	s_mov_b64 s[42:43], s[48:49]
	s_branch .LBB161_24
.LBB161_23:                             ;   in Loop: Header=BB161_24 Depth=2
	s_or_b32 exec_lo, exec_lo, s11
	s_add_u32 s42, s42, 4
	s_addc_u32 s43, s43, 0
	s_delay_alu instid0(SALU_CYCLE_1) | instskip(NEXT) | instid1(VALU_DEP_1)
	v_cmp_lt_i64_e64 s10, s[42:43], s[34:35]
	s_and_b32 vcc_lo, exec_lo, s10
	s_cbranch_vccz .LBB161_60
.LBB161_24:                             ;   Parent Loop BB161_15 Depth=1
                                        ; =>  This Loop Header: Depth=2
                                        ;       Child Loop BB161_39 Depth 3
                                        ;         Child Loop BB161_51 Depth 4
                                        ;         Child Loop BB161_47 Depth 4
	;; [unrolled: 1-line block ×4, first 2 shown]
	v_add_co_u32 v10, s10, s42, v20
	s_delay_alu instid0(VALU_DEP_1) | instskip(NEXT) | instid1(VALU_DEP_1)
	v_add_co_ci_u32_e64 v11, null, s43, 0, s10
	s_waitcnt_vscnt null, 0x0
	s_barrier
	buffer_gl0_inv
	v_cmp_gt_i64_e64 s10, s[34:35], v[10:11]
	s_delay_alu instid0(VALU_DEP_1)
	s_and_saveexec_b32 s11, s10
	s_cbranch_execz .LBB161_29
; %bb.25:                               ;   in Loop: Header=BB161_24 Depth=2
	s_and_saveexec_b32 s44, s56
	s_delay_alu instid0(SALU_CYCLE_1)
	s_xor_b32 s44, exec_lo, s44
	s_cbranch_execz .LBB161_27
; %bb.26:                               ;   in Loop: Header=BB161_24 Depth=2
	v_mul_lo_u32 v3, v11, s18
	v_mul_lo_u32 v8, v10, s19
	v_mad_u64_u32 v[1:2], null, v10, s18, 0
	s_delay_alu instid0(VALU_DEP_1) | instskip(NEXT) | instid1(VALU_DEP_1)
	v_add3_u32 v2, v2, v8, v3
	v_lshlrev_b64 v[1:2], 4, v[1:2]
	s_delay_alu instid0(VALU_DEP_1) | instskip(NEXT) | instid1(VALU_DEP_2)
	v_add_co_u32 v1, vcc_lo, v23, v1
	v_add_co_ci_u32_e32 v2, vcc_lo, v52, v2, vcc_lo
	global_load_b128 v[36:39], v[1:2], off
	s_waitcnt vmcnt(0)
	ds_store_2addr_b64 v51, v[36:37], v[38:39] offset1:1
.LBB161_27:                             ;   in Loop: Header=BB161_24 Depth=2
	s_and_not1_saveexec_b32 s44, s44
	s_cbranch_execz .LBB161_29
; %bb.28:                               ;   in Loop: Header=BB161_24 Depth=2
	v_mov_b32_e32 v1, v0
	v_mov_b32_e32 v2, v0
	;; [unrolled: 1-line block ×3, first 2 shown]
	ds_store_b128 v51, v[0:3]
.LBB161_29:                             ;   in Loop: Header=BB161_24 Depth=2
	s_or_b32 exec_lo, exec_lo, s11
	v_mov_b32_e32 v8, 0
	v_lshlrev_b64 v[1:2], 3, v[10:11]
	v_mov_b32_e32 v9, 0
	s_waitcnt lgkmcnt(0)
	s_barrier
	buffer_gl0_inv
	s_and_saveexec_b32 s52, s10
	s_cbranch_execz .LBB161_58
; %bb.30:                               ;   in Loop: Header=BB161_24 Depth=2
	v_add_co_u32 v8, vcc_lo, s20, v1
	v_add_co_ci_u32_e32 v9, vcc_lo, s21, v2, vcc_lo
	s_and_b32 vcc_lo, exec_lo, s9
	global_load_b64 v[10:11], v[8:9], off
	s_cbranch_vccz .LBB161_32
; %bb.31:                               ;   in Loop: Header=BB161_24 Depth=2
	v_add_co_u32 v8, vcc_lo, s50, v1
	v_add_co_ci_u32_e32 v9, vcc_lo, s51, v2, vcc_lo
	s_mov_b32 s11, 0
	global_load_b64 v[8:9], v[8:9], off
	s_branch .LBB161_33
.LBB161_32:                             ;   in Loop: Header=BB161_24 Depth=2
	s_mov_b32 s11, -1
                                        ; implicit-def: $vgpr8_vgpr9
.LBB161_33:                             ;   in Loop: Header=BB161_24 Depth=2
	s_waitcnt vmcnt(0)
	v_sub_co_u32 v10, vcc_lo, v10, s28
	v_subrev_co_ci_u32_e32 v11, vcc_lo, 0, v11, vcc_lo
	s_and_not1_b32 vcc_lo, exec_lo, s11
	s_delay_alu instid0(VALU_DEP_1)
	v_lshlrev_b64 v[10:11], 3, v[10:11]
	s_cbranch_vccnz .LBB161_35
; %bb.34:                               ;   in Loop: Header=BB161_24 Depth=2
	s_delay_alu instid0(VALU_DEP_1) | instskip(NEXT) | instid1(VALU_DEP_2)
	v_add_co_u32 v8, vcc_lo, s24, v10
	v_add_co_ci_u32_e32 v9, vcc_lo, s25, v11, vcc_lo
	global_load_b64 v[8:9], v[8:9], off
	s_waitcnt vmcnt(0)
	v_sub_co_u32 v8, vcc_lo, v8, s29
	v_subrev_co_ci_u32_e32 v9, vcc_lo, 0, v9, vcc_lo
.LBB161_35:                             ;   in Loop: Header=BB161_24 Depth=2
	s_delay_alu instid0(VALU_DEP_1) | instskip(NEXT) | instid1(VALU_DEP_2)
	v_add_co_u32 v10, vcc_lo, s57, v10
	v_add_co_ci_u32_e32 v11, vcc_lo, s58, v11, vcc_lo
	s_mov_b32 s53, exec_lo
	global_load_b64 v[10:11], v[10:11], off
	s_waitcnt vmcnt(0)
	v_sub_co_u32 v10, vcc_lo, v10, s29
	v_subrev_co_ci_u32_e32 v11, vcc_lo, 0, v11, vcc_lo
	s_delay_alu instid0(VALU_DEP_1)
	v_cmpx_lt_i64_e64 v[8:9], v[10:11]
	s_cbranch_execz .LBB161_57
; %bb.36:                               ;   in Loop: Header=BB161_24 Depth=2
	v_mad_u64_u32 v[40:41], null, s22, v8, v[24:25]
	v_mul_lo_u32 v3, s22, v9
	v_mul_lo_u32 v38, s23, v8
	v_mad_u64_u32 v[36:37], null, s40, v8, v[26:27]
	v_mul_lo_u32 v42, s40, v9
	s_mov_b32 s61, 0
	v_mul_lo_u32 v43, s39, v40
	s_delay_alu instid0(VALU_DEP_4) | instskip(SKIP_2) | instid1(VALU_DEP_3)
	v_add3_u32 v3, v38, v41, v3
	v_mul_lo_u32 v41, s41, v8
	v_mad_u64_u32 v[38:39], null, s38, v40, s[16:17]
	v_mul_lo_u32 v3, s38, v3
	s_delay_alu instid0(VALU_DEP_3) | instskip(SKIP_1) | instid1(VALU_DEP_3)
	v_add3_u32 v37, v41, v37, v42
	v_dual_mov_b32 v41, v9 :: v_dual_mov_b32 v40, v8
	v_add3_u32 v39, v43, v39, v3
	s_branch .LBB161_39
.LBB161_37:                             ;   in Loop: Header=BB161_39 Depth=3
	s_or_b32 exec_lo, exec_lo, s63
	s_delay_alu instid0(SALU_CYCLE_1)
	s_or_b32 s11, s11, exec_lo
.LBB161_38:                             ;   in Loop: Header=BB161_39 Depth=3
	s_or_b32 exec_lo, exec_lo, s62
	v_add_co_u32 v40, vcc_lo, v40, 1
	v_add_co_ci_u32_e32 v41, vcc_lo, 0, v41, vcc_lo
	s_xor_b32 s44, s11, -1
	v_add_co_u32 v38, s11, v38, s40
	s_delay_alu instid0(VALU_DEP_2)
	v_cmp_ge_i64_e32 vcc_lo, v[40:41], v[10:11]
	v_add_co_ci_u32_e64 v39, s11, s41, v39, s11
	s_or_b32 s11, s44, vcc_lo
	v_add_co_u32 v36, vcc_lo, v36, s40
	v_add_co_ci_u32_e32 v37, vcc_lo, s41, v37, vcc_lo
	s_and_b32 s11, exec_lo, s11
	s_delay_alu instid0(SALU_CYCLE_1) | instskip(NEXT) | instid1(SALU_CYCLE_1)
	s_or_b32 s61, s11, s61
	s_and_not1_b32 exec_lo, exec_lo, s61
	s_cbranch_execz .LBB161_56
.LBB161_39:                             ;   Parent Loop BB161_15 Depth=1
                                        ;     Parent Loop BB161_24 Depth=2
                                        ; =>    This Loop Header: Depth=3
                                        ;         Child Loop BB161_51 Depth 4
                                        ;         Child Loop BB161_47 Depth 4
	;; [unrolled: 1-line block ×4, first 2 shown]
	s_delay_alu instid0(VALU_DEP_2) | instskip(NEXT) | instid1(VALU_DEP_1)
	v_lshlrev_b64 v[42:43], 3, v[40:41]
	v_add_co_u32 v42, vcc_lo, s26, v42
	s_delay_alu instid0(VALU_DEP_2) | instskip(SKIP_4) | instid1(VALU_DEP_1)
	v_add_co_ci_u32_e32 v43, vcc_lo, s27, v43, vcc_lo
	global_load_b64 v[42:43], v[42:43], off
	s_waitcnt vmcnt(0)
	v_sub_co_u32 v42, vcc_lo, v42, s29
	v_subrev_co_ci_u32_e32 v43, vcc_lo, 0, v43, vcc_lo
	v_cmp_lt_i64_e64 s11, v[42:43], v[30:31]
	v_cmp_ge_i64_e32 vcc_lo, v[42:43], v[32:33]
	s_delay_alu instid0(VALU_DEP_2) | instskip(NEXT) | instid1(SALU_CYCLE_1)
	s_or_b32 s44, s11, vcc_lo
                                        ; implicit-def: $sgpr11
	s_and_saveexec_b32 s45, s44
	s_delay_alu instid0(SALU_CYCLE_1)
	s_xor_b32 s44, exec_lo, s45
	s_cbranch_execz .LBB161_43
; %bb.40:                               ;   in Loop: Header=BB161_39 Depth=3
	s_mov_b32 s45, -1
	s_and_saveexec_b32 s11, vcc_lo
; %bb.41:                               ;   in Loop: Header=BB161_39 Depth=3
	v_cmp_lt_i64_e32 vcc_lo, v[42:43], v[34:35]
	v_dual_mov_b32 v8, v40 :: v_dual_mov_b32 v9, v41
	s_xor_b32 s45, exec_lo, -1
	v_dual_cndmask_b32 v35, v35, v43 :: v_dual_cndmask_b32 v34, v34, v42
; %bb.42:                               ;   in Loop: Header=BB161_39 Depth=3
	s_or_b32 exec_lo, exec_lo, s11
	s_delay_alu instid0(SALU_CYCLE_1)
	s_and_b32 s11, s45, exec_lo
                                        ; implicit-def: $vgpr42_vgpr43
.LBB161_43:                             ;   in Loop: Header=BB161_39 Depth=3
	s_and_not1_saveexec_b32 s62, s44
	s_cbranch_execz .LBB161_38
; %bb.44:                               ;   in Loop: Header=BB161_39 Depth=3
	v_sub_nc_u32_e32 v3, v42, v30
	s_delay_alu instid0(VALU_DEP_1)
	v_lshlrev_b32_e32 v42, 2, v3
	ds_store_b32 v42, v70 offset:36864
	s_and_saveexec_b32 s63, s54
	s_cbranch_execz .LBB161_37
; %bb.45:                               ;   in Loop: Header=BB161_39 Depth=3
	s_and_not1_b32 vcc_lo, exec_lo, s46
	s_cbranch_vccnz .LBB161_49
; %bb.46:                               ;   in Loop: Header=BB161_39 Depth=3
	v_dual_mov_b32 v42, 0 :: v_dual_mov_b32 v47, v39
	v_dual_mov_b32 v43, 0 :: v_dual_mov_b32 v48, v67
	v_mov_b32_e32 v46, v38
	s_mov_b64 s[44:45], s[38:39]
	s_delay_alu instid0(VALU_DEP_2)
	v_dual_mov_b32 v45, v43 :: v_dual_mov_b32 v44, v42
	.p2align	6
.LBB161_47:                             ;   Parent Loop BB161_15 Depth=1
                                        ;     Parent Loop BB161_24 Depth=2
                                        ;       Parent Loop BB161_39 Depth=3
                                        ; =>      This Inner Loop Header: Depth=4
	global_load_b128 v[71:74], v[46:47], off offset:-8
	ds_load_b128 v[75:78], v48
	v_add_co_u32 v46, vcc_lo, v46, 16
	v_add_co_ci_u32_e32 v47, vcc_lo, 0, v47, vcc_lo
	s_add_u32 s44, s44, -1
	v_add_nc_u32_e32 v48, 0x80, v48
	s_addc_u32 s45, s45, -1
	s_delay_alu instid0(SALU_CYCLE_1) | instskip(SKIP_3) | instid1(VALU_DEP_2)
	s_cmp_lg_u64 s[44:45], 0
	s_waitcnt vmcnt(0) lgkmcnt(0)
	v_fma_f64 v[42:43], v[75:76], v[71:72], v[42:43]
	v_fma_f64 v[44:45], v[77:78], v[71:72], v[44:45]
	v_fma_f64 v[42:43], -v[77:78], v[73:74], v[42:43]
	s_delay_alu instid0(VALU_DEP_2)
	v_fma_f64 v[44:45], v[75:76], v[73:74], v[44:45]
	s_cbranch_scc1 .LBB161_47
; %bb.48:                               ;   in Loop: Header=BB161_39 Depth=3
	s_branch .LBB161_52
.LBB161_49:                             ;   in Loop: Header=BB161_39 Depth=3
                                        ; implicit-def: $vgpr42_vgpr43
                                        ; implicit-def: $vgpr44_vgpr45
	s_cbranch_execz .LBB161_52
; %bb.50:                               ;   in Loop: Header=BB161_39 Depth=3
	v_dual_mov_b32 v42, 0 :: v_dual_mov_b32 v47, v37
	v_dual_mov_b32 v43, 0 :: v_dual_mov_b32 v48, v68
	v_mov_b32_e32 v46, v36
	s_mov_b64 s[44:45], s[38:39]
	s_delay_alu instid0(VALU_DEP_2)
	v_dual_mov_b32 v45, v43 :: v_dual_mov_b32 v44, v42
	.p2align	6
.LBB161_51:                             ;   Parent Loop BB161_15 Depth=1
                                        ;     Parent Loop BB161_24 Depth=2
                                        ;       Parent Loop BB161_39 Depth=3
                                        ; =>      This Inner Loop Header: Depth=4
	global_load_b128 v[71:74], v[46:47], off offset:-8
	ds_load_b128 v[75:78], v48
	v_add_co_u32 v46, vcc_lo, v46, s22
	s_add_u32 s44, s44, -1
	v_add_co_ci_u32_e32 v47, vcc_lo, s23, v47, vcc_lo
	v_add_nc_u32_e32 v48, 16, v48
	s_addc_u32 s45, s45, -1
	s_delay_alu instid0(SALU_CYCLE_1) | instskip(SKIP_3) | instid1(VALU_DEP_2)
	s_cmp_eq_u64 s[44:45], 0
	s_waitcnt vmcnt(0) lgkmcnt(0)
	v_fma_f64 v[42:43], v[75:76], v[71:72], v[42:43]
	v_fma_f64 v[44:45], v[77:78], v[71:72], v[44:45]
	v_fma_f64 v[42:43], -v[77:78], v[73:74], v[42:43]
	s_delay_alu instid0(VALU_DEP_2)
	v_fma_f64 v[44:45], v[75:76], v[73:74], v[44:45]
	s_cbranch_scc0 .LBB161_51
.LBB161_52:                             ;   in Loop: Header=BB161_39 Depth=3
	s_delay_alu instid0(VALU_DEP_1) | instskip(SKIP_2) | instid1(VALU_DEP_1)
	v_mul_f64 v[46:47], v[44:45], -v[16:17]
	v_lshlrev_b32_e32 v3, 6, v3
	s_mov_b32 s44, 0
	v_or3_b32 v3, v3, v53, v22
	s_delay_alu instid0(VALU_DEP_1)
	v_lshlrev_b32_e32 v3, 4, v3
	ds_load_b64 v[48:49], v3
	v_fma_f64 v[46:47], v[14:15], v[42:43], v[46:47]
.LBB161_53:                             ;   Parent Loop BB161_15 Depth=1
                                        ;     Parent Loop BB161_24 Depth=2
                                        ;       Parent Loop BB161_39 Depth=3
                                        ; =>      This Inner Loop Header: Depth=4
	s_waitcnt lgkmcnt(0)
	s_delay_alu instid0(VALU_DEP_1)
	v_add_f64 v[71:72], v[48:49], v[46:47]
	ds_cmpstore_rtn_b64 v[71:72], v3, v[71:72], v[48:49]
	s_waitcnt lgkmcnt(0)
	v_cmp_eq_u64_e32 vcc_lo, v[71:72], v[48:49]
	v_dual_mov_b32 v48, v71 :: v_dual_mov_b32 v49, v72
	s_or_b32 s44, vcc_lo, s44
	s_delay_alu instid0(SALU_CYCLE_1)
	s_and_not1_b32 exec_lo, exec_lo, s44
	s_cbranch_execnz .LBB161_53
; %bb.54:                               ;   in Loop: Header=BB161_39 Depth=3
	s_or_b32 exec_lo, exec_lo, s44
	v_mul_f64 v[44:45], v[14:15], v[44:45]
	s_mov_b32 s44, 0
	s_delay_alu instid0(VALU_DEP_1)
	v_fma_f64 v[42:43], v[16:17], v[42:43], v[44:45]
	ds_load_b64 v[44:45], v3 offset:8
.LBB161_55:                             ;   Parent Loop BB161_15 Depth=1
                                        ;     Parent Loop BB161_24 Depth=2
                                        ;       Parent Loop BB161_39 Depth=3
                                        ; =>      This Inner Loop Header: Depth=4
	s_waitcnt lgkmcnt(0)
	v_add_f64 v[46:47], v[44:45], v[42:43]
	ds_cmpstore_rtn_b64 v[46:47], v3, v[46:47], v[44:45] offset:8
	s_waitcnt lgkmcnt(0)
	v_cmp_eq_u64_e32 vcc_lo, v[46:47], v[44:45]
	v_dual_mov_b32 v44, v46 :: v_dual_mov_b32 v45, v47
	s_or_b32 s44, vcc_lo, s44
	s_delay_alu instid0(SALU_CYCLE_1)
	s_and_not1_b32 exec_lo, exec_lo, s44
	s_cbranch_execnz .LBB161_55
	s_branch .LBB161_37
.LBB161_56:                             ;   in Loop: Header=BB161_24 Depth=2
	s_or_b32 exec_lo, exec_lo, s61
.LBB161_57:                             ;   in Loop: Header=BB161_24 Depth=2
	s_delay_alu instid0(SALU_CYCLE_1)
	s_or_b32 exec_lo, exec_lo, s53
.LBB161_58:                             ;   in Loop: Header=BB161_24 Depth=2
	s_delay_alu instid0(SALU_CYCLE_1)
	s_or_b32 exec_lo, exec_lo, s52
	s_waitcnt lgkmcnt(0)
	s_barrier
	buffer_gl0_inv
	s_and_saveexec_b32 s11, s10
	s_cbranch_execz .LBB161_23
; %bb.59:                               ;   in Loop: Header=BB161_24 Depth=2
	v_add_co_u32 v1, vcc_lo, s50, v1
	v_add_co_ci_u32_e32 v2, vcc_lo, s51, v2, vcc_lo
	global_store_b64 v[1:2], v[8:9], off
	s_branch .LBB161_23
.LBB161_60:                             ;   in Loop: Header=BB161_15 Depth=1
	s_and_not1_b32 vcc_lo, exec_lo, s33
	s_cbranch_vccnz .LBB161_75
; %bb.61:                               ;   in Loop: Header=BB161_15 Depth=1
	s_load_b128 s[64:67], s[12:13], 0x0
	s_mov_b32 s42, exec_lo
	s_waitcnt lgkmcnt(0)
	v_add_co_u32 v1, vcc_lo, s64, v54
	v_add_co_ci_u32_e32 v2, vcc_lo, s65, v55, vcc_lo
	s_sub_u32 s10, s66, s31
	s_subb_u32 s11, s67, 0
	s_delay_alu instid0(VALU_DEP_1) | instid1(SALU_CYCLE_1)
	v_cmpx_gt_i64_e64 s[10:11], v[1:2]
	s_cbranch_execz .LBB161_74
; %bb.62:                               ;   in Loop: Header=BB161_15 Depth=1
	s_mov_b32 s43, 0
	s_branch .LBB161_65
.LBB161_63:                             ;   in Loop: Header=BB161_65 Depth=2
	s_or_b32 exec_lo, exec_lo, s45
	s_delay_alu instid0(SALU_CYCLE_1)
	s_or_b32 s9, s9, exec_lo
.LBB161_64:                             ;   in Loop: Header=BB161_65 Depth=2
	s_or_b32 exec_lo, exec_lo, s44
	v_add_co_u32 v1, vcc_lo, v1, 4
	v_add_co_ci_u32_e32 v2, vcc_lo, 0, v2, vcc_lo
	s_xor_b32 s9, s9, -1
	s_delay_alu instid0(VALU_DEP_1) | instskip(SKIP_1) | instid1(SALU_CYCLE_1)
	v_cmp_le_i64_e32 vcc_lo, s[10:11], v[1:2]
	s_or_b32 s9, s9, vcc_lo
	s_and_b32 s9, exec_lo, s9
	s_delay_alu instid0(SALU_CYCLE_1) | instskip(NEXT) | instid1(SALU_CYCLE_1)
	s_or_b32 s43, s9, s43
	s_and_not1_b32 exec_lo, exec_lo, s43
	s_cbranch_execz .LBB161_73
.LBB161_65:                             ;   Parent Loop BB161_15 Depth=1
                                        ; =>  This Loop Header: Depth=2
                                        ;       Child Loop BB161_70 Depth 3
                                        ;       Child Loop BB161_72 Depth 3
	v_lshlrev_b64 v[8:9], 3, v[1:2]
	s_delay_alu instid0(VALU_DEP_1) | instskip(NEXT) | instid1(VALU_DEP_2)
	v_add_co_u32 v8, vcc_lo, s14, v8
	v_add_co_ci_u32_e32 v9, vcc_lo, s15, v9, vcc_lo
	global_load_b64 v[8:9], v[8:9], off
	s_waitcnt vmcnt(0)
	v_sub_co_u32 v8, vcc_lo, v8, s31
	v_subrev_co_ci_u32_e32 v9, vcc_lo, 0, v9, vcc_lo
	s_delay_alu instid0(VALU_DEP_1)
	v_cmp_lt_i64_e32 vcc_lo, v[8:9], v[32:33]
	v_cmp_lt_i64_e64 s9, v[8:9], v[30:31]
	s_xor_b32 s44, vcc_lo, -1
	s_delay_alu instid0(VALU_DEP_1) | instid1(SALU_CYCLE_1)
	s_or_b32 s44, s9, s44
                                        ; implicit-def: $sgpr9
	s_delay_alu instid0(SALU_CYCLE_1) | instskip(NEXT) | instid1(SALU_CYCLE_1)
	s_and_saveexec_b32 s45, s44
	s_xor_b32 s44, exec_lo, s45
; %bb.66:                               ;   in Loop: Header=BB161_65 Depth=2
	v_cmp_lt_i64_e64 s9, v[8:9], v[34:35]
	s_delay_alu instid0(VALU_DEP_1) | instskip(SKIP_2) | instid1(VALU_DEP_1)
	v_cndmask_b32_e64 v3, v34, v8, s9
	v_cndmask_b32_e64 v8, v35, v9, s9
	s_and_b32 s9, vcc_lo, exec_lo
	v_dual_cndmask_b32 v34, v3, v34 :: v_dual_cndmask_b32 v35, v8, v35
                                        ; implicit-def: $vgpr8
; %bb.67:                               ;   in Loop: Header=BB161_65 Depth=2
	s_and_not1_saveexec_b32 s44, s44
	s_cbranch_execz .LBB161_64
; %bb.68:                               ;   in Loop: Header=BB161_65 Depth=2
	v_sub_nc_u32_e32 v3, v8, v30
	s_delay_alu instid0(VALU_DEP_1)
	v_lshlrev_b32_e32 v8, 2, v3
	ds_store_b32 v8, v70 offset:36864
	s_and_saveexec_b32 s45, s56
	s_cbranch_execz .LBB161_63
; %bb.69:                               ;   in Loop: Header=BB161_65 Depth=2
	v_mul_lo_u32 v10, v2, s18
	v_mul_lo_u32 v11, v1, s19
	v_mad_u64_u32 v[8:9], null, v1, s18, 0
	v_lshlrev_b32_e32 v3, 6, v3
	s_mov_b32 s52, 0
	s_delay_alu instid0(VALU_DEP_1) | instskip(NEXT) | instid1(VALU_DEP_3)
	v_or3_b32 v3, v3, v53, v22
	v_add3_u32 v9, v9, v11, v10
	s_delay_alu instid0(VALU_DEP_2) | instskip(NEXT) | instid1(VALU_DEP_2)
	v_lshlrev_b32_e32 v3, 4, v3
	v_lshlrev_b64 v[8:9], 4, v[8:9]
	ds_load_b64 v[38:39], v3
	v_add_co_u32 v8, vcc_lo, v66, v8
	v_add_co_ci_u32_e32 v9, vcc_lo, v65, v9, vcc_lo
	global_load_b128 v[8:11], v[8:9], off
	s_waitcnt vmcnt(0)
	v_mul_f64 v[36:37], v[10:11], -v[12:13]
	s_delay_alu instid0(VALU_DEP_1)
	v_fma_f64 v[36:37], v[18:19], v[8:9], v[36:37]
.LBB161_70:                             ;   Parent Loop BB161_15 Depth=1
                                        ;     Parent Loop BB161_65 Depth=2
                                        ; =>    This Inner Loop Header: Depth=3
	s_waitcnt lgkmcnt(0)
	s_delay_alu instid0(VALU_DEP_1)
	v_add_f64 v[40:41], v[38:39], v[36:37]
	ds_cmpstore_rtn_b64 v[40:41], v3, v[40:41], v[38:39]
	s_waitcnt lgkmcnt(0)
	v_cmp_eq_u64_e32 vcc_lo, v[40:41], v[38:39]
	v_dual_mov_b32 v38, v40 :: v_dual_mov_b32 v39, v41
	s_or_b32 s52, vcc_lo, s52
	s_delay_alu instid0(SALU_CYCLE_1)
	s_and_not1_b32 exec_lo, exec_lo, s52
	s_cbranch_execnz .LBB161_70
; %bb.71:                               ;   in Loop: Header=BB161_65 Depth=2
	s_or_b32 exec_lo, exec_lo, s52
	v_mul_f64 v[10:11], v[18:19], v[10:11]
	s_mov_b32 s52, 0
	s_delay_alu instid0(VALU_DEP_1)
	v_fma_f64 v[8:9], v[12:13], v[8:9], v[10:11]
	ds_load_b64 v[10:11], v3 offset:8
.LBB161_72:                             ;   Parent Loop BB161_15 Depth=1
                                        ;     Parent Loop BB161_65 Depth=2
                                        ; =>    This Inner Loop Header: Depth=3
	s_waitcnt lgkmcnt(0)
	v_add_f64 v[36:37], v[10:11], v[8:9]
	ds_cmpstore_rtn_b64 v[36:37], v3, v[36:37], v[10:11] offset:8
	s_waitcnt lgkmcnt(0)
	v_cmp_eq_u64_e32 vcc_lo, v[36:37], v[10:11]
	v_dual_mov_b32 v10, v36 :: v_dual_mov_b32 v11, v37
	s_or_b32 s52, vcc_lo, s52
	s_delay_alu instid0(SALU_CYCLE_1)
	s_and_not1_b32 exec_lo, exec_lo, s52
	s_cbranch_execnz .LBB161_72
	s_branch .LBB161_63
.LBB161_73:                             ;   in Loop: Header=BB161_15 Depth=1
	s_or_b32 exec_lo, exec_lo, s43
.LBB161_74:                             ;   in Loop: Header=BB161_15 Depth=1
	s_delay_alu instid0(SALU_CYCLE_1)
	s_or_b32 exec_lo, exec_lo, s42
.LBB161_75:                             ;   in Loop: Header=BB161_15 Depth=1
	s_and_saveexec_b32 s9, s2
	s_cbranch_execz .LBB161_80
; %bb.76:                               ;   in Loop: Header=BB161_15 Depth=1
	s_mov_b32 s42, exec_lo
	s_mov_b64 s[10:11], -1
.LBB161_77:                             ;   Parent Loop BB161_15 Depth=1
                                        ; =>  This Inner Loop Header: Depth=2
	s_ctz_i32_b32 s43, s42
	s_delay_alu instid0(SALU_CYCLE_1) | instskip(SKIP_1) | instid1(VALU_DEP_1)
	v_readlane_b32 s45, v35, s43
	v_readlane_b32 s44, v34, s43
	v_cmp_lt_u64_e64 s52, s[10:11], s[44:45]
	s_delay_alu instid0(VALU_DEP_1) | instskip(SKIP_3) | instid1(SALU_CYCLE_1)
	s_and_b32 s52, s52, exec_lo
	s_cselect_b32 s11, s11, s45
	s_cselect_b32 s10, s10, s44
	s_lshl_b32 s43, 1, s43
	s_and_not1_b32 s42, s42, s43
	s_delay_alu instid0(SALU_CYCLE_1)
	s_cmp_lg_u32 s42, 0
	s_cbranch_scc1 .LBB161_77
; %bb.78:                               ;   in Loop: Header=BB161_15 Depth=1
	v_mbcnt_lo_u32_b32 v1, exec_lo, 0
	s_mov_b32 s42, exec_lo
	s_delay_alu instid0(VALU_DEP_1)
	v_cmpx_eq_u32_e32 0, v1
	s_xor_b32 s42, exec_lo, s42
	s_cbranch_execz .LBB161_80
; %bb.79:                               ;   in Loop: Header=BB161_15 Depth=1
	v_dual_mov_b32 v1, s10 :: v_dual_mov_b32 v2, s11
	ds_min_u64 v0, v[1:2] offset:36992
.LBB161_80:                             ;   in Loop: Header=BB161_15 Depth=1
	s_or_b32 exec_lo, exec_lo, s9
	s_waitcnt lgkmcnt(0)
	s_waitcnt_vscnt null, 0x0
	s_barrier
	buffer_gl0_inv
	ds_load_b32 v1, v56
	s_waitcnt lgkmcnt(0)
	s_barrier
	buffer_gl0_inv
	s_and_saveexec_b32 s9, s3
	s_cbranch_execz .LBB161_82
; %bb.81:                               ;   in Loop: Header=BB161_15 Depth=1
	ds_load_b32 v2, v57
	s_waitcnt lgkmcnt(0)
	v_add_nc_u32_e32 v1, v2, v1
.LBB161_82:                             ;   in Loop: Header=BB161_15 Depth=1
	s_or_b32 exec_lo, exec_lo, s9
	s_barrier
	buffer_gl0_inv
	ds_store_b32 v56, v1
	s_waitcnt lgkmcnt(0)
	s_barrier
	buffer_gl0_inv
	s_and_saveexec_b32 s9, s4
	s_cbranch_execz .LBB161_84
; %bb.83:                               ;   in Loop: Header=BB161_15 Depth=1
	ds_load_b32 v2, v59
	s_waitcnt lgkmcnt(0)
	v_add_nc_u32_e32 v1, v2, v1
.LBB161_84:                             ;   in Loop: Header=BB161_15 Depth=1
	s_or_b32 exec_lo, exec_lo, s9
	s_barrier
	buffer_gl0_inv
	ds_store_b32 v56, v1
	;; [unrolled: 14-line block ×5, first 2 shown]
	s_waitcnt lgkmcnt(0)
	s_barrier
	buffer_gl0_inv
	ds_load_b32 v3, v0 offset:36988
	v_mov_b32_e32 v2, 0
	s_and_saveexec_b32 s9, s47
	s_cbranch_execz .LBB161_92
; %bb.91:                               ;   in Loop: Header=BB161_15 Depth=1
	ds_load_b32 v2, v57
.LBB161_92:                             ;   in Loop: Header=BB161_15 Depth=1
	s_or_b32 exec_lo, exec_lo, s9
	s_waitcnt lgkmcnt(0)
	v_cmp_eq_u32_e32 vcc_lo, v1, v2
	s_barrier
	buffer_gl0_inv
	s_and_b32 s10, s47, vcc_lo
	s_delay_alu instid0(SALU_CYCLE_1)
	s_and_saveexec_b32 s9, s10
	s_cbranch_execz .LBB161_94
; %bb.93:                               ;   in Loop: Header=BB161_15 Depth=1
	ds_store_b32 v56, v0
.LBB161_94:                             ;   in Loop: Header=BB161_15 Depth=1
	s_or_b32 exec_lo, exec_lo, s9
	v_add_co_u32 v8, vcc_lo, v28, -1
	v_add_co_ci_u32_e32 v9, vcc_lo, -1, v29, vcc_lo
	v_add_co_u32 v10, vcc_lo, s30, v30
	v_add_co_ci_u32_e32 v11, vcc_lo, 0, v31, vcc_lo
	v_dual_mov_b32 v30, v69 :: v_dual_mov_b32 v31, v50
	v_dual_mov_b32 v1, v20 :: v_dual_mov_b32 v2, v21
	s_mov_b32 s9, 0
	s_waitcnt lgkmcnt(0)
	s_barrier
	buffer_gl0_inv
	s_branch .LBB161_96
.LBB161_95:                             ;   in Loop: Header=BB161_96 Depth=2
	s_or_b32 exec_lo, exec_lo, s10
	v_add_co_u32 v1, vcc_lo, v1, 4
	v_add_co_ci_u32_e32 v2, vcc_lo, 0, v2, vcc_lo
	v_add_nc_u32_e32 v31, 0x1000, v31
	s_delay_alu instid0(VALU_DEP_3) | instskip(SKIP_1) | instid1(VALU_DEP_2)
	v_add_nc_u32_e32 v32, -4, v1
	v_add_nc_u32_e32 v30, 16, v30
	v_cmp_lt_u32_e32 vcc_lo, 27, v32
	s_or_b32 s9, vcc_lo, s9
	s_delay_alu instid0(SALU_CYCLE_1)
	s_and_not1_b32 exec_lo, exec_lo, s9
	s_cbranch_execz .LBB161_14
.LBB161_96:                             ;   Parent Loop BB161_15 Depth=1
                                        ; =>  This Inner Loop Header: Depth=2
	ds_load_b32 v32, v30
	s_mov_b32 s10, exec_lo
	s_waitcnt lgkmcnt(0)
	v_cmpx_ne_u32_e32 0, v32
	s_cbranch_execz .LBB161_95
; %bb.97:                               ;   in Loop: Header=BB161_96 Depth=2
	v_ashrrev_i32_e32 v33, 31, v32
	v_add_co_u32 v34, vcc_lo, v28, v32
	s_delay_alu instid0(VALU_DEP_2) | instskip(SKIP_2) | instid1(VALU_DEP_3)
	v_add_co_ci_u32_e32 v35, vcc_lo, v29, v33, vcc_lo
	v_add_co_u32 v36, vcc_lo, v10, v1
	v_add_co_ci_u32_e32 v37, vcc_lo, v11, v2, vcc_lo
	v_lshlrev_b64 v[34:35], 3, v[34:35]
	s_delay_alu instid0(VALU_DEP_1) | instskip(NEXT) | instid1(VALU_DEP_2)
	v_add_co_u32 v34, vcc_lo, s59, v34
	v_add_co_ci_u32_e32 v35, vcc_lo, s60, v35, vcc_lo
	global_store_b64 v[34:35], v[36:37], off
	s_and_b32 exec_lo, exec_lo, s56
	s_cbranch_execz .LBB161_95
; %bb.98:                               ;   in Loop: Header=BB161_96 Depth=2
	v_add_co_u32 v32, vcc_lo, v8, v32
	v_add_co_ci_u32_e32 v33, vcc_lo, v9, v33, vcc_lo
	s_delay_alu instid0(VALU_DEP_2) | instskip(SKIP_1) | instid1(VALU_DEP_3)
	v_mul_lo_u32 v39, v32, s19
	v_mad_u64_u32 v[36:37], null, v32, s18, 0
	v_mul_lo_u32 v38, v33, s18
	ds_load_2addr_b64 v[32:35], v31 offset1:1
	v_add3_u32 v37, v37, v39, v38
	s_delay_alu instid0(VALU_DEP_1) | instskip(NEXT) | instid1(VALU_DEP_1)
	v_lshlrev_b64 v[36:37], 4, v[36:37]
	v_add_co_u32 v36, vcc_lo, v64, v36
	s_delay_alu instid0(VALU_DEP_2)
	v_add_co_ci_u32_e32 v37, vcc_lo, v63, v37, vcc_lo
	s_waitcnt lgkmcnt(0)
	global_store_b128 v[36:37], v[32:35], off
	s_branch .LBB161_95
.LBB161_99:
	s_endpgm
	.section	.rodata,"a",@progbits
	.p2align	6, 0x0
	.amdhsa_kernel _ZN9rocsparseL38bsrgemm_block_per_row_atomic_multipassILj256ELj32ELj8Ell21rocsparse_complex_numIdEEEv20rocsparse_direction_T3_S4_PKS4_S6_NS_24const_host_device_scalarIT4_EEPKT2_S6_PKS8_SC_S6_SE_S9_SC_S6_SE_SC_PS4_PS8_PSA_21rocsparse_index_base_SI_SI_SI_bbb
		.amdhsa_group_segment_fixed_size 41096
		.amdhsa_private_segment_fixed_size 0
		.amdhsa_kernarg_size 196
		.amdhsa_user_sgpr_count 15
		.amdhsa_user_sgpr_dispatch_ptr 1
		.amdhsa_user_sgpr_queue_ptr 0
		.amdhsa_user_sgpr_kernarg_segment_ptr 1
		.amdhsa_user_sgpr_dispatch_id 0
		.amdhsa_user_sgpr_private_segment_size 0
		.amdhsa_wavefront_size32 1
		.amdhsa_uses_dynamic_stack 0
		.amdhsa_enable_private_segment 0
		.amdhsa_system_sgpr_workgroup_id_x 1
		.amdhsa_system_sgpr_workgroup_id_y 0
		.amdhsa_system_sgpr_workgroup_id_z 0
		.amdhsa_system_sgpr_workgroup_info 0
		.amdhsa_system_vgpr_workitem_id 2
		.amdhsa_next_free_vgpr 79
		.amdhsa_next_free_sgpr 68
		.amdhsa_reserve_vcc 1
		.amdhsa_float_round_mode_32 0
		.amdhsa_float_round_mode_16_64 0
		.amdhsa_float_denorm_mode_32 3
		.amdhsa_float_denorm_mode_16_64 3
		.amdhsa_dx10_clamp 1
		.amdhsa_ieee_mode 1
		.amdhsa_fp16_overflow 0
		.amdhsa_workgroup_processor_mode 1
		.amdhsa_memory_ordered 1
		.amdhsa_forward_progress 0
		.amdhsa_shared_vgpr_count 0
		.amdhsa_exception_fp_ieee_invalid_op 0
		.amdhsa_exception_fp_denorm_src 0
		.amdhsa_exception_fp_ieee_div_zero 0
		.amdhsa_exception_fp_ieee_overflow 0
		.amdhsa_exception_fp_ieee_underflow 0
		.amdhsa_exception_fp_ieee_inexact 0
		.amdhsa_exception_int_div_zero 0
	.end_amdhsa_kernel
	.section	.text._ZN9rocsparseL38bsrgemm_block_per_row_atomic_multipassILj256ELj32ELj8Ell21rocsparse_complex_numIdEEEv20rocsparse_direction_T3_S4_PKS4_S6_NS_24const_host_device_scalarIT4_EEPKT2_S6_PKS8_SC_S6_SE_S9_SC_S6_SE_SC_PS4_PS8_PSA_21rocsparse_index_base_SI_SI_SI_bbb,"axG",@progbits,_ZN9rocsparseL38bsrgemm_block_per_row_atomic_multipassILj256ELj32ELj8Ell21rocsparse_complex_numIdEEEv20rocsparse_direction_T3_S4_PKS4_S6_NS_24const_host_device_scalarIT4_EEPKT2_S6_PKS8_SC_S6_SE_S9_SC_S6_SE_SC_PS4_PS8_PSA_21rocsparse_index_base_SI_SI_SI_bbb,comdat
.Lfunc_end161:
	.size	_ZN9rocsparseL38bsrgemm_block_per_row_atomic_multipassILj256ELj32ELj8Ell21rocsparse_complex_numIdEEEv20rocsparse_direction_T3_S4_PKS4_S6_NS_24const_host_device_scalarIT4_EEPKT2_S6_PKS8_SC_S6_SE_S9_SC_S6_SE_SC_PS4_PS8_PSA_21rocsparse_index_base_SI_SI_SI_bbb, .Lfunc_end161-_ZN9rocsparseL38bsrgemm_block_per_row_atomic_multipassILj256ELj32ELj8Ell21rocsparse_complex_numIdEEEv20rocsparse_direction_T3_S4_PKS4_S6_NS_24const_host_device_scalarIT4_EEPKT2_S6_PKS8_SC_S6_SE_S9_SC_S6_SE_SC_PS4_PS8_PSA_21rocsparse_index_base_SI_SI_SI_bbb
                                        ; -- End function
	.section	.AMDGPU.csdata,"",@progbits
; Kernel info:
; codeLenInByte = 4672
; NumSgprs: 70
; NumVgprs: 79
; ScratchSize: 0
; MemoryBound: 0
; FloatMode: 240
; IeeeMode: 1
; LDSByteSize: 41096 bytes/workgroup (compile time only)
; SGPRBlocks: 8
; VGPRBlocks: 9
; NumSGPRsForWavesPerEU: 70
; NumVGPRsForWavesPerEU: 79
; Occupancy: 6
; WaveLimiterHint : 1
; COMPUTE_PGM_RSRC2:SCRATCH_EN: 0
; COMPUTE_PGM_RSRC2:USER_SGPR: 15
; COMPUTE_PGM_RSRC2:TRAP_HANDLER: 0
; COMPUTE_PGM_RSRC2:TGID_X_EN: 1
; COMPUTE_PGM_RSRC2:TGID_Y_EN: 0
; COMPUTE_PGM_RSRC2:TGID_Z_EN: 0
; COMPUTE_PGM_RSRC2:TIDIG_COMP_CNT: 2
	.section	.text._ZN9rocsparseL31bsrgemm_block_per_row_multipassILj256ELj8ELj16Ell21rocsparse_complex_numIdEEEv20rocsparse_direction_T3_S4_PKS4_S6_NS_24const_host_device_scalarIT4_EEPKT2_S6_PKS8_SC_S6_SE_S9_SC_S6_SE_SC_PS4_PS8_PSA_21rocsparse_index_base_SI_SI_SI_bbb,"axG",@progbits,_ZN9rocsparseL31bsrgemm_block_per_row_multipassILj256ELj8ELj16Ell21rocsparse_complex_numIdEEEv20rocsparse_direction_T3_S4_PKS4_S6_NS_24const_host_device_scalarIT4_EEPKT2_S6_PKS8_SC_S6_SE_S9_SC_S6_SE_SC_PS4_PS8_PSA_21rocsparse_index_base_SI_SI_SI_bbb,comdat
	.globl	_ZN9rocsparseL31bsrgemm_block_per_row_multipassILj256ELj8ELj16Ell21rocsparse_complex_numIdEEEv20rocsparse_direction_T3_S4_PKS4_S6_NS_24const_host_device_scalarIT4_EEPKT2_S6_PKS8_SC_S6_SE_S9_SC_S6_SE_SC_PS4_PS8_PSA_21rocsparse_index_base_SI_SI_SI_bbb ; -- Begin function _ZN9rocsparseL31bsrgemm_block_per_row_multipassILj256ELj8ELj16Ell21rocsparse_complex_numIdEEEv20rocsparse_direction_T3_S4_PKS4_S6_NS_24const_host_device_scalarIT4_EEPKT2_S6_PKS8_SC_S6_SE_S9_SC_S6_SE_SC_PS4_PS8_PSA_21rocsparse_index_base_SI_SI_SI_bbb
	.p2align	8
	.type	_ZN9rocsparseL31bsrgemm_block_per_row_multipassILj256ELj8ELj16Ell21rocsparse_complex_numIdEEEv20rocsparse_direction_T3_S4_PKS4_S6_NS_24const_host_device_scalarIT4_EEPKT2_S6_PKS8_SC_S6_SE_S9_SC_S6_SE_SC_PS4_PS8_PSA_21rocsparse_index_base_SI_SI_SI_bbb,@function
_ZN9rocsparseL31bsrgemm_block_per_row_multipassILj256ELj8ELj16Ell21rocsparse_complex_numIdEEEv20rocsparse_direction_T3_S4_PKS4_S6_NS_24const_host_device_scalarIT4_EEPKT2_S6_PKS8_SC_S6_SE_S9_SC_S6_SE_SC_PS4_PS8_PSA_21rocsparse_index_base_SI_SI_SI_bbb: ; @_ZN9rocsparseL31bsrgemm_block_per_row_multipassILj256ELj8ELj16Ell21rocsparse_complex_numIdEEEv20rocsparse_direction_T3_S4_PKS4_S6_NS_24const_host_device_scalarIT4_EEPKT2_S6_PKS8_SC_S6_SE_S9_SC_S6_SE_SC_PS4_PS8_PSA_21rocsparse_index_base_SI_SI_SI_bbb
; %bb.0:
	s_mov_b32 s42, s15
	s_load_b32 s12, s[2:3], 0xc0
	s_load_b64 s[14:15], s[0:1], 0x4
	v_and_b32_e32 v42, 0x3ff, v0
	s_clause 0x1
	s_load_b128 s[8:11], s[2:3], 0x28
	s_load_b128 s[4:7], s[2:3], 0x68
	v_mov_b32_e32 v4, 0
	v_mov_b32_e32 v5, 0
	v_bfe_u32 v2, v0, 10, 10
	s_load_b128 s[20:23], s[2:3], 0xb0
	v_bfe_u32 v0, v0, 20, 10
	s_delay_alu instid0(VALU_DEP_3)
	v_dual_mov_b32 v7, v5 :: v_dual_mov_b32 v6, v4
	v_dual_mov_b32 v9, v5 :: v_dual_mov_b32 v8, v4
	s_waitcnt lgkmcnt(0)
	s_bitcmp1_b32 s12, 0
	s_cselect_b32 s48, -1, 0
	s_bitcmp1_b32 s12, 16
	v_mov_b32_e32 v11, s5
	s_cselect_b32 s0, -1, 0
	s_lshr_b32 s1, s14, 16
	s_delay_alu instid0(SALU_CYCLE_1) | instskip(NEXT) | instid1(SALU_CYCLE_1)
	s_mul_i32 s1, s1, s15
	v_mul_lo_u32 v1, s1, v42
	s_xor_b32 s1, s0, -1
	s_bitcmp0_b32 s12, 0
	v_cndmask_b32_e64 v3, 0, 1, s1
	s_delay_alu instid0(VALU_DEP_2) | instskip(NEXT) | instid1(VALU_DEP_2)
	v_mad_u32_u24 v1, v2, s15, v1
	v_cmp_ne_u32_e32 vcc_lo, 1, v3
	s_delay_alu instid0(VALU_DEP_2) | instskip(SKIP_1) | instid1(VALU_DEP_2)
	v_add_lshl_u32 v0, v1, v0, 3
	v_dual_mov_b32 v1, s8 :: v_dual_mov_b32 v2, s9
	v_dual_mov_b32 v10, s4 :: v_dual_add_nc_u32 v3, 8, v0
	ds_store_2addr_stride64_b64 v3, v[10:11], v[1:2] offset0:64 offset1:68
	s_cbranch_scc1 .LBB162_3
; %bb.1:
	s_mov_b64 s[14:15], src_shared_base
	s_and_b32 s13, s0, exec_lo
	s_cselect_b32 s13, s15, s9
	s_delay_alu instid0(SALU_CYCLE_1) | instskip(SKIP_2) | instid1(VALU_DEP_2)
	v_dual_mov_b32 v2, s13 :: v_dual_add_nc_u32 v1, 0x8808, v0
	v_dual_mov_b32 v8, s10 :: v_dual_mov_b32 v9, s11
	s_and_b32 vcc_lo, exec_lo, vcc_lo
	v_cndmask_b32_e64 v1, s8, v1, s0
	flat_load_b64 v[6:7], v[1:2]
	s_cbranch_vccnz .LBB162_3
; %bb.2:
	v_dual_mov_b32 v1, s8 :: v_dual_mov_b32 v2, s9
	flat_load_b64 v[8:9], v[1:2] offset:8
.LBB162_3:
	s_load_b64 s[8:9], s[2:3], 0x20
	s_bitcmp1_b32 s12, 8
	v_dual_mov_b32 v11, v5 :: v_dual_mov_b32 v10, v4
	s_cselect_b32 s33, -1, 0
	s_bfe_u32 s10, s12, 0x10008
	s_delay_alu instid0(SALU_CYCLE_1)
	s_cmp_eq_u32 s10, 0
	s_cbranch_scc1 .LBB162_6
; %bb.4:
	s_mov_b64 s[10:11], src_shared_base
	s_and_b32 s10, s0, exec_lo
	s_cselect_b32 s10, s11, s5
	s_delay_alu instid0(SALU_CYCLE_1) | instskip(SKIP_2) | instid1(VALU_DEP_2)
	v_dual_mov_b32 v1, s10 :: v_dual_add_nc_u32 v0, 0x8008, v0
	v_dual_mov_b32 v4, s6 :: v_dual_mov_b32 v5, s7
	s_and_not1_b32 vcc_lo, exec_lo, s1
	v_cndmask_b32_e64 v0, s4, v0, s0
	flat_load_b64 v[10:11], v[0:1]
	s_cbranch_vccnz .LBB162_6
; %bb.5:
	v_dual_mov_b32 v0, s4 :: v_dual_mov_b32 v1, s5
	flat_load_b64 v[4:5], v[0:1] offset:8
.LBB162_6:
	s_load_b64 s[0:1], s[2:3], 0x38
	s_waitcnt lgkmcnt(0)
	s_cmp_eq_u64 s[8:9], 0
	s_mov_b32 s43, 0
	s_cbranch_scc1 .LBB162_8
; %bb.7:
	s_load_b64 s[4:5], s[2:3], 0x18
	s_waitcnt lgkmcnt(0)
	s_load_b64 s[4:5], s[4:5], 0x0
	s_waitcnt lgkmcnt(0)
	s_lshl_b64 s[4:5], s[4:5], 3
	s_delay_alu instid0(SALU_CYCLE_1) | instskip(SKIP_2) | instid1(SALU_CYCLE_1)
	s_add_u32 s6, s8, s4
	s_addc_u32 s7, s9, s5
	s_lshl_b64 s[4:5], s[42:43], 3
	s_add_u32 s4, s6, s4
	s_addc_u32 s5, s7, s5
	s_load_b64 s[42:43], s[4:5], 0x0
.LBB162_8:
	s_mov_b64 s[34:35], 0
	s_and_not1_b32 vcc_lo, exec_lo, s48
	s_mov_b64 s[36:37], 0
	s_cbranch_vccz .LBB162_11
; %bb.9:
	s_and_not1_b32 vcc_lo, exec_lo, s48
	s_cbranch_vccz .LBB162_12
.LBB162_10:
	s_load_b128 s[24:27], s[2:3], 0x8
	s_waitcnt lgkmcnt(0)
	v_cmp_lt_i64_e64 s0, s[24:25], 1
	s_delay_alu instid0(VALU_DEP_1)
	s_and_b32 vcc_lo, exec_lo, s0
	s_cbranch_vccz .LBB162_13
	s_branch .LBB162_96
.LBB162_11:
	s_waitcnt lgkmcnt(0)
	s_lshl_b64 s[4:5], s[42:43], 3
	s_delay_alu instid0(SALU_CYCLE_1)
	s_add_u32 s4, s0, s4
	s_addc_u32 s5, s1, s5
	s_load_b64 s[4:5], s[4:5], 0x0
	s_waitcnt lgkmcnt(0)
	s_sub_u32 s36, s4, s20
	s_subb_u32 s37, s5, 0
	s_and_not1_b32 vcc_lo, exec_lo, s48
	s_cbranch_vccnz .LBB162_10
.LBB162_12:
	s_waitcnt lgkmcnt(0)
	s_lshl_b64 s[4:5], s[42:43], 3
	s_delay_alu instid0(SALU_CYCLE_1)
	s_add_u32 s0, s0, s4
	s_addc_u32 s1, s1, s5
	s_load_b64 s[0:1], s[0:1], 0x8
	s_waitcnt lgkmcnt(0)
	s_sub_u32 s34, s0, s20
	s_subb_u32 s35, s1, 0
	s_load_b128 s[24:27], s[2:3], 0x8
	s_waitcnt lgkmcnt(0)
	v_cmp_lt_i64_e64 s0, s[24:25], 1
	s_delay_alu instid0(VALU_DEP_1)
	s_and_b32 vcc_lo, exec_lo, s0
	s_cbranch_vccnz .LBB162_96
.LBB162_13:
	s_load_b256 s[12:19], s[2:3], 0x78
	v_and_b32_e32 v12, 15, v42
	v_lshrrev_b32_e32 v14, 4, v42
	s_lshl_b64 s[42:43], s[42:43], 3
	s_clause 0x4
	s_load_b64 s[38:39], s[2:3], 0xa8
	s_load_b128 s[28:31], s[2:3], 0x98
	s_load_b64 s[44:45], s[2:3], 0x60
	s_load_b256 s[4:11], s[2:3], 0x40
	s_load_b32 s40, s[2:3], 0x0
	v_mad_u64_u32 v[0:1], null, v12, s26, 0
	v_mad_u64_u32 v[2:3], null, v14, s26, 0
	v_cmp_lt_i64_e64 s49, s[36:37], s[34:35]
	s_mov_b32 s41, 0
	v_cmp_gt_u32_e64 s0, 8, v42
	v_mov_b32_e32 v57, 1
	s_delay_alu instid0(VALU_DEP_4)
	v_mad_u64_u32 v[15:16], null, v12, s27, v[1:2]
	s_waitcnt vmcnt(0)
	v_mad_u64_u32 v[16:17], null, v14, s27, v[3:4]
	s_waitcnt lgkmcnt(0)
	s_add_u32 s2, s18, s42
	s_addc_u32 s3, s19, s43
	s_load_b64 s[2:3], s[2:3], 0x0
	s_delay_alu instid0(VALU_DEP_2) | instskip(SKIP_1) | instid1(VALU_DEP_3)
	v_mov_b32_e32 v1, v15
	v_mov_b32_e32 v15, 0
	;; [unrolled: 1-line block ×3, first 2 shown]
	s_delay_alu instid0(VALU_DEP_3) | instskip(NEXT) | instid1(VALU_DEP_3)
	v_lshlrev_b64 v[0:1], 4, v[0:1]
	v_cmp_gt_u64_e32 vcc_lo, s[26:27], v[14:15]
	s_delay_alu instid0(VALU_DEP_3) | instskip(SKIP_1) | instid1(VALU_DEP_4)
	v_lshlrev_b64 v[2:3], 4, v[2:3]
	v_dual_mov_b32 v13, v15 :: v_dual_lshlrev_b32 v14, 4, v12
	v_add_co_u32 v16, s1, s16, v0
	s_delay_alu instid0(VALU_DEP_1) | instskip(NEXT) | instid1(VALU_DEP_4)
	v_add_co_ci_u32_e64 v17, s1, s17, v1, s1
	v_add_co_u32 v18, s1, s16, v2
	s_delay_alu instid0(VALU_DEP_1)
	v_add_co_ci_u32_e64 v19, s1, s17, v3, s1
	s_waitcnt lgkmcnt(0)
	s_sub_u32 s46, s2, s22
	s_subb_u32 s47, s3, 0
	v_dual_mov_b32 v24, s46 :: v_dual_and_b32 v43, 0xf0, v42
	s_cmp_eq_u32 s40, 0
	s_mul_i32 s3, s26, s27
	s_mul_hi_u32 s2, s26, s26
	s_delay_alu instid0(VALU_DEP_1) | instskip(NEXT) | instid1(VALU_DEP_1)
	v_add_co_u32 v16, s1, v16, v43
	v_add_co_ci_u32_e64 v17, s1, 0, v17, s1
	v_add_co_u32 v18, s1, v18, v14
	s_delay_alu instid0(VALU_DEP_1)
	v_add_co_ci_u32_e64 v19, s1, 0, v19, s1
	s_cselect_b32 s1, -1, 0
	s_cmp_lg_u32 s40, 0
	s_mov_b32 s40, s23
	s_cselect_b32 s60, -1, 0
	s_add_i32 s16, s2, s3
	v_cmp_gt_i64_e64 s2, s[26:27], v[12:13]
	s_add_i32 s17, s16, s3
	v_add_co_u32 v0, s3, s30, v0
	s_delay_alu instid0(VALU_DEP_1) | instskip(SKIP_1) | instid1(VALU_DEP_2)
	v_add_co_ci_u32_e64 v1, s3, s31, v1, s3
	s_add_u32 s18, s12, s42
	v_add_co_u32 v13, s3, v0, v43
	s_delay_alu instid0(VALU_DEP_1) | instskip(SKIP_1) | instid1(VALU_DEP_1)
	v_add_co_ci_u32_e64 v44, s3, 0, v1, s3
	v_add_co_u32 v1, s3, s30, v2
	v_add_co_ci_u32_e64 v2, s3, s31, v3, s3
	s_mul_i32 s16, s26, s26
	s_delay_alu instid0(VALU_DEP_2)
	v_add_co_u32 v45, s3, v1, v14
	s_addc_u32 s19, s13, s43
	s_and_b32 s61, s48, s49
	s_and_b32 s62, s2, vcc_lo
	v_add_co_ci_u32_e64 v46, s3, 0, v2, s3
	s_add_u32 s63, s8, 8
	s_addc_u32 s64, s9, 0
	s_mul_i32 s2, s36, s17
	s_mul_hi_u32 s3, s36, s16
	s_add_u32 s65, s28, -8
	s_addc_u32 s66, s29, -1
	s_add_i32 s2, s3, s2
	s_mul_i32 s3, s37, s16
	v_or_b32_e32 v0, v43, v12
	s_add_i32 s3, s2, s3
	s_mul_i32 s2, s36, s16
	v_cndmask_b32_e64 v2, v17, v19, s1
	s_lshl_b64 s[2:3], s[2:3], 4
	v_lshlrev_b32_e32 v0, 4, v0
	s_add_u32 s48, s6, s2
	v_cndmask_b32_e64 v3, v16, v18, s1
	v_cndmask_b32_e64 v55, v44, v46, s1
	;; [unrolled: 1-line block ×3, first 2 shown]
	s_addc_u32 s49, s7, s3
	s_lshl_b64 s[30:31], s[16:17], 4
	s_lshl_b64 s[42:43], s[26:27], 4
	s_mul_i32 s1, s36, s27
	s_mul_hi_u32 s2, s36, s26
	s_add_u32 s44, s44, 8
	s_addc_u32 s45, s45, 0
	s_add_i32 s2, s2, s1
	s_mul_i32 s3, s37, s26
	s_mul_i32 s12, s36, s26
	s_add_i32 s13, s2, s3
	v_or_b32_e32 v48, 0x1000, v0
	v_or_b32_e32 v49, 0x2000, v0
	;; [unrolled: 1-line block ×7, first 2 shown]
	s_lshl_b64 s[12:13], s[12:13], 4
	v_mov_b32_e32 v25, s47
	v_add_co_u32 v16, s12, s12, v43
	s_delay_alu instid0(VALU_DEP_3) | instskip(SKIP_2) | instid1(VALU_DEP_4)
	v_cmp_gt_u32_e64 s1, 0x700, v0
	v_add_co_ci_u32_e64 v0, null, s13, 0, s12
	v_add_co_u32 v17, s12, s48, v43
	v_mul_lo_u32 v21, s27, v16
	s_delay_alu instid0(VALU_DEP_3) | instskip(SKIP_4) | instid1(VALU_DEP_2)
	v_mul_lo_u32 v20, s26, v0
	v_mad_u64_u32 v[0:1], null, s26, v16, s[6:7]
	v_add_co_ci_u32_e64 v18, null, s49, 0, s12
	v_add_co_u32 v16, vcc_lo, v17, 8
	s_mov_b32 s12, s41
	v_add_co_ci_u32_e32 v17, vcc_lo, 0, v18, vcc_lo
	v_add_co_u32 v18, s6, s44, v14
	v_add3_u32 v1, v21, v1, v20
	v_add_co_ci_u32_e64 v19, null, s45, 0, s6
	s_lshl_b64 s[6:7], s[40:41], 3
	v_add_co_u32 v20, vcc_lo, v0, 8
	s_sub_u32 s67, s14, s6
	s_subb_u32 s68, s15, s7
	s_mov_b32 s13, s41
	s_mov_b32 s14, s41
	;; [unrolled: 1-line block ×3, first 2 shown]
	v_lshlrev_b32_e32 v47, 4, v42
	v_add_co_ci_u32_e32 v21, vcc_lo, 0, v1, vcc_lo
	v_add_co_u32 v22, vcc_lo, v3, 8
	v_add_co_ci_u32_e32 v23, vcc_lo, 0, v2, vcc_lo
	v_mov_b32_e32 v0, s12
	v_mov_b32_e32 v2, s14
	v_or_b32_e32 v51, 0x4000, v47
	v_mov_b32_e32 v1, s13
	v_mov_b32_e32 v3, s15
	s_sub_u32 s23, 1, s23
	s_mov_b64 s[2:3], 8
	s_subb_u32 s41, 0, 0
	s_mov_b64 s[46:47], 0
	s_branch .LBB162_16
.LBB162_14:                             ;   in Loop: Header=BB162_16 Depth=1
	s_or_b32 exec_lo, exec_lo, s2
.LBB162_15:                             ;   in Loop: Header=BB162_16 Depth=1
	v_cmp_lt_i64_e64 s2, s[6:7], s[24:25]
	s_delay_alu instid0(VALU_DEP_2)
	v_dual_mov_b32 v24, v26 :: v_dual_mov_b32 v25, v27
	s_waitcnt_vscnt null, 0x0
	s_barrier
	buffer_gl0_inv
	s_and_b32 vcc_lo, s2, exec_lo
	s_cselect_b32 s46, s6, s24
	s_cselect_b32 s47, s7, s25
	s_add_u32 s2, s46, 8
	s_addc_u32 s3, s47, 0
	s_barrier
	buffer_gl0_inv
	s_cbranch_vccz .LBB162_96
.LBB162_16:                             ; =>This Loop Header: Depth=1
                                        ;     Child Loop BB162_22 Depth 2
                                        ;       Child Loop BB162_27 Depth 3
                                        ;         Child Loop BB162_39 Depth 4
                                        ;         Child Loop BB162_35 Depth 4
                                        ;     Child Loop BB162_51 Depth 2
	s_and_saveexec_b32 s6, s0
	s_cbranch_execz .LBB162_18
; %bb.17:                               ;   in Loop: Header=BB162_16 Depth=1
	ds_store_b8 v42, v15 offset:32768
.LBB162_18:                             ;   in Loop: Header=BB162_16 Depth=1
	s_or_b32 exec_lo, exec_lo, s6
	ds_store_b128 v47, v[0:3]
	ds_store_b128 v47, v[0:3] offset:4096
	ds_store_b128 v47, v[0:3] offset:8192
	;; [unrolled: 1-line block ×4, first 2 shown]
	s_and_saveexec_b32 s6, s1
	s_delay_alu instid0(SALU_CYCLE_1)
	s_xor_b32 s6, exec_lo, s6
	s_cbranch_execz .LBB162_20
; %bb.19:                               ;   in Loop: Header=BB162_16 Depth=1
	ds_store_b128 v47, v[0:3] offset:20480
	ds_store_b128 v47, v[0:3] offset:24576
	;; [unrolled: 1-line block ×3, first 2 shown]
.LBB162_20:                             ;   in Loop: Header=BB162_16 Depth=1
	s_or_b32 exec_lo, exec_lo, s6
	s_delay_alu instid0(SALU_CYCLE_1)
	s_and_not1_b32 vcc_lo, exec_lo, s61
	s_mov_b64 s[6:7], s[24:25]
	s_waitcnt lgkmcnt(0)
	s_barrier
	buffer_gl0_inv
	s_cbranch_vccnz .LBB162_48
; %bb.21:                               ;   in Loop: Header=BB162_16 Depth=1
	v_dual_mov_b32 v27, v21 :: v_dual_mov_b32 v26, v20
	v_dual_mov_b32 v29, v17 :: v_dual_mov_b32 v28, v16
	s_cmp_lg_u64 s[46:47], 0
	s_mov_b64 s[48:49], s[24:25]
	s_cselect_b32 s69, -1, 0
	s_mov_b64 s[12:13], s[36:37]
.LBB162_22:                             ;   Parent Loop BB162_16 Depth=1
                                        ; =>  This Loop Header: Depth=2
                                        ;       Child Loop BB162_27 Depth 3
                                        ;         Child Loop BB162_39 Depth 4
                                        ;         Child Loop BB162_35 Depth 4
	s_delay_alu instid0(SALU_CYCLE_1) | instskip(NEXT) | instid1(SALU_CYCLE_1)
	s_lshl_b64 s[14:15], s[12:13], 3
	s_add_u32 s6, s4, s14
	s_addc_u32 s7, s5, s15
	s_load_b64 s[6:7], s[6:7], 0x0
	s_waitcnt lgkmcnt(0)
	s_sub_u32 s6, s6, s20
	s_subb_u32 s7, s7, 0
	s_and_b32 vcc_lo, exec_lo, s69
	s_cbranch_vccz .LBB162_47
; %bb.23:                               ;   in Loop: Header=BB162_22 Depth=2
	s_add_u32 s50, s38, s14
	s_addc_u32 s51, s39, s15
	global_load_b64 v[30:31], v15, s[50:51]
	s_waitcnt vmcnt(0)
	v_readfirstlane_b32 s50, v30
	v_readfirstlane_b32 s51, v31
	s_cbranch_execnz .LBB162_25
.LBB162_24:                             ;   in Loop: Header=BB162_22 Depth=2
	s_lshl_b64 s[50:51], s[6:7], 3
	s_delay_alu instid0(SALU_CYCLE_1)
	s_add_u32 s50, s8, s50
	s_addc_u32 s51, s9, s51
	s_load_b64 s[50:51], s[50:51], 0x0
	s_waitcnt lgkmcnt(0)
	s_sub_u32 s50, s50, s21
	s_subb_u32 s51, s51, 0
.LBB162_25:                             ;   in Loop: Header=BB162_22 Depth=2
	s_lshl_b64 s[6:7], s[6:7], 3
	s_delay_alu instid0(SALU_CYCLE_1)
	s_add_u32 s6, s63, s6
	s_addc_u32 s7, s64, s7
	s_load_b64 s[6:7], s[6:7], 0x0
	s_waitcnt lgkmcnt(0)
	s_sub_u32 s52, s6, s21
	s_subb_u32 s53, s7, 0
	s_delay_alu instid0(SALU_CYCLE_1) | instskip(NEXT) | instid1(VALU_DEP_1)
	v_cmp_ge_i64_e64 s6, s[50:51], s[52:53]
	s_and_b32 vcc_lo, exec_lo, s6
	s_cbranch_vccnz .LBB162_44
; %bb.26:                               ;   in Loop: Header=BB162_22 Depth=2
	v_mad_u64_u32 v[32:33], null, s42, s50, v[14:15]
	s_mul_i32 s6, s43, s50
	s_mul_i32 s7, s42, s51
	s_mov_b64 s[54:55], s[50:51]
	s_delay_alu instid0(VALU_DEP_1) | instskip(NEXT) | instid1(VALU_DEP_2)
	v_add3_u32 v33, s7, s6, v33
	v_mul_lo_u32 v34, s27, v32
	v_mad_u64_u32 v[30:31], null, s26, v32, s[44:45]
	s_mul_i32 s6, s31, s50
	s_delay_alu instid0(VALU_DEP_3) | instskip(SKIP_2) | instid1(VALU_DEP_2)
	v_mul_lo_u32 v35, s26, v33
	v_mad_u64_u32 v[32:33], null, s30, s50, v[18:19]
	s_mul_i32 s7, s30, s51
	v_add3_u32 v31, v34, v31, v35
	s_delay_alu instid0(VALU_DEP_2)
	v_add3_u32 v33, s7, s6, v33
.LBB162_27:                             ;   Parent Loop BB162_16 Depth=1
                                        ;     Parent Loop BB162_22 Depth=2
                                        ; =>    This Loop Header: Depth=3
                                        ;         Child Loop BB162_39 Depth 4
                                        ;         Child Loop BB162_35 Depth 4
	s_lshl_b64 s[6:7], s[54:55], 3
	s_mov_b32 s71, -1
	s_add_u32 s6, s10, s6
	s_addc_u32 s7, s11, s7
                                        ; implicit-def: $sgpr70
                                        ; implicit-def: $sgpr56_sgpr57
	s_load_b64 s[6:7], s[6:7], 0x0
	s_waitcnt lgkmcnt(0)
	s_sub_u32 s58, s6, s21
	s_subb_u32 s59, s7, 0
	s_delay_alu instid0(SALU_CYCLE_1) | instskip(SKIP_2) | instid1(VALU_DEP_2)
	v_cmp_ge_i64_e64 s6, s[58:59], s[46:47]
	v_cmp_lt_i64_e64 s7, s[58:59], s[2:3]
	v_cmp_ge_i64_e64 s72, s[58:59], s[2:3]
	s_and_b32 s6, s6, s7
	s_delay_alu instid0(SALU_CYCLE_1)
	s_and_not1_b32 vcc_lo, exec_lo, s6
                                        ; implicit-def: $sgpr6_sgpr7
	s_cbranch_vccz .LBB162_31
; %bb.28:                               ;   in Loop: Header=BB162_27 Depth=3
	s_mov_b32 s70, -1
	s_delay_alu instid0(VALU_DEP_1)
	s_and_not1_b32 vcc_lo, exec_lo, s72
	s_mov_b64 s[6:7], s[48:49]
	s_mov_b64 s[56:57], s[50:51]
	s_cbranch_vccnz .LBB162_30
; %bb.29:                               ;   in Loop: Header=BB162_27 Depth=3
	v_cmp_lt_i64_e64 s6, s[58:59], s[48:49]
	s_mov_b32 s70, 0
	s_mov_b64 s[56:57], s[54:55]
	s_delay_alu instid0(VALU_DEP_1)
	s_and_b32 s6, s6, exec_lo
	s_cselect_b32 s7, s59, s49
	s_cselect_b32 s6, s58, s48
.LBB162_30:                             ;   in Loop: Header=BB162_27 Depth=3
	s_mov_b32 s71, 0
.LBB162_31:                             ;   in Loop: Header=BB162_27 Depth=3
	s_delay_alu instid0(SALU_CYCLE_1)
	s_and_not1_b32 vcc_lo, exec_lo, s71
	s_cbranch_vccnz .LBB162_42
; %bb.32:                               ;   in Loop: Header=BB162_27 Depth=3
	s_sub_i32 s57, s58, s46
	s_delay_alu instid0(SALU_CYCLE_1)
	v_mov_b32_e32 v34, s57
	ds_store_b8 v34, v57 offset:32768
	s_and_saveexec_b32 s56, s62
	s_cbranch_execz .LBB162_41
; %bb.33:                               ;   in Loop: Header=BB162_27 Depth=3
	s_and_not1_b32 vcc_lo, exec_lo, s60
	s_cbranch_vccnz .LBB162_37
; %bb.34:                               ;   in Loop: Header=BB162_27 Depth=3
	v_dual_mov_b32 v34, 0 :: v_dual_mov_b32 v39, v31
	v_dual_mov_b32 v35, 0 :: v_dual_mov_b32 v38, v30
	;; [unrolled: 1-line block ×3, first 2 shown]
	s_mov_b64 s[6:7], s[26:27]
	s_delay_alu instid0(VALU_DEP_2)
	v_dual_mov_b32 v37, v35 :: v_dual_mov_b32 v36, v34
	.p2align	6
.LBB162_35:                             ;   Parent Loop BB162_16 Depth=1
                                        ;     Parent Loop BB162_22 Depth=2
                                        ;       Parent Loop BB162_27 Depth=3
                                        ; =>      This Inner Loop Header: Depth=4
	global_load_b128 v[58:61], v[40:41], off offset:-8
	global_load_b128 v[62:65], v[38:39], off offset:-8
	v_add_co_u32 v40, vcc_lo, v40, s42
	v_add_co_ci_u32_e32 v41, vcc_lo, s43, v41, vcc_lo
	v_add_co_u32 v38, vcc_lo, v38, 16
	v_add_co_ci_u32_e32 v39, vcc_lo, 0, v39, vcc_lo
	s_add_u32 s6, s6, -1
	s_addc_u32 s7, s7, -1
	s_delay_alu instid0(SALU_CYCLE_1) | instskip(SKIP_3) | instid1(VALU_DEP_2)
	s_cmp_lg_u64 s[6:7], 0
	s_waitcnt vmcnt(0)
	v_fma_f64 v[34:35], v[58:59], v[62:63], v[34:35]
	v_fma_f64 v[36:37], v[60:61], v[62:63], v[36:37]
	v_fma_f64 v[34:35], -v[60:61], v[64:65], v[34:35]
	s_delay_alu instid0(VALU_DEP_2)
	v_fma_f64 v[36:37], v[58:59], v[64:65], v[36:37]
	s_cbranch_scc1 .LBB162_35
; %bb.36:                               ;   in Loop: Header=BB162_27 Depth=3
	s_branch .LBB162_40
.LBB162_37:                             ;   in Loop: Header=BB162_27 Depth=3
                                        ; implicit-def: $vgpr34_vgpr35
                                        ; implicit-def: $vgpr36_vgpr37
	s_cbranch_execz .LBB162_40
; %bb.38:                               ;   in Loop: Header=BB162_27 Depth=3
	v_dual_mov_b32 v34, 0 :: v_dual_mov_b32 v39, v27
	v_dual_mov_b32 v35, 0 :: v_dual_mov_b32 v38, v26
	;; [unrolled: 1-line block ×3, first 2 shown]
	s_mov_b64 s[6:7], s[26:27]
	s_delay_alu instid0(VALU_DEP_2)
	v_dual_mov_b32 v37, v35 :: v_dual_mov_b32 v36, v34
	.p2align	6
.LBB162_39:                             ;   Parent Loop BB162_16 Depth=1
                                        ;     Parent Loop BB162_22 Depth=2
                                        ;       Parent Loop BB162_27 Depth=3
                                        ; =>      This Inner Loop Header: Depth=4
	global_load_b128 v[58:61], v[38:39], off offset:-8
	global_load_b128 v[62:65], v[40:41], off offset:-8
	v_add_co_u32 v40, vcc_lo, v40, s42
	v_add_co_ci_u32_e32 v41, vcc_lo, s43, v41, vcc_lo
	v_add_co_u32 v38, vcc_lo, v38, 16
	v_add_co_ci_u32_e32 v39, vcc_lo, 0, v39, vcc_lo
	s_add_u32 s6, s6, -1
	s_addc_u32 s7, s7, -1
	s_delay_alu instid0(SALU_CYCLE_1) | instskip(SKIP_3) | instid1(VALU_DEP_2)
	s_cmp_eq_u64 s[6:7], 0
	s_waitcnt vmcnt(0)
	v_fma_f64 v[34:35], v[58:59], v[62:63], v[34:35]
	v_fma_f64 v[36:37], v[60:61], v[62:63], v[36:37]
	v_fma_f64 v[34:35], -v[60:61], v[64:65], v[34:35]
	s_delay_alu instid0(VALU_DEP_2)
	v_fma_f64 v[36:37], v[58:59], v[64:65], v[36:37]
	s_cbranch_scc0 .LBB162_39
.LBB162_40:                             ;   in Loop: Header=BB162_27 Depth=3
	s_lshl_b32 s6, s57, 8
	s_delay_alu instid0(SALU_CYCLE_1) | instskip(NEXT) | instid1(VALU_DEP_1)
	v_or3_b32 v38, s6, v43, v12
	v_lshlrev_b32_e32 v58, 4, v38
	ds_load_b128 v[38:41], v58
	s_waitcnt lgkmcnt(0)
	v_fma_f64 v[38:39], v[6:7], v[34:35], v[38:39]
	v_fma_f64 v[40:41], v[8:9], v[34:35], v[40:41]
	s_delay_alu instid0(VALU_DEP_2) | instskip(NEXT) | instid1(VALU_DEP_2)
	v_fma_f64 v[34:35], -v[8:9], v[36:37], v[38:39]
	v_fma_f64 v[36:37], v[6:7], v[36:37], v[40:41]
	ds_store_b128 v58, v[34:37]
.LBB162_41:                             ;   in Loop: Header=BB162_27 Depth=3
	s_or_b32 exec_lo, exec_lo, s56
	s_mov_b32 s70, -1
	s_mov_b64 s[6:7], s[48:49]
	s_mov_b64 s[56:57], s[50:51]
	s_waitcnt lgkmcnt(0)
	s_waitcnt_vscnt null, 0x0
	s_barrier
	buffer_gl0_inv
.LBB162_42:                             ;   in Loop: Header=BB162_27 Depth=3
	s_add_u32 s54, s54, 1
	s_addc_u32 s55, s55, 0
	v_add_co_u32 v30, vcc_lo, v30, s30
	v_cmp_lt_i64_e64 s48, s[54:55], s[52:53]
	v_add_co_ci_u32_e32 v31, vcc_lo, s31, v31, vcc_lo
	v_add_co_u32 v32, vcc_lo, v32, s30
	v_add_co_ci_u32_e32 v33, vcc_lo, s31, v33, vcc_lo
	s_delay_alu instid0(VALU_DEP_4) | instskip(NEXT) | instid1(SALU_CYCLE_1)
	s_and_b32 s48, s70, s48
	s_and_b32 vcc_lo, exec_lo, s48
	s_cbranch_vccz .LBB162_45
; %bb.43:                               ;   in Loop: Header=BB162_27 Depth=3
	s_mov_b64 s[48:49], s[6:7]
	s_mov_b64 s[50:51], s[56:57]
	s_branch .LBB162_27
.LBB162_44:                             ;   in Loop: Header=BB162_22 Depth=2
	s_mov_b64 s[6:7], s[48:49]
	s_mov_b64 s[56:57], s[50:51]
.LBB162_45:                             ;   in Loop: Header=BB162_22 Depth=2
	s_add_u32 s14, s38, s14
	s_addc_u32 s15, s39, s15
	s_add_u32 s12, s12, 1
	s_addc_u32 s13, s13, 0
	v_add_co_u32 v28, vcc_lo, v28, s30
	v_cmp_lt_i64_e64 s48, s[12:13], s[34:35]
	v_add_co_ci_u32_e32 v29, vcc_lo, s31, v29, vcc_lo
	v_add_co_u32 v26, vcc_lo, v26, s30
	v_dual_mov_b32 v30, s56 :: v_dual_mov_b32 v31, s57
	v_add_co_ci_u32_e32 v27, vcc_lo, s31, v27, vcc_lo
	s_and_b32 vcc_lo, exec_lo, s48
	global_store_b64 v15, v[30:31], s[14:15]
	s_cbranch_vccz .LBB162_48
; %bb.46:                               ;   in Loop: Header=BB162_22 Depth=2
	s_mov_b64 s[48:49], s[6:7]
	s_branch .LBB162_22
.LBB162_47:                             ;   in Loop: Header=BB162_22 Depth=2
                                        ; implicit-def: $sgpr50_sgpr51
	s_branch .LBB162_24
.LBB162_48:                             ;   in Loop: Header=BB162_16 Depth=1
	s_and_not1_b32 vcc_lo, exec_lo, s33
	s_cbranch_vccnz .LBB162_60
; %bb.49:                               ;   in Loop: Header=BB162_16 Depth=1
	s_load_b128 s[12:15], s[18:19], 0x0
	s_waitcnt lgkmcnt(0)
	v_cmp_ge_i64_e64 s48, s[12:13], s[14:15]
	s_delay_alu instid0(VALU_DEP_1)
	s_and_b32 vcc_lo, exec_lo, s48
	s_cbranch_vccnz .LBB162_60
; %bb.50:                               ;   in Loop: Header=BB162_16 Depth=1
	s_sub_u32 s14, s14, s40
	s_subb_u32 s15, s15, 0
	s_sub_u32 s50, s12, s40
	s_subb_u32 s51, s13, 0
	v_mad_u64_u32 v[26:27], null, s30, s50, v[22:23]
	s_lshl_b64 s[48:49], s[12:13], 3
	s_mul_i32 s50, s31, s50
	s_mul_i32 s51, s30, s51
	s_add_u32 s48, s67, s48
	s_addc_u32 s49, s68, s49
	s_add_u32 s12, s23, s12
	s_delay_alu instid0(VALU_DEP_1)
	v_add3_u32 v27, s51, s50, v27
	s_addc_u32 s13, s41, s13
.LBB162_51:                             ;   Parent Loop BB162_16 Depth=1
                                        ; =>  This Inner Loop Header: Depth=2
	s_load_b64 s[50:51], s[48:49], 0x0
	s_mov_b32 s55, -1
	s_waitcnt lgkmcnt(0)
	s_sub_u32 s52, s50, s40
	s_subb_u32 s53, s51, 0
	s_delay_alu instid0(SALU_CYCLE_1) | instskip(SKIP_1) | instid1(VALU_DEP_1)
	v_cmp_ge_i64_e64 s50, s[52:53], s[46:47]
	v_cmp_lt_i64_e64 s54, s[52:53], s[2:3]
	s_and_b32 s50, s50, s54
	s_delay_alu instid0(SALU_CYCLE_1)
	s_and_not1_b32 vcc_lo, exec_lo, s50
                                        ; implicit-def: $sgpr50_sgpr51
	s_cbranch_vccz .LBB162_53
; %bb.52:                               ;   in Loop: Header=BB162_51 Depth=2
	v_cmp_lt_i64_e64 s50, s[52:53], s[6:7]
	s_mov_b32 s55, 0
	s_delay_alu instid0(VALU_DEP_1)
	s_and_b32 s50, s50, exec_lo
	s_cselect_b32 s50, s52, s6
	s_cselect_b32 s51, s53, s7
	s_and_b32 s53, s54, exec_lo
	s_cselect_b32 s51, s7, s51
	s_cselect_b32 s50, s6, s50
.LBB162_53:                             ;   in Loop: Header=BB162_51 Depth=2
	s_and_not1_b32 vcc_lo, exec_lo, s55
	s_cbranch_vccnz .LBB162_57
; %bb.54:                               ;   in Loop: Header=BB162_51 Depth=2
	s_sub_i32 s51, s52, s46
	s_delay_alu instid0(SALU_CYCLE_1)
	v_mov_b32_e32 v28, s51
	ds_store_b8 v28, v57 offset:32768
	s_and_saveexec_b32 s50, s62
	s_cbranch_execz .LBB162_56
; %bb.55:                               ;   in Loop: Header=BB162_51 Depth=2
	global_load_b128 v[28:31], v[26:27], off offset:-8
	s_lshl_b32 s51, s51, 8
	s_delay_alu instid0(SALU_CYCLE_1) | instskip(NEXT) | instid1(VALU_DEP_1)
	v_or3_b32 v32, s51, v43, v12
	v_lshlrev_b32_e32 v36, 4, v32
	ds_load_b128 v[32:35], v36
	s_waitcnt vmcnt(0) lgkmcnt(0)
	v_fma_f64 v[32:33], v[10:11], v[28:29], v[32:33]
	v_fma_f64 v[34:35], v[4:5], v[28:29], v[34:35]
	s_delay_alu instid0(VALU_DEP_2) | instskip(NEXT) | instid1(VALU_DEP_2)
	v_fma_f64 v[28:29], -v[4:5], v[30:31], v[32:33]
	v_fma_f64 v[30:31], v[10:11], v[30:31], v[34:35]
	ds_store_b128 v36, v[28:31]
.LBB162_56:                             ;   in Loop: Header=BB162_51 Depth=2
	s_or_b32 exec_lo, exec_lo, s50
	s_mov_b32 s54, -1
	s_mov_b64 s[50:51], s[6:7]
	s_waitcnt lgkmcnt(0)
	s_waitcnt_vscnt null, 0x0
	s_barrier
	buffer_gl0_inv
.LBB162_57:                             ;   in Loop: Header=BB162_51 Depth=2
	v_cmp_lt_i64_e64 s6, s[12:13], s[14:15]
	v_add_co_u32 v26, vcc_lo, v26, s30
	v_add_co_ci_u32_e32 v27, vcc_lo, s31, v27, vcc_lo
	s_delay_alu instid0(VALU_DEP_3)
	s_and_b32 s6, s54, s6
	s_add_u32 s48, s48, 8
	s_addc_u32 s49, s49, 0
	s_add_u32 s12, s12, 1
	s_addc_u32 s13, s13, 0
	s_and_b32 vcc_lo, exec_lo, s6
	s_cbranch_vccz .LBB162_59
; %bb.58:                               ;   in Loop: Header=BB162_51 Depth=2
	s_mov_b64 s[6:7], s[50:51]
	s_branch .LBB162_51
.LBB162_59:                             ;   in Loop: Header=BB162_16 Depth=1
	s_mov_b64 s[6:7], s[50:51]
.LBB162_60:                             ;   in Loop: Header=BB162_16 Depth=1
	s_waitcnt_vscnt null, 0x0
	s_barrier
	buffer_gl0_inv
	ds_load_u8 v26, v15 offset:32768
	s_add_u32 s12, s46, s22
	s_addc_u32 s13, s47, 0
	s_mov_b32 s3, 0
	s_waitcnt lgkmcnt(0)
	v_cmp_eq_u32_e32 vcc_lo, 0, v26
	s_cbranch_vccnz .LBB162_64
; %bb.61:                               ;   in Loop: Header=BB162_16 Depth=1
	v_lshlrev_b64 v[26:27], 3, v[24:25]
	v_dual_mov_b32 v29, s13 :: v_dual_mov_b32 v28, s12
	s_delay_alu instid0(VALU_DEP_2) | instskip(NEXT) | instid1(VALU_DEP_3)
	v_add_co_u32 v26, vcc_lo, s28, v26
	v_add_co_ci_u32_e32 v27, vcc_lo, s29, v27, vcc_lo
	global_store_b64 v[26:27], v[28:29], off
	s_and_saveexec_b32 s2, s62
	s_cbranch_execz .LBB162_63
; %bb.62:                               ;   in Loop: Header=BB162_16 Depth=1
	v_mul_lo_u32 v32, v25, s16
	v_mul_lo_u32 v33, v24, s17
	v_mad_u64_u32 v[30:31], null, v24, s16, 0
	ds_load_2addr_b64 v[26:29], v47 offset1:1
	v_add3_u32 v31, v31, v33, v32
	s_delay_alu instid0(VALU_DEP_1) | instskip(NEXT) | instid1(VALU_DEP_1)
	v_lshlrev_b64 v[30:31], 4, v[30:31]
	v_add_co_u32 v30, vcc_lo, v56, v30
	s_delay_alu instid0(VALU_DEP_2)
	v_add_co_ci_u32_e32 v31, vcc_lo, v55, v31, vcc_lo
	s_waitcnt lgkmcnt(0)
	global_store_b128 v[30:31], v[26:29], off
.LBB162_63:                             ;   in Loop: Header=BB162_16 Depth=1
	s_or_b32 exec_lo, exec_lo, s2
	s_mov_b32 s3, 1
.LBB162_64:                             ;   in Loop: Header=BB162_16 Depth=1
	ds_load_u8 v26, v15 offset:32769
	v_add_co_u32 v28, s2, v24, -1
	s_delay_alu instid0(VALU_DEP_1)
	v_add_co_ci_u32_e64 v29, s2, -1, v25, s2
	s_waitcnt lgkmcnt(0)
	v_cmp_eq_u32_e32 vcc_lo, 0, v26
	s_cbranch_vccz .LBB162_70
; %bb.65:                               ;   in Loop: Header=BB162_16 Depth=1
	ds_load_u8 v26, v15 offset:32770
	s_waitcnt lgkmcnt(0)
	v_cmp_eq_u32_e32 vcc_lo, 0, v26
	s_cbranch_vccz .LBB162_73
.LBB162_66:                             ;   in Loop: Header=BB162_16 Depth=1
	ds_load_u8 v26, v15 offset:32771
	s_waitcnt lgkmcnt(0)
	v_cmp_eq_u32_e32 vcc_lo, 0, v26
	s_cbranch_vccz .LBB162_76
.LBB162_67:                             ;   in Loop: Header=BB162_16 Depth=1
	ds_load_u8 v26, v15 offset:32772
	s_waitcnt lgkmcnt(0)
	v_cmp_eq_u32_e32 vcc_lo, 0, v26
	s_cbranch_vccz .LBB162_79
.LBB162_68:                             ;   in Loop: Header=BB162_16 Depth=1
	ds_load_u8 v26, v15 offset:32773
	s_waitcnt lgkmcnt(0)
	v_cmp_eq_u32_e32 vcc_lo, 0, v26
	s_cbranch_vccz .LBB162_82
.LBB162_69:                             ;   in Loop: Header=BB162_16 Depth=1
	ds_load_u8 v26, v15 offset:32774
	s_waitcnt lgkmcnt(0)
	v_cmp_eq_u32_e32 vcc_lo, 0, v26
	s_cbranch_vccz .LBB162_85
	s_branch .LBB162_88
.LBB162_70:                             ;   in Loop: Header=BB162_16 Depth=1
	s_add_i32 s3, s3, 1
	s_add_u32 s14, s12, 1
	v_add_co_u32 v26, vcc_lo, v24, s3
	v_add_co_ci_u32_e32 v27, vcc_lo, 0, v25, vcc_lo
	s_addc_u32 s15, s13, 0
	s_delay_alu instid0(SALU_CYCLE_1) | instskip(NEXT) | instid1(VALU_DEP_2)
	v_dual_mov_b32 v31, s15 :: v_dual_mov_b32 v30, s14
	v_lshlrev_b64 v[26:27], 3, v[26:27]
	s_delay_alu instid0(VALU_DEP_1) | instskip(NEXT) | instid1(VALU_DEP_2)
	v_add_co_u32 v26, vcc_lo, s65, v26
	v_add_co_ci_u32_e32 v27, vcc_lo, s66, v27, vcc_lo
	global_store_b64 v[26:27], v[30:31], off
	s_and_saveexec_b32 s2, s62
	s_cbranch_execz .LBB162_72
; %bb.71:                               ;   in Loop: Header=BB162_16 Depth=1
	v_add_co_u32 v30, vcc_lo, v28, s3
	v_add_co_ci_u32_e32 v26, vcc_lo, 0, v29, vcc_lo
	s_delay_alu instid0(VALU_DEP_2) | instskip(NEXT) | instid1(VALU_DEP_2)
	v_mul_lo_u32 v35, v30, s17
	v_mul_lo_u32 v34, v26, s16
	v_mad_u64_u32 v[26:27], null, v30, s16, 0
	ds_load_2addr_b64 v[30:33], v48 offset1:1
	v_add3_u32 v27, v27, v35, v34
	s_delay_alu instid0(VALU_DEP_1) | instskip(NEXT) | instid1(VALU_DEP_1)
	v_lshlrev_b64 v[26:27], 4, v[26:27]
	v_add_co_u32 v26, vcc_lo, v56, v26
	s_delay_alu instid0(VALU_DEP_2)
	v_add_co_ci_u32_e32 v27, vcc_lo, v55, v27, vcc_lo
	s_waitcnt lgkmcnt(0)
	global_store_b128 v[26:27], v[30:33], off
.LBB162_72:                             ;   in Loop: Header=BB162_16 Depth=1
	s_or_b32 exec_lo, exec_lo, s2
	ds_load_u8 v26, v15 offset:32770
	s_waitcnt lgkmcnt(0)
	v_cmp_eq_u32_e32 vcc_lo, 0, v26
	s_cbranch_vccnz .LBB162_66
.LBB162_73:                             ;   in Loop: Header=BB162_16 Depth=1
	s_add_i32 s3, s3, 1
	s_add_u32 s14, s12, 2
	v_add_co_u32 v26, vcc_lo, v24, s3
	v_add_co_ci_u32_e32 v27, vcc_lo, 0, v25, vcc_lo
	s_addc_u32 s15, s13, 0
	s_delay_alu instid0(SALU_CYCLE_1) | instskip(NEXT) | instid1(VALU_DEP_2)
	v_dual_mov_b32 v31, s15 :: v_dual_mov_b32 v30, s14
	v_lshlrev_b64 v[26:27], 3, v[26:27]
	s_delay_alu instid0(VALU_DEP_1) | instskip(NEXT) | instid1(VALU_DEP_2)
	v_add_co_u32 v26, vcc_lo, s65, v26
	v_add_co_ci_u32_e32 v27, vcc_lo, s66, v27, vcc_lo
	global_store_b64 v[26:27], v[30:31], off
	s_and_saveexec_b32 s2, s62
	s_cbranch_execz .LBB162_75
; %bb.74:                               ;   in Loop: Header=BB162_16 Depth=1
	v_add_co_u32 v30, vcc_lo, v28, s3
	v_add_co_ci_u32_e32 v26, vcc_lo, 0, v29, vcc_lo
	s_delay_alu instid0(VALU_DEP_2) | instskip(NEXT) | instid1(VALU_DEP_2)
	v_mul_lo_u32 v35, v30, s17
	v_mul_lo_u32 v34, v26, s16
	v_mad_u64_u32 v[26:27], null, v30, s16, 0
	ds_load_2addr_b64 v[30:33], v49 offset1:1
	v_add3_u32 v27, v27, v35, v34
	s_delay_alu instid0(VALU_DEP_1) | instskip(NEXT) | instid1(VALU_DEP_1)
	v_lshlrev_b64 v[26:27], 4, v[26:27]
	v_add_co_u32 v26, vcc_lo, v56, v26
	s_delay_alu instid0(VALU_DEP_2)
	v_add_co_ci_u32_e32 v27, vcc_lo, v55, v27, vcc_lo
	s_waitcnt lgkmcnt(0)
	global_store_b128 v[26:27], v[30:33], off
.LBB162_75:                             ;   in Loop: Header=BB162_16 Depth=1
	s_or_b32 exec_lo, exec_lo, s2
	ds_load_u8 v26, v15 offset:32771
	s_waitcnt lgkmcnt(0)
	v_cmp_eq_u32_e32 vcc_lo, 0, v26
	s_cbranch_vccnz .LBB162_67
.LBB162_76:                             ;   in Loop: Header=BB162_16 Depth=1
	s_add_i32 s3, s3, 1
	s_add_u32 s14, s12, 3
	v_add_co_u32 v26, vcc_lo, v24, s3
	v_add_co_ci_u32_e32 v27, vcc_lo, 0, v25, vcc_lo
	s_addc_u32 s15, s13, 0
	s_delay_alu instid0(SALU_CYCLE_1) | instskip(NEXT) | instid1(VALU_DEP_2)
	v_dual_mov_b32 v31, s15 :: v_dual_mov_b32 v30, s14
	v_lshlrev_b64 v[26:27], 3, v[26:27]
	s_delay_alu instid0(VALU_DEP_1) | instskip(NEXT) | instid1(VALU_DEP_2)
	v_add_co_u32 v26, vcc_lo, s65, v26
	v_add_co_ci_u32_e32 v27, vcc_lo, s66, v27, vcc_lo
	global_store_b64 v[26:27], v[30:31], off
	s_and_saveexec_b32 s2, s62
	s_cbranch_execz .LBB162_78
; %bb.77:                               ;   in Loop: Header=BB162_16 Depth=1
	v_add_co_u32 v30, vcc_lo, v28, s3
	v_add_co_ci_u32_e32 v26, vcc_lo, 0, v29, vcc_lo
	s_delay_alu instid0(VALU_DEP_2) | instskip(NEXT) | instid1(VALU_DEP_2)
	v_mul_lo_u32 v35, v30, s17
	v_mul_lo_u32 v34, v26, s16
	v_mad_u64_u32 v[26:27], null, v30, s16, 0
	ds_load_2addr_b64 v[30:33], v50 offset1:1
	v_add3_u32 v27, v27, v35, v34
	s_delay_alu instid0(VALU_DEP_1) | instskip(NEXT) | instid1(VALU_DEP_1)
	v_lshlrev_b64 v[26:27], 4, v[26:27]
	v_add_co_u32 v26, vcc_lo, v56, v26
	s_delay_alu instid0(VALU_DEP_2)
	v_add_co_ci_u32_e32 v27, vcc_lo, v55, v27, vcc_lo
	s_waitcnt lgkmcnt(0)
	global_store_b128 v[26:27], v[30:33], off
.LBB162_78:                             ;   in Loop: Header=BB162_16 Depth=1
	s_or_b32 exec_lo, exec_lo, s2
	ds_load_u8 v26, v15 offset:32772
	s_waitcnt lgkmcnt(0)
	v_cmp_eq_u32_e32 vcc_lo, 0, v26
	s_cbranch_vccnz .LBB162_68
.LBB162_79:                             ;   in Loop: Header=BB162_16 Depth=1
	s_add_i32 s3, s3, 1
	s_add_u32 s14, s12, 4
	v_add_co_u32 v26, vcc_lo, v24, s3
	v_add_co_ci_u32_e32 v27, vcc_lo, 0, v25, vcc_lo
	s_addc_u32 s15, s13, 0
	s_delay_alu instid0(SALU_CYCLE_1) | instskip(NEXT) | instid1(VALU_DEP_2)
	v_dual_mov_b32 v31, s15 :: v_dual_mov_b32 v30, s14
	v_lshlrev_b64 v[26:27], 3, v[26:27]
	s_delay_alu instid0(VALU_DEP_1) | instskip(NEXT) | instid1(VALU_DEP_2)
	v_add_co_u32 v26, vcc_lo, s65, v26
	v_add_co_ci_u32_e32 v27, vcc_lo, s66, v27, vcc_lo
	global_store_b64 v[26:27], v[30:31], off
	s_and_saveexec_b32 s2, s62
	s_cbranch_execz .LBB162_81
; %bb.80:                               ;   in Loop: Header=BB162_16 Depth=1
	v_add_co_u32 v30, vcc_lo, v28, s3
	v_add_co_ci_u32_e32 v26, vcc_lo, 0, v29, vcc_lo
	s_delay_alu instid0(VALU_DEP_2) | instskip(NEXT) | instid1(VALU_DEP_2)
	v_mul_lo_u32 v35, v30, s17
	v_mul_lo_u32 v34, v26, s16
	v_mad_u64_u32 v[26:27], null, v30, s16, 0
	ds_load_2addr_b64 v[30:33], v51 offset1:1
	v_add3_u32 v27, v27, v35, v34
	s_delay_alu instid0(VALU_DEP_1) | instskip(NEXT) | instid1(VALU_DEP_1)
	v_lshlrev_b64 v[26:27], 4, v[26:27]
	v_add_co_u32 v26, vcc_lo, v56, v26
	s_delay_alu instid0(VALU_DEP_2)
	v_add_co_ci_u32_e32 v27, vcc_lo, v55, v27, vcc_lo
	s_waitcnt lgkmcnt(0)
	global_store_b128 v[26:27], v[30:33], off
.LBB162_81:                             ;   in Loop: Header=BB162_16 Depth=1
	s_or_b32 exec_lo, exec_lo, s2
	ds_load_u8 v26, v15 offset:32773
	s_waitcnt lgkmcnt(0)
	v_cmp_eq_u32_e32 vcc_lo, 0, v26
	s_cbranch_vccnz .LBB162_69
.LBB162_82:                             ;   in Loop: Header=BB162_16 Depth=1
	s_add_i32 s3, s3, 1
	s_add_u32 s14, s12, 5
	v_add_co_u32 v26, vcc_lo, v24, s3
	v_add_co_ci_u32_e32 v27, vcc_lo, 0, v25, vcc_lo
	s_addc_u32 s15, s13, 0
	s_delay_alu instid0(SALU_CYCLE_1) | instskip(NEXT) | instid1(VALU_DEP_2)
	v_dual_mov_b32 v31, s15 :: v_dual_mov_b32 v30, s14
	v_lshlrev_b64 v[26:27], 3, v[26:27]
	s_delay_alu instid0(VALU_DEP_1) | instskip(NEXT) | instid1(VALU_DEP_2)
	v_add_co_u32 v26, vcc_lo, s65, v26
	v_add_co_ci_u32_e32 v27, vcc_lo, s66, v27, vcc_lo
	global_store_b64 v[26:27], v[30:31], off
	s_and_saveexec_b32 s2, s62
	s_cbranch_execz .LBB162_84
; %bb.83:                               ;   in Loop: Header=BB162_16 Depth=1
	v_add_co_u32 v30, vcc_lo, v28, s3
	v_add_co_ci_u32_e32 v26, vcc_lo, 0, v29, vcc_lo
	s_delay_alu instid0(VALU_DEP_2) | instskip(NEXT) | instid1(VALU_DEP_2)
	v_mul_lo_u32 v35, v30, s17
	v_mul_lo_u32 v34, v26, s16
	v_mad_u64_u32 v[26:27], null, v30, s16, 0
	ds_load_2addr_b64 v[30:33], v52 offset1:1
	v_add3_u32 v27, v27, v35, v34
	s_delay_alu instid0(VALU_DEP_1) | instskip(NEXT) | instid1(VALU_DEP_1)
	v_lshlrev_b64 v[26:27], 4, v[26:27]
	v_add_co_u32 v26, vcc_lo, v56, v26
	s_delay_alu instid0(VALU_DEP_2)
	v_add_co_ci_u32_e32 v27, vcc_lo, v55, v27, vcc_lo
	s_waitcnt lgkmcnt(0)
	global_store_b128 v[26:27], v[30:33], off
.LBB162_84:                             ;   in Loop: Header=BB162_16 Depth=1
	s_or_b32 exec_lo, exec_lo, s2
	ds_load_u8 v26, v15 offset:32774
	s_waitcnt lgkmcnt(0)
	v_cmp_eq_u32_e32 vcc_lo, 0, v26
	s_cbranch_vccnz .LBB162_88
.LBB162_85:                             ;   in Loop: Header=BB162_16 Depth=1
	s_add_i32 s3, s3, 1
	s_add_u32 s14, s12, 6
	v_add_co_u32 v26, vcc_lo, v24, s3
	v_add_co_ci_u32_e32 v27, vcc_lo, 0, v25, vcc_lo
	s_addc_u32 s15, s13, 0
	s_delay_alu instid0(SALU_CYCLE_1) | instskip(NEXT) | instid1(VALU_DEP_2)
	v_dual_mov_b32 v31, s15 :: v_dual_mov_b32 v30, s14
	v_lshlrev_b64 v[26:27], 3, v[26:27]
	s_delay_alu instid0(VALU_DEP_1) | instskip(NEXT) | instid1(VALU_DEP_2)
	v_add_co_u32 v26, vcc_lo, s65, v26
	v_add_co_ci_u32_e32 v27, vcc_lo, s66, v27, vcc_lo
	global_store_b64 v[26:27], v[30:31], off
	s_and_saveexec_b32 s2, s62
	s_cbranch_execz .LBB162_87
; %bb.86:                               ;   in Loop: Header=BB162_16 Depth=1
	v_add_co_u32 v30, vcc_lo, v28, s3
	v_add_co_ci_u32_e32 v26, vcc_lo, 0, v29, vcc_lo
	s_delay_alu instid0(VALU_DEP_2) | instskip(NEXT) | instid1(VALU_DEP_2)
	v_mul_lo_u32 v35, v30, s17
	v_mul_lo_u32 v34, v26, s16
	v_mad_u64_u32 v[26:27], null, v30, s16, 0
	ds_load_2addr_b64 v[30:33], v53 offset1:1
	v_add3_u32 v27, v27, v35, v34
	s_delay_alu instid0(VALU_DEP_1) | instskip(NEXT) | instid1(VALU_DEP_1)
	v_lshlrev_b64 v[26:27], 4, v[26:27]
	v_add_co_u32 v26, vcc_lo, v56, v26
	s_delay_alu instid0(VALU_DEP_2)
	v_add_co_ci_u32_e32 v27, vcc_lo, v55, v27, vcc_lo
	s_waitcnt lgkmcnt(0)
	global_store_b128 v[26:27], v[30:33], off
.LBB162_87:                             ;   in Loop: Header=BB162_16 Depth=1
	s_or_b32 exec_lo, exec_lo, s2
.LBB162_88:                             ;   in Loop: Header=BB162_16 Depth=1
	ds_load_u8 v26, v15 offset:32775
	s_waitcnt lgkmcnt(0)
	v_and_b32_e32 v26, 1, v26
	s_delay_alu instid0(VALU_DEP_1)
	v_cmp_eq_u32_e32 vcc_lo, 1, v26
	s_cbranch_vccnz .LBB162_90
; %bb.89:                               ;   in Loop: Header=BB162_16 Depth=1
	v_add_co_u32 v26, vcc_lo, s3, v24
	v_add_co_ci_u32_e32 v27, vcc_lo, 0, v25, vcc_lo
	s_cbranch_execnz .LBB162_15
	s_branch .LBB162_91
.LBB162_90:                             ;   in Loop: Header=BB162_16 Depth=1
                                        ; implicit-def: $vgpr26_vgpr27
.LBB162_91:                             ;   in Loop: Header=BB162_16 Depth=1
	s_add_i32 s3, s3, 1
	s_add_u32 s12, s12, 7
	v_add_co_u32 v26, vcc_lo, v24, s3
	v_add_co_ci_u32_e32 v27, vcc_lo, 0, v25, vcc_lo
	s_addc_u32 s13, s13, 0
	s_delay_alu instid0(SALU_CYCLE_1) | instskip(NEXT) | instid1(VALU_DEP_2)
	v_dual_mov_b32 v31, s13 :: v_dual_mov_b32 v30, s12
	v_lshlrev_b64 v[24:25], 3, v[26:27]
	s_delay_alu instid0(VALU_DEP_1) | instskip(NEXT) | instid1(VALU_DEP_2)
	v_add_co_u32 v24, vcc_lo, s65, v24
	v_add_co_ci_u32_e32 v25, vcc_lo, s66, v25, vcc_lo
	global_store_b64 v[24:25], v[30:31], off
	s_and_saveexec_b32 s2, s62
	s_cbranch_execz .LBB162_14
; %bb.92:                               ;   in Loop: Header=BB162_16 Depth=1
	v_add_co_u32 v28, vcc_lo, v28, s3
	v_add_co_ci_u32_e32 v24, vcc_lo, 0, v29, vcc_lo
	s_and_not1_b32 vcc_lo, exec_lo, s60
	s_delay_alu instid0(VALU_DEP_2) | instskip(NEXT) | instid1(VALU_DEP_2)
	v_mul_lo_u32 v30, v28, s17
	v_mul_lo_u32 v29, v24, s16
	v_mad_u64_u32 v[24:25], null, v28, s16, 0
	s_delay_alu instid0(VALU_DEP_1) | instskip(NEXT) | instid1(VALU_DEP_1)
	v_add3_u32 v25, v25, v30, v29
	v_lshlrev_b64 v[24:25], 4, v[24:25]
	s_cbranch_vccnz .LBB162_94
; %bb.93:                               ;   in Loop: Header=BB162_16 Depth=1
	ds_load_2addr_b64 v[28:31], v54 offset1:1
	v_add_co_u32 v32, vcc_lo, v13, v24
	v_add_co_ci_u32_e32 v33, vcc_lo, v44, v25, vcc_lo
	s_waitcnt lgkmcnt(0)
	global_store_b128 v[32:33], v[28:31], off
	s_cbranch_execnz .LBB162_14
	s_branch .LBB162_95
.LBB162_94:                             ;   in Loop: Header=BB162_16 Depth=1
.LBB162_95:                             ;   in Loop: Header=BB162_16 Depth=1
	ds_load_2addr_b64 v[28:31], v54 offset1:1
	v_add_co_u32 v24, vcc_lo, v45, v24
	v_add_co_ci_u32_e32 v25, vcc_lo, v46, v25, vcc_lo
	s_waitcnt lgkmcnt(0)
	global_store_b128 v[24:25], v[28:31], off
	s_branch .LBB162_14
.LBB162_96:
	s_endpgm
	.section	.rodata,"a",@progbits
	.p2align	6, 0x0
	.amdhsa_kernel _ZN9rocsparseL31bsrgemm_block_per_row_multipassILj256ELj8ELj16Ell21rocsparse_complex_numIdEEEv20rocsparse_direction_T3_S4_PKS4_S6_NS_24const_host_device_scalarIT4_EEPKT2_S6_PKS8_SC_S6_SE_S9_SC_S6_SE_SC_PS4_PS8_PSA_21rocsparse_index_base_SI_SI_SI_bbb
		.amdhsa_group_segment_fixed_size 36872
		.amdhsa_private_segment_fixed_size 0
		.amdhsa_kernarg_size 196
		.amdhsa_user_sgpr_count 15
		.amdhsa_user_sgpr_dispatch_ptr 1
		.amdhsa_user_sgpr_queue_ptr 0
		.amdhsa_user_sgpr_kernarg_segment_ptr 1
		.amdhsa_user_sgpr_dispatch_id 0
		.amdhsa_user_sgpr_private_segment_size 0
		.amdhsa_wavefront_size32 1
		.amdhsa_uses_dynamic_stack 0
		.amdhsa_enable_private_segment 0
		.amdhsa_system_sgpr_workgroup_id_x 1
		.amdhsa_system_sgpr_workgroup_id_y 0
		.amdhsa_system_sgpr_workgroup_id_z 0
		.amdhsa_system_sgpr_workgroup_info 0
		.amdhsa_system_vgpr_workitem_id 2
		.amdhsa_next_free_vgpr 66
		.amdhsa_next_free_sgpr 73
		.amdhsa_reserve_vcc 1
		.amdhsa_float_round_mode_32 0
		.amdhsa_float_round_mode_16_64 0
		.amdhsa_float_denorm_mode_32 3
		.amdhsa_float_denorm_mode_16_64 3
		.amdhsa_dx10_clamp 1
		.amdhsa_ieee_mode 1
		.amdhsa_fp16_overflow 0
		.amdhsa_workgroup_processor_mode 1
		.amdhsa_memory_ordered 1
		.amdhsa_forward_progress 0
		.amdhsa_shared_vgpr_count 0
		.amdhsa_exception_fp_ieee_invalid_op 0
		.amdhsa_exception_fp_denorm_src 0
		.amdhsa_exception_fp_ieee_div_zero 0
		.amdhsa_exception_fp_ieee_overflow 0
		.amdhsa_exception_fp_ieee_underflow 0
		.amdhsa_exception_fp_ieee_inexact 0
		.amdhsa_exception_int_div_zero 0
	.end_amdhsa_kernel
	.section	.text._ZN9rocsparseL31bsrgemm_block_per_row_multipassILj256ELj8ELj16Ell21rocsparse_complex_numIdEEEv20rocsparse_direction_T3_S4_PKS4_S6_NS_24const_host_device_scalarIT4_EEPKT2_S6_PKS8_SC_S6_SE_S9_SC_S6_SE_SC_PS4_PS8_PSA_21rocsparse_index_base_SI_SI_SI_bbb,"axG",@progbits,_ZN9rocsparseL31bsrgemm_block_per_row_multipassILj256ELj8ELj16Ell21rocsparse_complex_numIdEEEv20rocsparse_direction_T3_S4_PKS4_S6_NS_24const_host_device_scalarIT4_EEPKT2_S6_PKS8_SC_S6_SE_S9_SC_S6_SE_SC_PS4_PS8_PSA_21rocsparse_index_base_SI_SI_SI_bbb,comdat
.Lfunc_end162:
	.size	_ZN9rocsparseL31bsrgemm_block_per_row_multipassILj256ELj8ELj16Ell21rocsparse_complex_numIdEEEv20rocsparse_direction_T3_S4_PKS4_S6_NS_24const_host_device_scalarIT4_EEPKT2_S6_PKS8_SC_S6_SE_S9_SC_S6_SE_SC_PS4_PS8_PSA_21rocsparse_index_base_SI_SI_SI_bbb, .Lfunc_end162-_ZN9rocsparseL31bsrgemm_block_per_row_multipassILj256ELj8ELj16Ell21rocsparse_complex_numIdEEEv20rocsparse_direction_T3_S4_PKS4_S6_NS_24const_host_device_scalarIT4_EEPKT2_S6_PKS8_SC_S6_SE_S9_SC_S6_SE_SC_PS4_PS8_PSA_21rocsparse_index_base_SI_SI_SI_bbb
                                        ; -- End function
	.section	.AMDGPU.csdata,"",@progbits
; Kernel info:
; codeLenInByte = 4960
; NumSgprs: 75
; NumVgprs: 66
; ScratchSize: 0
; MemoryBound: 1
; FloatMode: 240
; IeeeMode: 1
; LDSByteSize: 36872 bytes/workgroup (compile time only)
; SGPRBlocks: 9
; VGPRBlocks: 8
; NumSGPRsForWavesPerEU: 75
; NumVGPRsForWavesPerEU: 66
; Occupancy: 6
; WaveLimiterHint : 1
; COMPUTE_PGM_RSRC2:SCRATCH_EN: 0
; COMPUTE_PGM_RSRC2:USER_SGPR: 15
; COMPUTE_PGM_RSRC2:TRAP_HANDLER: 0
; COMPUTE_PGM_RSRC2:TGID_X_EN: 1
; COMPUTE_PGM_RSRC2:TGID_Y_EN: 0
; COMPUTE_PGM_RSRC2:TGID_Z_EN: 0
; COMPUTE_PGM_RSRC2:TIDIG_COMP_CNT: 2
	.section	.text._ZN9rocsparseL31bsrgemm_block_per_row_multipassILj256ELj2ELj32Ell21rocsparse_complex_numIdEEEv20rocsparse_direction_T3_S4_PKS4_S6_NS_24const_host_device_scalarIT4_EEPKT2_S6_PKS8_SC_S6_SE_S9_SC_S6_SE_SC_PS4_PS8_PSA_21rocsparse_index_base_SI_SI_SI_bbb,"axG",@progbits,_ZN9rocsparseL31bsrgemm_block_per_row_multipassILj256ELj2ELj32Ell21rocsparse_complex_numIdEEEv20rocsparse_direction_T3_S4_PKS4_S6_NS_24const_host_device_scalarIT4_EEPKT2_S6_PKS8_SC_S6_SE_S9_SC_S6_SE_SC_PS4_PS8_PSA_21rocsparse_index_base_SI_SI_SI_bbb,comdat
	.globl	_ZN9rocsparseL31bsrgemm_block_per_row_multipassILj256ELj2ELj32Ell21rocsparse_complex_numIdEEEv20rocsparse_direction_T3_S4_PKS4_S6_NS_24const_host_device_scalarIT4_EEPKT2_S6_PKS8_SC_S6_SE_S9_SC_S6_SE_SC_PS4_PS8_PSA_21rocsparse_index_base_SI_SI_SI_bbb ; -- Begin function _ZN9rocsparseL31bsrgemm_block_per_row_multipassILj256ELj2ELj32Ell21rocsparse_complex_numIdEEEv20rocsparse_direction_T3_S4_PKS4_S6_NS_24const_host_device_scalarIT4_EEPKT2_S6_PKS8_SC_S6_SE_S9_SC_S6_SE_SC_PS4_PS8_PSA_21rocsparse_index_base_SI_SI_SI_bbb
	.p2align	8
	.type	_ZN9rocsparseL31bsrgemm_block_per_row_multipassILj256ELj2ELj32Ell21rocsparse_complex_numIdEEEv20rocsparse_direction_T3_S4_PKS4_S6_NS_24const_host_device_scalarIT4_EEPKT2_S6_PKS8_SC_S6_SE_S9_SC_S6_SE_SC_PS4_PS8_PSA_21rocsparse_index_base_SI_SI_SI_bbb,@function
_ZN9rocsparseL31bsrgemm_block_per_row_multipassILj256ELj2ELj32Ell21rocsparse_complex_numIdEEEv20rocsparse_direction_T3_S4_PKS4_S6_NS_24const_host_device_scalarIT4_EEPKT2_S6_PKS8_SC_S6_SE_S9_SC_S6_SE_SC_PS4_PS8_PSA_21rocsparse_index_base_SI_SI_SI_bbb: ; @_ZN9rocsparseL31bsrgemm_block_per_row_multipassILj256ELj2ELj32Ell21rocsparse_complex_numIdEEEv20rocsparse_direction_T3_S4_PKS4_S6_NS_24const_host_device_scalarIT4_EEPKT2_S6_PKS8_SC_S6_SE_S9_SC_S6_SE_SC_PS4_PS8_PSA_21rocsparse_index_base_SI_SI_SI_bbb
; %bb.0:
	s_mov_b32 s42, s15
	s_load_b32 s12, s[2:3], 0xc0
	s_load_b64 s[14:15], s[0:1], 0x4
	v_and_b32_e32 v60, 0x3ff, v0
	s_clause 0x1
	s_load_b128 s[8:11], s[2:3], 0x28
	s_load_b128 s[4:7], s[2:3], 0x68
	v_mov_b32_e32 v4, 0
	v_mov_b32_e32 v5, 0
	v_bfe_u32 v2, v0, 10, 10
	s_load_b128 s[20:23], s[2:3], 0xb0
	v_bfe_u32 v0, v0, 20, 10
	s_delay_alu instid0(VALU_DEP_3)
	v_dual_mov_b32 v7, v5 :: v_dual_mov_b32 v6, v4
	v_dual_mov_b32 v9, v5 :: v_dual_mov_b32 v8, v4
	s_waitcnt lgkmcnt(0)
	s_bitcmp1_b32 s12, 0
	s_cselect_b32 s44, -1, 0
	s_bitcmp1_b32 s12, 16
	v_mov_b32_e32 v11, s5
	s_cselect_b32 s0, -1, 0
	s_lshr_b32 s1, s14, 16
	s_delay_alu instid0(SALU_CYCLE_1) | instskip(NEXT) | instid1(SALU_CYCLE_1)
	s_mul_i32 s1, s1, s15
	v_mul_lo_u32 v1, s1, v60
	s_xor_b32 s1, s0, -1
	s_bitcmp0_b32 s12, 0
	v_cndmask_b32_e64 v3, 0, 1, s1
	s_delay_alu instid0(VALU_DEP_2) | instskip(NEXT) | instid1(VALU_DEP_2)
	v_mad_u32_u24 v1, v2, s15, v1
	v_cmp_ne_u32_e32 vcc_lo, 1, v3
	s_delay_alu instid0(VALU_DEP_2) | instskip(SKIP_1) | instid1(VALU_DEP_2)
	v_add_lshl_u32 v0, v1, v0, 3
	v_dual_mov_b32 v1, s8 :: v_dual_mov_b32 v2, s9
	v_dual_mov_b32 v10, s4 :: v_dual_add_nc_u32 v3, 8, v0
	ds_store_2addr_stride64_b64 v3, v[10:11], v[1:2] offset0:64 offset1:68
	s_cbranch_scc1 .LBB163_3
; %bb.1:
	s_mov_b64 s[14:15], src_shared_base
	s_and_b32 s13, s0, exec_lo
	s_cselect_b32 s13, s15, s9
	s_delay_alu instid0(SALU_CYCLE_1) | instskip(SKIP_2) | instid1(VALU_DEP_2)
	v_dual_mov_b32 v2, s13 :: v_dual_add_nc_u32 v1, 0x8808, v0
	v_dual_mov_b32 v8, s10 :: v_dual_mov_b32 v9, s11
	s_and_b32 vcc_lo, exec_lo, vcc_lo
	v_cndmask_b32_e64 v1, s8, v1, s0
	flat_load_b64 v[6:7], v[1:2]
	s_cbranch_vccnz .LBB163_3
; %bb.2:
	v_dual_mov_b32 v1, s8 :: v_dual_mov_b32 v2, s9
	flat_load_b64 v[8:9], v[1:2] offset:8
.LBB163_3:
	s_load_b64 s[8:9], s[2:3], 0x20
	s_bitcmp1_b32 s12, 8
	v_dual_mov_b32 v11, v5 :: v_dual_mov_b32 v10, v4
	s_cselect_b32 s33, -1, 0
	s_bfe_u32 s10, s12, 0x10008
	s_delay_alu instid0(SALU_CYCLE_1)
	s_cmp_eq_u32 s10, 0
	s_cbranch_scc1 .LBB163_6
; %bb.4:
	s_mov_b64 s[10:11], src_shared_base
	s_and_b32 s10, s0, exec_lo
	s_cselect_b32 s10, s11, s5
	s_delay_alu instid0(SALU_CYCLE_1) | instskip(SKIP_2) | instid1(VALU_DEP_2)
	v_dual_mov_b32 v1, s10 :: v_dual_add_nc_u32 v0, 0x8008, v0
	v_dual_mov_b32 v4, s6 :: v_dual_mov_b32 v5, s7
	s_and_not1_b32 vcc_lo, exec_lo, s1
	v_cndmask_b32_e64 v0, s4, v0, s0
	flat_load_b64 v[10:11], v[0:1]
	s_cbranch_vccnz .LBB163_6
; %bb.5:
	v_dual_mov_b32 v0, s4 :: v_dual_mov_b32 v1, s5
	flat_load_b64 v[4:5], v[0:1] offset:8
.LBB163_6:
	s_load_b64 s[0:1], s[2:3], 0x38
	s_waitcnt lgkmcnt(0)
	s_cmp_eq_u64 s[8:9], 0
	s_mov_b32 s43, 0
	s_cbranch_scc1 .LBB163_8
; %bb.7:
	s_load_b64 s[4:5], s[2:3], 0x18
	s_waitcnt lgkmcnt(0)
	s_load_b64 s[4:5], s[4:5], 0x0
	s_waitcnt lgkmcnt(0)
	s_lshl_b64 s[4:5], s[4:5], 3
	s_delay_alu instid0(SALU_CYCLE_1) | instskip(SKIP_2) | instid1(SALU_CYCLE_1)
	s_add_u32 s6, s8, s4
	s_addc_u32 s7, s9, s5
	s_lshl_b64 s[4:5], s[42:43], 3
	s_add_u32 s4, s6, s4
	s_addc_u32 s5, s7, s5
	s_load_b64 s[42:43], s[4:5], 0x0
.LBB163_8:
	s_mov_b64 s[34:35], 0
	s_and_not1_b32 vcc_lo, exec_lo, s44
	s_mov_b64 s[36:37], 0
	s_cbranch_vccz .LBB163_11
; %bb.9:
	s_and_not1_b32 vcc_lo, exec_lo, s44
	s_cbranch_vccz .LBB163_12
.LBB163_10:
	s_load_b128 s[24:27], s[2:3], 0x8
	s_waitcnt lgkmcnt(0)
	v_cmp_lt_i64_e64 s0, s[24:25], 1
	s_delay_alu instid0(VALU_DEP_1)
	s_and_b32 vcc_lo, exec_lo, s0
	s_cbranch_vccz .LBB163_13
	s_branch .LBB163_117
.LBB163_11:
	s_waitcnt lgkmcnt(0)
	s_lshl_b64 s[4:5], s[42:43], 3
	s_delay_alu instid0(SALU_CYCLE_1)
	s_add_u32 s4, s0, s4
	s_addc_u32 s5, s1, s5
	s_load_b64 s[4:5], s[4:5], 0x0
	s_waitcnt lgkmcnt(0)
	s_sub_u32 s36, s4, s20
	s_subb_u32 s37, s5, 0
	s_and_not1_b32 vcc_lo, exec_lo, s44
	s_cbranch_vccnz .LBB163_10
.LBB163_12:
	s_waitcnt lgkmcnt(0)
	s_lshl_b64 s[4:5], s[42:43], 3
	s_delay_alu instid0(SALU_CYCLE_1)
	s_add_u32 s0, s0, s4
	s_addc_u32 s1, s1, s5
	s_load_b64 s[0:1], s[0:1], 0x8
	s_waitcnt lgkmcnt(0)
	s_sub_u32 s34, s0, s20
	s_subb_u32 s35, s1, 0
	s_load_b128 s[24:27], s[2:3], 0x8
	s_waitcnt lgkmcnt(0)
	v_cmp_lt_i64_e64 s0, s[24:25], 1
	s_delay_alu instid0(VALU_DEP_1)
	s_and_b32 vcc_lo, exec_lo, s0
	s_cbranch_vccnz .LBB163_117
.LBB163_13:
	s_clause 0x4
	s_load_b256 s[4:11], s[2:3], 0x78
	s_load_b64 s[38:39], s[2:3], 0xa8
	s_load_b128 s[28:31], s[2:3], 0x98
	s_load_b64 s[48:49], s[2:3], 0x60
	s_load_b256 s[12:19], s[2:3], 0x40
	s_lshl_b64 s[42:43], s[42:43], 3
	v_lshrrev_b32_e32 v0, 3, v60
	s_load_b32 s45, s[2:3], 0x0
	v_dual_mov_b32 v13, 0 :: v_dual_and_b32 v12, 7, v60
	v_cmp_lt_i64_e64 s52, s[36:37], s[34:35]
	s_delay_alu instid0(VALU_DEP_3) | instskip(NEXT) | instid1(VALU_DEP_3)
	v_mad_u64_u32 v[2:3], null, v0, s26, 0
	v_mad_u64_u32 v[14:15], null, v12, s26, 0
	s_delay_alu instid0(VALU_DEP_4)
	v_mov_b32_e32 v1, v13
	v_or_b32_e32 v24, 24, v12
	v_or_b32_e32 v22, 8, v12
	v_cmp_gt_i64_e32 vcc_lo, s[26:27], v[12:13]
	s_waitcnt vmcnt(0)
	v_mad_u64_u32 v[16:17], null, v0, s27, v[3:4]
	s_waitcnt lgkmcnt(0)
	s_add_u32 s2, s10, s42
	s_addc_u32 s3, s11, s43
	v_lshlrev_b64 v[17:18], 4, v[0:1]
	s_load_b64 s[46:47], s[2:3], 0x0
	v_cmp_gt_u64_e64 s2, s[26:27], v[0:1]
	v_mad_u64_u32 v[20:21], null, v24, s26, 0
	v_mov_b32_e32 v1, v15
	v_mov_b32_e32 v3, v16
	s_mul_i32 s11, s26, s27
	s_mul_hi_u32 s3, s26, s26
	v_lshlrev_b32_e32 v61, 5, v0
	v_mad_u64_u32 v[15:16], null, v12, s27, v[1:2]
	v_lshlrev_b64 v[1:2], 4, v[2:3]
	v_dual_mov_b32 v23, v13 :: v_dual_lshlrev_b32 v74, 4, v60
	s_mul_i32 s10, s26, s26
	s_mov_b32 s41, 0
	s_mov_b32 s40, s23
	v_cmp_gt_u32_e64 s0, 2, v60
	v_mov_b32_e32 v86, 1
	s_waitcnt lgkmcnt(0)
	s_sub_u32 s50, s46, s22
	s_subb_u32 s51, s47, 0
	s_cmp_eq_u32 s45, 0
	v_mov_b32_e32 v25, v13
	s_cselect_b32 s1, -1, 0
	s_cmp_lg_u32 s45, 0
	s_cselect_b32 s64, -1, 0
	s_add_i32 s45, s3, s11
	v_add_co_u32 v62, s3, s30, v17
	s_delay_alu instid0(VALU_DEP_1)
	v_add_co_ci_u32_e64 v63, s3, s31, v18, s3
	v_add_co_u32 v64, s3, s30, v1
	v_mad_u64_u32 v[16:17], null, v22, s26, 0
	v_add_co_ci_u32_e64 v65, s3, s31, v2, s3
	v_or_b32_e32 v1, 16, v12
	v_mov_b32_e32 v2, v13
	s_add_i32 s11, s45, s11
	s_add_u32 s42, s4, s42
	s_addc_u32 s43, s5, s43
	s_and_b32 s66, vcc_lo, s2
	v_cmp_gt_i64_e32 vcc_lo, s[26:27], v[22:23]
	v_cmp_gt_i64_e64 s3, s[26:27], v[1:2]
	v_cmp_gt_i64_e64 s4, s[26:27], v[24:25]
	v_mad_u64_u32 v[18:19], null, v1, s26, 0
	v_mov_b32_e32 v3, v17
	s_and_b32 s65, s44, s52
	s_and_b32 s67, vcc_lo, s2
	s_and_b32 s3, s3, s2
	s_and_b32 s68, s4, s2
	v_mad_u64_u32 v[26:27], null, v22, s27, v[3:4]
	s_add_u32 s69, s16, 8
	s_addc_u32 s70, s17, 0
	s_mul_i32 s2, s36, s11
	s_mul_hi_u32 s4, s36, s10
	s_add_u32 s71, s28, -8
	v_mov_b32_e32 v3, v19
	s_addc_u32 s72, s29, -1
	s_add_i32 s2, s4, s2
	s_mul_i32 s4, s37, s10
	v_mov_b32_e32 v2, v21
	s_add_i32 s5, s2, s4
	s_mul_i32 s4, s36, s10
	v_mov_b32_e32 v17, v26
	s_lshl_b64 s[4:5], s[4:5], 4
	v_lshlrev_b32_e32 v26, 4, v12
	v_mad_u64_u32 v[27:28], null, v1, s27, v[3:4]
	v_or_b32_e32 v3, v61, v12
	s_add_u32 s52, s14, s4
	v_or_b32_e32 v1, v61, v1
	s_addc_u32 s53, s15, s5
	s_lshl_b64 s[30:31], s[10:11], 4
	s_lshl_b64 s[44:45], s[26:27], 4
	s_mul_i32 s4, s36, s27
	s_mul_hi_u32 s5, s36, s26
	s_add_u32 s46, s48, 8
	s_addc_u32 s47, s49, 0
	s_add_i32 s4, s5, s4
	s_mul_i32 s5, s37, s26
	v_mad_u64_u32 v[28:29], null, v24, s27, v[2:3]
	v_or_b32_e32 v2, v61, v22
	v_lshlrev_b32_e32 v22, 4, v0
	s_add_i32 s5, s4, s5
	s_mul_i32 s4, s36, s26
	v_lshlrev_b32_e32 v66, 4, v3
	v_or_b32_e32 v3, v61, v24
	v_lshl_add_u32 v72, v1, 4, 0x4000
	v_or_b32_e32 v1, 0x400, v60
	s_lshl_b64 s[4:5], s[4:5], 4
	v_lshl_add_u32 v71, v2, 4, 0x4000
	v_add_co_u32 v0, s52, s52, v22
	v_add_co_u32 v2, s4, s4, v22
	v_lshl_add_u32 v73, v3, 4, 0x4000
	v_cmp_gt_u32_e64 s2, 0x700, v1
	v_add_co_ci_u32_e64 v1, null, s53, 0, s52
	v_add_co_ci_u32_e64 v3, null, s5, 0, s4
	v_add_co_u32 v24, vcc_lo, v0, 8
	v_mov_b32_e32 v21, v28
	s_delay_alu instid0(VALU_DEP_4) | instskip(NEXT) | instid1(VALU_DEP_4)
	v_add_co_ci_u32_e32 v25, vcc_lo, 0, v1, vcc_lo
	v_mul_lo_u32 v3, s26, v3
	v_mul_lo_u32 v28, s27, v2
	v_mad_u64_u32 v[0:1], null, s26, v2, s[14:15]
	v_add_co_u32 v2, s4, v26, s48
	v_or_b32_e32 v77, 0x80, v26
	v_add_co_ci_u32_e64 v30, null, 0, s49, s4
	v_or_b32_e32 v78, 0x100, v26
	s_delay_alu instid0(VALU_DEP_4)
	v_add_co_u32 v75, vcc_lo, v2, 8
	v_add3_u32 v1, v28, v1, v3
	v_add_co_u32 v79, s4, s48, v77
	v_add_co_ci_u32_e32 v76, vcc_lo, 0, v30, vcc_lo
	v_add_co_ci_u32_e64 v80, null, s49, 0, s4
	v_add_co_u32 v81, s4, s48, v78
	v_add_co_u32 v28, vcc_lo, v0, 8
	v_add_co_ci_u32_e64 v82, null, s49, 0, s4
	s_lshl_b64 s[4:5], s[40:41], 3
	v_add_co_ci_u32_e32 v29, vcc_lo, 0, v1, vcc_lo
	v_add_co_u32 v84, vcc_lo, 0x188, v2
	s_sub_u32 s73, s6, s4
	s_mov_b32 s4, s41
	s_subb_u32 s74, s7, s5
	s_mov_b32 s5, s41
	s_mov_b32 s6, s41
	;; [unrolled: 1-line block ×3, first 2 shown]
	v_add_co_ci_u32_e32 v85, vcc_lo, 0, v30, vcc_lo
	v_mov_b32_e32 v30, s50
	v_dual_mov_b32 v0, s4 :: v_dual_mov_b32 v19, v27
	v_mov_b32_e32 v2, s6
	v_or_b32_e32 v67, 0x80, v66
	v_or_b32_e32 v68, 0x100, v66
	v_or_b32_e32 v69, 0x180, v66
	v_dual_mov_b32 v27, v13 :: v_dual_add_nc_u32 v70, 0x4000, v66
	v_or_b32_e32 v83, 0x180, v26
	v_mov_b32_e32 v31, s51
	v_mov_b32_e32 v1, s5
	;; [unrolled: 1-line block ×3, first 2 shown]
	s_sub_u32 s23, 1, s23
	s_subb_u32 s41, 0, 0
	s_mov_b64 s[48:49], 2
	s_mov_b64 s[14:15], 0
	s_branch .LBB163_16
.LBB163_14:                             ;   in Loop: Header=BB163_16 Depth=1
	s_or_b32 exec_lo, exec_lo, s4
.LBB163_15:                             ;   in Loop: Header=BB163_16 Depth=1
	v_cmp_lt_i64_e64 s4, s[56:57], s[24:25]
	s_delay_alu instid0(VALU_DEP_2)
	v_dual_mov_b32 v30, v32 :: v_dual_mov_b32 v31, v33
	s_waitcnt_vscnt null, 0x0
	s_barrier
	buffer_gl0_inv
	s_and_b32 vcc_lo, s4, exec_lo
	s_cselect_b32 s14, s56, s24
	s_cselect_b32 s15, s57, s25
	s_add_u32 s48, s14, 2
	s_addc_u32 s49, s15, 0
	s_barrier
	buffer_gl0_inv
	s_cbranch_vccz .LBB163_117
.LBB163_16:                             ; =>This Loop Header: Depth=1
                                        ;     Child Loop BB163_22 Depth 2
                                        ;       Child Loop BB163_27 Depth 3
                                        ;         Child Loop BB163_42 Depth 4
                                        ;         Child Loop BB163_38 Depth 4
	;; [unrolled: 1-line block ×8, first 2 shown]
                                        ;     Child Loop BB163_78 Depth 2
	s_and_saveexec_b32 s4, s0
	s_cbranch_execz .LBB163_18
; %bb.17:                               ;   in Loop: Header=BB163_16 Depth=1
	ds_store_b8 v60, v13 offset:32768
.LBB163_18:                             ;   in Loop: Header=BB163_16 Depth=1
	s_or_b32 exec_lo, exec_lo, s4
	ds_store_b128 v74, v[0:3]
	ds_store_b128 v74, v[0:3] offset:4096
	ds_store_b128 v74, v[0:3] offset:8192
	;; [unrolled: 1-line block ×4, first 2 shown]
	s_and_saveexec_b32 s4, s2
	s_delay_alu instid0(SALU_CYCLE_1)
	s_xor_b32 s4, exec_lo, s4
	s_cbranch_execz .LBB163_20
; %bb.19:                               ;   in Loop: Header=BB163_16 Depth=1
	ds_store_b128 v74, v[0:3] offset:20480
	ds_store_b128 v74, v[0:3] offset:24576
	;; [unrolled: 1-line block ×3, first 2 shown]
.LBB163_20:                             ;   in Loop: Header=BB163_16 Depth=1
	s_or_b32 exec_lo, exec_lo, s4
	s_delay_alu instid0(SALU_CYCLE_1)
	s_and_not1_b32 vcc_lo, exec_lo, s65
	s_mov_b64 s[56:57], s[24:25]
	s_waitcnt lgkmcnt(0)
	s_barrier
	buffer_gl0_inv
	s_cbranch_vccnz .LBB163_75
; %bb.21:                               ;   in Loop: Header=BB163_16 Depth=1
	v_dual_mov_b32 v33, v29 :: v_dual_mov_b32 v32, v28
	v_dual_mov_b32 v35, v25 :: v_dual_mov_b32 v34, v24
	s_cmp_lg_u64 s[14:15], 0
	s_mov_b64 s[50:51], s[24:25]
	s_cselect_b32 s75, -1, 0
	s_mov_b64 s[4:5], s[36:37]
.LBB163_22:                             ;   Parent Loop BB163_16 Depth=1
                                        ; =>  This Loop Header: Depth=2
                                        ;       Child Loop BB163_27 Depth 3
                                        ;         Child Loop BB163_42 Depth 4
                                        ;         Child Loop BB163_38 Depth 4
	;; [unrolled: 1-line block ×8, first 2 shown]
	s_delay_alu instid0(SALU_CYCLE_1) | instskip(NEXT) | instid1(SALU_CYCLE_1)
	s_lshl_b64 s[6:7], s[4:5], 3
	s_add_u32 s52, s12, s6
	s_addc_u32 s53, s13, s7
	s_load_b64 s[52:53], s[52:53], 0x0
	s_waitcnt lgkmcnt(0)
	s_sub_u32 s52, s52, s20
	s_subb_u32 s53, s53, 0
	s_and_b32 vcc_lo, exec_lo, s75
	s_cbranch_vccz .LBB163_74
; %bb.23:                               ;   in Loop: Header=BB163_22 Depth=2
	s_add_u32 s54, s38, s6
	s_addc_u32 s55, s39, s7
	global_load_b64 v[36:37], v13, s[54:55]
	s_waitcnt vmcnt(0)
	v_readfirstlane_b32 s54, v36
	v_readfirstlane_b32 s55, v37
	s_cbranch_execnz .LBB163_25
.LBB163_24:                             ;   in Loop: Header=BB163_22 Depth=2
	s_lshl_b64 s[54:55], s[52:53], 3
	s_delay_alu instid0(SALU_CYCLE_1)
	s_add_u32 s54, s16, s54
	s_addc_u32 s55, s17, s55
	s_load_b64 s[54:55], s[54:55], 0x0
	s_waitcnt lgkmcnt(0)
	s_sub_u32 s54, s54, s21
	s_subb_u32 s55, s55, 0
.LBB163_25:                             ;   in Loop: Header=BB163_22 Depth=2
	s_lshl_b64 s[52:53], s[52:53], 3
	s_delay_alu instid0(SALU_CYCLE_1)
	s_add_u32 s52, s69, s52
	s_addc_u32 s53, s70, s53
	s_load_b64 s[52:53], s[52:53], 0x0
	s_waitcnt lgkmcnt(0)
	s_sub_u32 s52, s52, s21
	s_subb_u32 s53, s53, 0
	s_delay_alu instid0(SALU_CYCLE_1) | instskip(NEXT) | instid1(VALU_DEP_1)
	v_cmp_ge_i64_e64 s56, s[54:55], s[52:53]
	s_and_b32 vcc_lo, exec_lo, s56
	s_cbranch_vccnz .LBB163_71
; %bb.26:                               ;   in Loop: Header=BB163_22 Depth=2
	s_mul_i32 s56, s44, s55
	s_mul_hi_u32 s57, s44, s54
	s_mul_i32 s58, s45, s54
	s_add_i32 s56, s57, s56
	s_mul_i32 s57, s44, s54
	s_add_i32 s56, s56, s58
	v_add_co_u32 v38, s58, v26, s57
	s_delay_alu instid0(VALU_DEP_1) | instskip(SKIP_1) | instid1(VALU_DEP_3)
	v_add_co_ci_u32_e64 v36, null, 0, s56, s58
	v_add_co_u32 v42, s59, v77, s57
	v_mul_lo_u32 v40, s27, v38
	s_delay_alu instid0(VALU_DEP_3)
	v_mul_lo_u32 v41, s26, v36
	v_mad_u64_u32 v[36:37], null, s26, v38, s[46:47]
	v_add_co_ci_u32_e64 v38, null, 0, s56, s59
	v_mul_lo_u32 v44, s27, v42
	s_mul_i32 s58, s30, s55
	s_mul_hi_u32 s59, s30, s54
	s_delay_alu instid0(VALU_DEP_2)
	v_mul_lo_u32 v43, s26, v38
	v_mad_u64_u32 v[38:39], null, s26, v42, s[46:47]
	s_add_i32 s58, s59, s58
	s_mul_i32 s59, s31, s54
	v_add3_u32 v37, v40, v37, v41
	s_add_i32 s58, s58, s59
	s_mul_i32 s59, s30, s54
	s_delay_alu instid0(VALU_DEP_2) | instskip(SKIP_1) | instid1(VALU_DEP_1)
	v_add3_u32 v39, v44, v39, v43
	v_add_co_u32 v44, s60, v78, s57
	v_add_co_ci_u32_e64 v42, null, 0, s56, s60
	v_add_co_u32 v46, s57, v83, s57
	s_delay_alu instid0(VALU_DEP_1) | instskip(NEXT) | instid1(VALU_DEP_3)
	v_add_co_ci_u32_e64 v45, null, 0, s56, s57
	v_mul_lo_u32 v48, s26, v42
	v_mul_lo_u32 v49, s27, v44
	v_mad_u64_u32 v[42:43], null, s26, v44, s[46:47]
	v_add_co_u32 v40, vcc_lo, v75, s59
	v_mul_lo_u32 v50, s26, v45
	v_mul_lo_u32 v51, s27, v46
	v_mad_u64_u32 v[44:45], null, s26, v46, s[46:47]
	v_add_co_ci_u32_e32 v41, vcc_lo, s58, v76, vcc_lo
	v_add_co_u32 v46, vcc_lo, v79, s59
	v_add_co_ci_u32_e32 v47, vcc_lo, s58, v80, vcc_lo
	v_add3_u32 v43, v49, v43, v48
	v_add_co_u32 v48, vcc_lo, v81, s59
	v_add_co_ci_u32_e32 v49, vcc_lo, s58, v82, vcc_lo
	v_add3_u32 v45, v51, v45, v50
	v_add_co_u32 v50, vcc_lo, v84, s59
	v_add_co_ci_u32_e32 v51, vcc_lo, s58, v85, vcc_lo
	s_mov_b64 s[58:59], s[54:55]
.LBB163_27:                             ;   Parent Loop BB163_16 Depth=1
                                        ;     Parent Loop BB163_22 Depth=2
                                        ; =>    This Loop Header: Depth=3
                                        ;         Child Loop BB163_42 Depth 4
                                        ;         Child Loop BB163_38 Depth 4
	;; [unrolled: 1-line block ×8, first 2 shown]
	s_delay_alu instid0(SALU_CYCLE_1)
	s_lshl_b64 s[56:57], s[58:59], 3
	s_mov_b32 s77, -1
	s_add_u32 s56, s18, s56
	s_addc_u32 s57, s19, s57
                                        ; implicit-def: $sgpr76
                                        ; implicit-def: $sgpr60_sgpr61
	s_load_b64 s[56:57], s[56:57], 0x0
	s_waitcnt lgkmcnt(0)
	s_sub_u32 s62, s56, s21
	s_subb_u32 s63, s57, 0
	s_delay_alu instid0(SALU_CYCLE_1) | instskip(SKIP_2) | instid1(VALU_DEP_2)
	v_cmp_ge_i64_e64 s56, s[62:63], s[14:15]
	v_cmp_lt_i64_e64 s57, s[62:63], s[48:49]
	v_cmp_ge_i64_e64 s78, s[62:63], s[48:49]
	s_and_b32 s56, s56, s57
	s_delay_alu instid0(SALU_CYCLE_1)
	s_and_not1_b32 vcc_lo, exec_lo, s56
                                        ; implicit-def: $sgpr56_sgpr57
	s_cbranch_vccz .LBB163_31
; %bb.28:                               ;   in Loop: Header=BB163_27 Depth=3
	s_mov_b32 s76, -1
	s_delay_alu instid0(VALU_DEP_1)
	s_and_not1_b32 vcc_lo, exec_lo, s78
	s_mov_b64 s[56:57], s[50:51]
	s_mov_b64 s[60:61], s[54:55]
	s_cbranch_vccnz .LBB163_30
; %bb.29:                               ;   in Loop: Header=BB163_27 Depth=3
	v_cmp_lt_i64_e64 s56, s[62:63], s[50:51]
	s_mov_b32 s76, 0
	s_mov_b64 s[60:61], s[58:59]
	s_delay_alu instid0(VALU_DEP_1)
	s_and_b32 s56, s56, exec_lo
	s_cselect_b32 s57, s63, s51
	s_cselect_b32 s56, s62, s50
.LBB163_30:                             ;   in Loop: Header=BB163_27 Depth=3
	s_mov_b32 s77, 0
.LBB163_31:                             ;   in Loop: Header=BB163_27 Depth=3
	s_delay_alu instid0(SALU_CYCLE_1)
	s_and_not1_b32 vcc_lo, exec_lo, s77
	s_cbranch_vccnz .LBB163_69
; %bb.32:                               ;   in Loop: Header=BB163_27 Depth=3
	s_sub_i32 s56, s62, s14
	s_delay_alu instid0(SALU_CYCLE_1)
	v_mov_b32_e32 v52, s56
	v_lshl_add_u32 v87, s56, 10, v61
	ds_store_b8 v52, v86 offset:32768
	s_and_saveexec_b32 s60, s66
	s_cbranch_execnz .LBB163_36
; %bb.33:                               ;   in Loop: Header=BB163_27 Depth=3
	s_or_b32 exec_lo, exec_lo, s60
	s_and_saveexec_b32 s60, s67
	s_cbranch_execnz .LBB163_44
.LBB163_34:                             ;   in Loop: Header=BB163_27 Depth=3
	s_or_b32 exec_lo, exec_lo, s60
	s_and_saveexec_b32 s60, s3
	s_cbranch_execnz .LBB163_52
.LBB163_35:                             ;   in Loop: Header=BB163_27 Depth=3
	s_or_b32 exec_lo, exec_lo, s60
	s_and_saveexec_b32 s60, s68
	s_cbranch_execnz .LBB163_60
	s_branch .LBB163_68
.LBB163_36:                             ;   in Loop: Header=BB163_27 Depth=3
	s_and_not1_b32 vcc_lo, exec_lo, s64
	s_cbranch_vccnz .LBB163_40
; %bb.37:                               ;   in Loop: Header=BB163_27 Depth=3
	v_dual_mov_b32 v52, 0 :: v_dual_mov_b32 v57, v37
	v_dual_mov_b32 v53, 0 :: v_dual_mov_b32 v56, v36
	v_dual_mov_b32 v59, v35 :: v_dual_mov_b32 v58, v34
	s_mov_b64 s[56:57], s[26:27]
	s_delay_alu instid0(VALU_DEP_2)
	v_dual_mov_b32 v55, v53 :: v_dual_mov_b32 v54, v52
	.p2align	6
.LBB163_38:                             ;   Parent Loop BB163_16 Depth=1
                                        ;     Parent Loop BB163_22 Depth=2
                                        ;       Parent Loop BB163_27 Depth=3
                                        ; =>      This Inner Loop Header: Depth=4
	global_load_b128 v[88:91], v[58:59], off offset:-8
	global_load_b128 v[92:95], v[56:57], off offset:-8
	v_add_co_u32 v58, vcc_lo, v58, s44
	v_add_co_ci_u32_e32 v59, vcc_lo, s45, v59, vcc_lo
	v_add_co_u32 v56, vcc_lo, v56, 16
	v_add_co_ci_u32_e32 v57, vcc_lo, 0, v57, vcc_lo
	s_add_u32 s56, s56, -1
	s_addc_u32 s57, s57, -1
	s_delay_alu instid0(SALU_CYCLE_1) | instskip(SKIP_3) | instid1(VALU_DEP_2)
	s_cmp_lg_u64 s[56:57], 0
	s_waitcnt vmcnt(0)
	v_fma_f64 v[52:53], v[88:89], v[92:93], v[52:53]
	v_fma_f64 v[54:55], v[90:91], v[92:93], v[54:55]
	v_fma_f64 v[52:53], -v[90:91], v[94:95], v[52:53]
	s_delay_alu instid0(VALU_DEP_2)
	v_fma_f64 v[54:55], v[88:89], v[94:95], v[54:55]
	s_cbranch_scc1 .LBB163_38
; %bb.39:                               ;   in Loop: Header=BB163_27 Depth=3
	s_branch .LBB163_43
.LBB163_40:                             ;   in Loop: Header=BB163_27 Depth=3
                                        ; implicit-def: $vgpr52_vgpr53
                                        ; implicit-def: $vgpr54_vgpr55
	s_cbranch_execz .LBB163_43
; %bb.41:                               ;   in Loop: Header=BB163_27 Depth=3
	v_dual_mov_b32 v52, 0 :: v_dual_mov_b32 v57, v33
	v_dual_mov_b32 v53, 0 :: v_dual_mov_b32 v56, v32
	;; [unrolled: 1-line block ×3, first 2 shown]
	s_mov_b64 s[56:57], s[26:27]
	s_delay_alu instid0(VALU_DEP_2)
	v_dual_mov_b32 v55, v53 :: v_dual_mov_b32 v54, v52
	.p2align	6
.LBB163_42:                             ;   Parent Loop BB163_16 Depth=1
                                        ;     Parent Loop BB163_22 Depth=2
                                        ;       Parent Loop BB163_27 Depth=3
                                        ; =>      This Inner Loop Header: Depth=4
	global_load_b128 v[88:91], v[56:57], off offset:-8
	global_load_b128 v[92:95], v[58:59], off offset:-8
	v_add_co_u32 v58, vcc_lo, v58, s44
	v_add_co_ci_u32_e32 v59, vcc_lo, s45, v59, vcc_lo
	v_add_co_u32 v56, vcc_lo, v56, 16
	v_add_co_ci_u32_e32 v57, vcc_lo, 0, v57, vcc_lo
	s_add_u32 s56, s56, -1
	s_addc_u32 s57, s57, -1
	s_delay_alu instid0(SALU_CYCLE_1) | instskip(SKIP_3) | instid1(VALU_DEP_2)
	s_cmp_eq_u64 s[56:57], 0
	s_waitcnt vmcnt(0)
	v_fma_f64 v[52:53], v[88:89], v[92:93], v[52:53]
	v_fma_f64 v[54:55], v[90:91], v[92:93], v[54:55]
	v_fma_f64 v[52:53], -v[90:91], v[94:95], v[52:53]
	s_delay_alu instid0(VALU_DEP_2)
	v_fma_f64 v[54:55], v[88:89], v[94:95], v[54:55]
	s_cbranch_scc0 .LBB163_42
.LBB163_43:                             ;   in Loop: Header=BB163_27 Depth=3
	v_or_b32_e32 v56, v87, v12
	s_delay_alu instid0(VALU_DEP_1) | instskip(SKIP_4) | instid1(VALU_DEP_2)
	v_lshlrev_b32_e32 v88, 4, v56
	ds_load_b128 v[56:59], v88
	s_waitcnt lgkmcnt(0)
	v_fma_f64 v[56:57], v[6:7], v[52:53], v[56:57]
	v_fma_f64 v[58:59], v[8:9], v[52:53], v[58:59]
	v_fma_f64 v[52:53], -v[8:9], v[54:55], v[56:57]
	s_delay_alu instid0(VALU_DEP_2)
	v_fma_f64 v[54:55], v[6:7], v[54:55], v[58:59]
	ds_store_b128 v88, v[52:55]
	s_or_b32 exec_lo, exec_lo, s60
	s_and_saveexec_b32 s60, s67
	s_cbranch_execz .LBB163_34
.LBB163_44:                             ;   in Loop: Header=BB163_27 Depth=3
	s_and_not1_b32 vcc_lo, exec_lo, s64
	s_cbranch_vccnz .LBB163_48
; %bb.45:                               ;   in Loop: Header=BB163_27 Depth=3
	v_dual_mov_b32 v52, 0 :: v_dual_mov_b32 v57, v39
	v_dual_mov_b32 v53, 0 :: v_dual_mov_b32 v56, v38
	;; [unrolled: 1-line block ×3, first 2 shown]
	s_mov_b64 s[56:57], s[26:27]
	s_delay_alu instid0(VALU_DEP_2)
	v_dual_mov_b32 v55, v53 :: v_dual_mov_b32 v54, v52
	.p2align	6
.LBB163_46:                             ;   Parent Loop BB163_16 Depth=1
                                        ;     Parent Loop BB163_22 Depth=2
                                        ;       Parent Loop BB163_27 Depth=3
                                        ; =>      This Inner Loop Header: Depth=4
	global_load_b128 v[88:91], v[58:59], off offset:-8
	global_load_b128 v[92:95], v[56:57], off offset:-8
	v_add_co_u32 v58, vcc_lo, v58, s44
	v_add_co_ci_u32_e32 v59, vcc_lo, s45, v59, vcc_lo
	v_add_co_u32 v56, vcc_lo, v56, 16
	v_add_co_ci_u32_e32 v57, vcc_lo, 0, v57, vcc_lo
	s_add_u32 s56, s56, -1
	s_addc_u32 s57, s57, -1
	s_delay_alu instid0(SALU_CYCLE_1) | instskip(SKIP_3) | instid1(VALU_DEP_2)
	s_cmp_eq_u64 s[56:57], 0
	s_waitcnt vmcnt(0)
	v_fma_f64 v[52:53], v[88:89], v[92:93], v[52:53]
	v_fma_f64 v[54:55], v[90:91], v[92:93], v[54:55]
	v_fma_f64 v[52:53], -v[90:91], v[94:95], v[52:53]
	s_delay_alu instid0(VALU_DEP_2)
	v_fma_f64 v[54:55], v[88:89], v[94:95], v[54:55]
	s_cbranch_scc0 .LBB163_46
; %bb.47:                               ;   in Loop: Header=BB163_27 Depth=3
	s_branch .LBB163_51
.LBB163_48:                             ;   in Loop: Header=BB163_27 Depth=3
                                        ; implicit-def: $vgpr52_vgpr53
                                        ; implicit-def: $vgpr54_vgpr55
	s_cbranch_execz .LBB163_51
; %bb.49:                               ;   in Loop: Header=BB163_27 Depth=3
	v_dual_mov_b32 v52, 0 :: v_dual_mov_b32 v57, v33
	v_dual_mov_b32 v53, 0 :: v_dual_mov_b32 v56, v32
	;; [unrolled: 1-line block ×3, first 2 shown]
	s_mov_b64 s[56:57], s[26:27]
	s_delay_alu instid0(VALU_DEP_2)
	v_dual_mov_b32 v55, v53 :: v_dual_mov_b32 v54, v52
	.p2align	6
.LBB163_50:                             ;   Parent Loop BB163_16 Depth=1
                                        ;     Parent Loop BB163_22 Depth=2
                                        ;       Parent Loop BB163_27 Depth=3
                                        ; =>      This Inner Loop Header: Depth=4
	global_load_b128 v[88:91], v[56:57], off offset:-8
	global_load_b128 v[92:95], v[58:59], off
	v_add_co_u32 v58, vcc_lo, v58, s44
	v_add_co_ci_u32_e32 v59, vcc_lo, s45, v59, vcc_lo
	v_add_co_u32 v56, vcc_lo, v56, 16
	v_add_co_ci_u32_e32 v57, vcc_lo, 0, v57, vcc_lo
	s_add_u32 s56, s56, -1
	s_addc_u32 s57, s57, -1
	s_delay_alu instid0(SALU_CYCLE_1) | instskip(SKIP_3) | instid1(VALU_DEP_2)
	s_cmp_eq_u64 s[56:57], 0
	s_waitcnt vmcnt(0)
	v_fma_f64 v[52:53], v[88:89], v[92:93], v[52:53]
	v_fma_f64 v[54:55], v[90:91], v[92:93], v[54:55]
	v_fma_f64 v[52:53], -v[90:91], v[94:95], v[52:53]
	s_delay_alu instid0(VALU_DEP_2)
	v_fma_f64 v[54:55], v[88:89], v[94:95], v[54:55]
	s_cbranch_scc0 .LBB163_50
.LBB163_51:                             ;   in Loop: Header=BB163_27 Depth=3
	v_add_lshl_u32 v88, v87, v12, 4
	ds_load_b128 v[56:59], v88 offset:128
	s_waitcnt lgkmcnt(0)
	v_fma_f64 v[56:57], v[6:7], v[52:53], v[56:57]
	v_fma_f64 v[58:59], v[8:9], v[52:53], v[58:59]
	s_delay_alu instid0(VALU_DEP_2) | instskip(NEXT) | instid1(VALU_DEP_2)
	v_fma_f64 v[52:53], -v[8:9], v[54:55], v[56:57]
	v_fma_f64 v[54:55], v[6:7], v[54:55], v[58:59]
	ds_store_b128 v88, v[52:55] offset:128
	s_or_b32 exec_lo, exec_lo, s60
	s_and_saveexec_b32 s60, s3
	s_cbranch_execz .LBB163_35
.LBB163_52:                             ;   in Loop: Header=BB163_27 Depth=3
	s_and_not1_b32 vcc_lo, exec_lo, s64
	s_cbranch_vccnz .LBB163_56
; %bb.53:                               ;   in Loop: Header=BB163_27 Depth=3
	v_dual_mov_b32 v52, 0 :: v_dual_mov_b32 v57, v43
	v_dual_mov_b32 v53, 0 :: v_dual_mov_b32 v56, v42
	;; [unrolled: 1-line block ×3, first 2 shown]
	s_mov_b64 s[56:57], s[26:27]
	s_delay_alu instid0(VALU_DEP_2)
	v_dual_mov_b32 v55, v53 :: v_dual_mov_b32 v54, v52
	.p2align	6
.LBB163_54:                             ;   Parent Loop BB163_16 Depth=1
                                        ;     Parent Loop BB163_22 Depth=2
                                        ;       Parent Loop BB163_27 Depth=3
                                        ; =>      This Inner Loop Header: Depth=4
	global_load_b128 v[88:91], v[58:59], off offset:-8
	global_load_b128 v[92:95], v[56:57], off offset:-8
	v_add_co_u32 v58, vcc_lo, v58, s44
	v_add_co_ci_u32_e32 v59, vcc_lo, s45, v59, vcc_lo
	v_add_co_u32 v56, vcc_lo, v56, 16
	v_add_co_ci_u32_e32 v57, vcc_lo, 0, v57, vcc_lo
	s_add_u32 s56, s56, -1
	s_addc_u32 s57, s57, -1
	s_delay_alu instid0(SALU_CYCLE_1) | instskip(SKIP_3) | instid1(VALU_DEP_2)
	s_cmp_eq_u64 s[56:57], 0
	s_waitcnt vmcnt(0)
	v_fma_f64 v[52:53], v[88:89], v[92:93], v[52:53]
	v_fma_f64 v[54:55], v[90:91], v[92:93], v[54:55]
	v_fma_f64 v[52:53], -v[90:91], v[94:95], v[52:53]
	s_delay_alu instid0(VALU_DEP_2)
	v_fma_f64 v[54:55], v[88:89], v[94:95], v[54:55]
	s_cbranch_scc0 .LBB163_54
; %bb.55:                               ;   in Loop: Header=BB163_27 Depth=3
	s_branch .LBB163_59
.LBB163_56:                             ;   in Loop: Header=BB163_27 Depth=3
                                        ; implicit-def: $vgpr52_vgpr53
                                        ; implicit-def: $vgpr54_vgpr55
	s_cbranch_execz .LBB163_59
; %bb.57:                               ;   in Loop: Header=BB163_27 Depth=3
	v_dual_mov_b32 v52, 0 :: v_dual_mov_b32 v57, v33
	v_dual_mov_b32 v53, 0 :: v_dual_mov_b32 v56, v32
	;; [unrolled: 1-line block ×3, first 2 shown]
	s_mov_b64 s[56:57], s[26:27]
	s_delay_alu instid0(VALU_DEP_2)
	v_dual_mov_b32 v55, v53 :: v_dual_mov_b32 v54, v52
	.p2align	6
.LBB163_58:                             ;   Parent Loop BB163_16 Depth=1
                                        ;     Parent Loop BB163_22 Depth=2
                                        ;       Parent Loop BB163_27 Depth=3
                                        ; =>      This Inner Loop Header: Depth=4
	global_load_b128 v[88:91], v[56:57], off offset:-8
	global_load_b128 v[92:95], v[58:59], off
	v_add_co_u32 v58, vcc_lo, v58, s44
	v_add_co_ci_u32_e32 v59, vcc_lo, s45, v59, vcc_lo
	v_add_co_u32 v56, vcc_lo, v56, 16
	v_add_co_ci_u32_e32 v57, vcc_lo, 0, v57, vcc_lo
	s_add_u32 s56, s56, -1
	s_addc_u32 s57, s57, -1
	s_delay_alu instid0(SALU_CYCLE_1) | instskip(SKIP_3) | instid1(VALU_DEP_2)
	s_cmp_eq_u64 s[56:57], 0
	s_waitcnt vmcnt(0)
	v_fma_f64 v[52:53], v[88:89], v[92:93], v[52:53]
	v_fma_f64 v[54:55], v[90:91], v[92:93], v[54:55]
	v_fma_f64 v[52:53], -v[90:91], v[94:95], v[52:53]
	s_delay_alu instid0(VALU_DEP_2)
	v_fma_f64 v[54:55], v[88:89], v[94:95], v[54:55]
	s_cbranch_scc0 .LBB163_58
.LBB163_59:                             ;   in Loop: Header=BB163_27 Depth=3
	v_add_lshl_u32 v88, v87, v12, 4
	ds_load_b128 v[56:59], v88 offset:256
	s_waitcnt lgkmcnt(0)
	v_fma_f64 v[56:57], v[6:7], v[52:53], v[56:57]
	v_fma_f64 v[58:59], v[8:9], v[52:53], v[58:59]
	s_delay_alu instid0(VALU_DEP_2) | instskip(NEXT) | instid1(VALU_DEP_2)
	v_fma_f64 v[52:53], -v[8:9], v[54:55], v[56:57]
	v_fma_f64 v[54:55], v[6:7], v[54:55], v[58:59]
	ds_store_b128 v88, v[52:55] offset:256
	s_or_b32 exec_lo, exec_lo, s60
	s_and_saveexec_b32 s60, s68
	s_cbranch_execz .LBB163_68
.LBB163_60:                             ;   in Loop: Header=BB163_27 Depth=3
	s_and_not1_b32 vcc_lo, exec_lo, s64
	s_cbranch_vccnz .LBB163_64
; %bb.61:                               ;   in Loop: Header=BB163_27 Depth=3
	v_dual_mov_b32 v52, 0 :: v_dual_mov_b32 v57, v45
	v_dual_mov_b32 v53, 0 :: v_dual_mov_b32 v56, v44
	;; [unrolled: 1-line block ×3, first 2 shown]
	s_mov_b64 s[56:57], s[26:27]
	s_delay_alu instid0(VALU_DEP_2)
	v_dual_mov_b32 v55, v53 :: v_dual_mov_b32 v54, v52
	.p2align	6
.LBB163_62:                             ;   Parent Loop BB163_16 Depth=1
                                        ;     Parent Loop BB163_22 Depth=2
                                        ;       Parent Loop BB163_27 Depth=3
                                        ; =>      This Inner Loop Header: Depth=4
	global_load_b128 v[88:91], v[58:59], off offset:-8
	global_load_b128 v[92:95], v[56:57], off offset:-8
	v_add_co_u32 v58, vcc_lo, v58, s44
	v_add_co_ci_u32_e32 v59, vcc_lo, s45, v59, vcc_lo
	v_add_co_u32 v56, vcc_lo, v56, 16
	v_add_co_ci_u32_e32 v57, vcc_lo, 0, v57, vcc_lo
	s_add_u32 s56, s56, -1
	s_addc_u32 s57, s57, -1
	s_delay_alu instid0(SALU_CYCLE_1) | instskip(SKIP_3) | instid1(VALU_DEP_2)
	s_cmp_eq_u64 s[56:57], 0
	s_waitcnt vmcnt(0)
	v_fma_f64 v[52:53], v[88:89], v[92:93], v[52:53]
	v_fma_f64 v[54:55], v[90:91], v[92:93], v[54:55]
	v_fma_f64 v[52:53], -v[90:91], v[94:95], v[52:53]
	s_delay_alu instid0(VALU_DEP_2)
	v_fma_f64 v[54:55], v[88:89], v[94:95], v[54:55]
	s_cbranch_scc0 .LBB163_62
; %bb.63:                               ;   in Loop: Header=BB163_27 Depth=3
	s_branch .LBB163_67
.LBB163_64:                             ;   in Loop: Header=BB163_27 Depth=3
                                        ; implicit-def: $vgpr52_vgpr53
                                        ; implicit-def: $vgpr54_vgpr55
	s_cbranch_execz .LBB163_67
; %bb.65:                               ;   in Loop: Header=BB163_27 Depth=3
	v_dual_mov_b32 v52, 0 :: v_dual_mov_b32 v57, v33
	v_dual_mov_b32 v53, 0 :: v_dual_mov_b32 v56, v32
	;; [unrolled: 1-line block ×3, first 2 shown]
	s_mov_b64 s[56:57], s[26:27]
	s_delay_alu instid0(VALU_DEP_2)
	v_dual_mov_b32 v55, v53 :: v_dual_mov_b32 v54, v52
	.p2align	6
.LBB163_66:                             ;   Parent Loop BB163_16 Depth=1
                                        ;     Parent Loop BB163_22 Depth=2
                                        ;       Parent Loop BB163_27 Depth=3
                                        ; =>      This Inner Loop Header: Depth=4
	global_load_b128 v[88:91], v[56:57], off offset:-8
	global_load_b128 v[92:95], v[58:59], off offset:-8
	v_add_co_u32 v58, vcc_lo, v58, s44
	v_add_co_ci_u32_e32 v59, vcc_lo, s45, v59, vcc_lo
	v_add_co_u32 v56, vcc_lo, v56, 16
	v_add_co_ci_u32_e32 v57, vcc_lo, 0, v57, vcc_lo
	s_add_u32 s56, s56, -1
	s_addc_u32 s57, s57, -1
	s_delay_alu instid0(SALU_CYCLE_1) | instskip(SKIP_3) | instid1(VALU_DEP_2)
	s_cmp_eq_u64 s[56:57], 0
	s_waitcnt vmcnt(0)
	v_fma_f64 v[52:53], v[88:89], v[92:93], v[52:53]
	v_fma_f64 v[54:55], v[90:91], v[92:93], v[54:55]
	v_fma_f64 v[52:53], -v[90:91], v[94:95], v[52:53]
	s_delay_alu instid0(VALU_DEP_2)
	v_fma_f64 v[54:55], v[88:89], v[94:95], v[54:55]
	s_cbranch_scc0 .LBB163_66
.LBB163_67:                             ;   in Loop: Header=BB163_27 Depth=3
	v_add_lshl_u32 v87, v87, v12, 4
	ds_load_b128 v[56:59], v87 offset:384
	s_waitcnt lgkmcnt(0)
	v_fma_f64 v[56:57], v[6:7], v[52:53], v[56:57]
	v_fma_f64 v[58:59], v[8:9], v[52:53], v[58:59]
	s_delay_alu instid0(VALU_DEP_2) | instskip(NEXT) | instid1(VALU_DEP_2)
	v_fma_f64 v[52:53], -v[8:9], v[54:55], v[56:57]
	v_fma_f64 v[54:55], v[6:7], v[54:55], v[58:59]
	ds_store_b128 v87, v[52:55] offset:384
.LBB163_68:                             ;   in Loop: Header=BB163_27 Depth=3
	s_or_b32 exec_lo, exec_lo, s60
	s_mov_b32 s76, -1
	s_mov_b64 s[56:57], s[50:51]
	s_mov_b64 s[60:61], s[54:55]
	s_waitcnt lgkmcnt(0)
	s_waitcnt_vscnt null, 0x0
	s_barrier
	buffer_gl0_inv
.LBB163_69:                             ;   in Loop: Header=BB163_27 Depth=3
	v_add_co_u32 v36, vcc_lo, v36, s30
	v_add_co_ci_u32_e32 v37, vcc_lo, s31, v37, vcc_lo
	v_add_co_u32 v40, vcc_lo, v40, s30
	v_add_co_ci_u32_e32 v41, vcc_lo, s31, v41, vcc_lo
	;; [unrolled: 2-line block ×5, first 2 shown]
	s_add_u32 s58, s58, 1
	v_add_co_u32 v48, vcc_lo, v48, s30
	s_addc_u32 s59, s59, 0
	v_add_co_ci_u32_e32 v49, vcc_lo, s31, v49, vcc_lo
	v_cmp_lt_i64_e64 s50, s[58:59], s[52:53]
	v_add_co_u32 v44, vcc_lo, v44, s30
	v_add_co_ci_u32_e32 v45, vcc_lo, s31, v45, vcc_lo
	v_add_co_u32 v50, vcc_lo, v50, s30
	v_add_co_ci_u32_e32 v51, vcc_lo, s31, v51, vcc_lo
	s_and_b32 s50, s76, s50
	s_delay_alu instid0(SALU_CYCLE_1)
	s_and_b32 vcc_lo, exec_lo, s50
	s_cbranch_vccz .LBB163_72
; %bb.70:                               ;   in Loop: Header=BB163_27 Depth=3
	s_mov_b64 s[50:51], s[56:57]
	s_mov_b64 s[54:55], s[60:61]
	s_branch .LBB163_27
.LBB163_71:                             ;   in Loop: Header=BB163_22 Depth=2
	s_mov_b64 s[56:57], s[50:51]
	s_mov_b64 s[60:61], s[54:55]
.LBB163_72:                             ;   in Loop: Header=BB163_22 Depth=2
	s_add_u32 s6, s38, s6
	s_addc_u32 s7, s39, s7
	s_add_u32 s4, s4, 1
	s_addc_u32 s5, s5, 0
	v_add_co_u32 v34, vcc_lo, v34, s30
	v_cmp_lt_i64_e64 s50, s[4:5], s[34:35]
	v_add_co_ci_u32_e32 v35, vcc_lo, s31, v35, vcc_lo
	v_add_co_u32 v32, vcc_lo, v32, s30
	v_dual_mov_b32 v36, s60 :: v_dual_mov_b32 v37, s61
	v_add_co_ci_u32_e32 v33, vcc_lo, s31, v33, vcc_lo
	s_and_b32 vcc_lo, exec_lo, s50
	global_store_b64 v13, v[36:37], s[6:7]
	s_cbranch_vccz .LBB163_75
; %bb.73:                               ;   in Loop: Header=BB163_22 Depth=2
	s_mov_b64 s[50:51], s[56:57]
	s_branch .LBB163_22
.LBB163_74:                             ;   in Loop: Header=BB163_22 Depth=2
                                        ; implicit-def: $sgpr54_sgpr55
	s_branch .LBB163_24
.LBB163_75:                             ;   in Loop: Header=BB163_16 Depth=1
	s_and_not1_b32 vcc_lo, exec_lo, s33
	s_cbranch_vccnz .LBB163_93
; %bb.76:                               ;   in Loop: Header=BB163_16 Depth=1
	s_load_b128 s[4:7], s[42:43], 0x0
	s_waitcnt lgkmcnt(0)
	v_cmp_ge_i64_e64 s50, s[4:5], s[6:7]
	s_delay_alu instid0(VALU_DEP_1)
	s_and_b32 vcc_lo, exec_lo, s50
	s_cbranch_vccnz .LBB163_93
; %bb.77:                               ;   in Loop: Header=BB163_16 Depth=1
	s_sub_u32 s6, s6, s40
	s_subb_u32 s7, s7, 0
	s_sub_u32 s52, s4, s40
	s_subb_u32 s53, s5, 0
	s_lshl_b64 s[50:51], s[4:5], 3
	s_mul_i32 s53, s44, s53
	s_mul_hi_u32 s54, s44, s52
	s_add_u32 s50, s73, s50
	s_addc_u32 s51, s74, s51
	s_add_i32 s53, s54, s53
	s_mul_i32 s54, s45, s52
	s_mul_i32 s52, s44, s52
	s_add_i32 s53, s53, s54
	v_add_co_u32 v34, s54, v22, s52
	s_delay_alu instid0(VALU_DEP_1) | instskip(SKIP_1) | instid1(VALU_DEP_3)
	v_add_co_ci_u32_e64 v32, null, 0, s53, s54
	v_add_co_u32 v36, s54, v26, s52
	v_mul_lo_u32 v43, s27, v34
	s_delay_alu instid0(VALU_DEP_3) | instskip(SKIP_3) | instid1(VALU_DEP_1)
	v_mul_lo_u32 v42, s26, v32
	v_mad_u64_u32 v[32:33], null, s26, v34, v[26:27]
	v_add_co_ci_u32_e64 v34, null, 0, s53, s54
	v_add_co_u32 v38, s54, v77, s52
	v_add_co_ci_u32_e64 v37, null, 0, s53, s54
	v_add_co_u32 v40, s54, v78, s52
	v_add_co_u32 v48, s52, v83, s52
	v_mul_lo_u32 v44, s26, v34
	v_mul_lo_u32 v45, s27, v36
	v_mad_u64_u32 v[34:35], null, s26, v36, v[22:23]
	v_mul_lo_u32 v46, s26, v37
	v_mul_lo_u32 v47, s27, v38
	v_mad_u64_u32 v[36:37], null, s26, v38, v[22:23]
	v_add_co_ci_u32_e64 v38, null, 0, s53, s54
	v_add_co_ci_u32_e64 v41, null, 0, s53, s52
	v_mul_lo_u32 v50, s27, v40
	s_delay_alu instid0(VALU_DEP_3) | instskip(SKIP_1) | instid1(VALU_DEP_4)
	v_mul_lo_u32 v49, s26, v38
	v_mad_u64_u32 v[38:39], null, s26, v40, v[22:23]
	v_mul_lo_u32 v51, s26, v41
	v_mul_lo_u32 v52, s27, v48
	v_mad_u64_u32 v[40:41], null, s26, v48, v[22:23]
	v_add3_u32 v33, v43, v33, v42
	v_add3_u32 v35, v45, v35, v44
	;; [unrolled: 1-line block ×4, first 2 shown]
	s_add_u32 s4, s23, s4
	s_addc_u32 s5, s41, s5
	v_add3_u32 v41, v52, v41, v51
	s_mov_b64 s[52:53], s[8:9]
.LBB163_78:                             ;   Parent Loop BB163_16 Depth=1
                                        ; =>  This Inner Loop Header: Depth=2
	s_load_b64 s[54:55], s[50:51], 0x0
	s_mov_b32 s61, -1
	s_waitcnt lgkmcnt(0)
	s_sub_u32 s58, s54, s40
	s_subb_u32 s59, s55, 0
	s_delay_alu instid0(SALU_CYCLE_1) | instskip(SKIP_1) | instid1(VALU_DEP_1)
	v_cmp_ge_i64_e64 s54, s[58:59], s[14:15]
	v_cmp_lt_i64_e64 s60, s[58:59], s[48:49]
	s_and_b32 s54, s54, s60
	s_delay_alu instid0(SALU_CYCLE_1)
	s_and_not1_b32 vcc_lo, exec_lo, s54
                                        ; implicit-def: $sgpr54_sgpr55
	s_cbranch_vccz .LBB163_80
; %bb.79:                               ;   in Loop: Header=BB163_78 Depth=2
	v_cmp_lt_i64_e64 s54, s[58:59], s[56:57]
	s_mov_b32 s61, 0
	s_delay_alu instid0(VALU_DEP_1)
	s_and_b32 s54, s54, exec_lo
	s_cselect_b32 s54, s58, s56
	s_cselect_b32 s55, s59, s57
	s_and_b32 s59, s60, exec_lo
	s_cselect_b32 s55, s57, s55
	s_cselect_b32 s54, s56, s54
.LBB163_80:                             ;   in Loop: Header=BB163_78 Depth=2
	s_and_not1_b32 vcc_lo, exec_lo, s61
	s_cbranch_vccnz .LBB163_87
; %bb.81:                               ;   in Loop: Header=BB163_78 Depth=2
	s_sub_i32 s54, s58, s14
	s_delay_alu instid0(SALU_CYCLE_1)
	v_mov_b32_e32 v43, s54
	v_lshl_add_u32 v42, s54, 10, v61
	ds_store_b8 v43, v86 offset:32768
	s_and_saveexec_b32 s54, s66
	s_cbranch_execnz .LBB163_89
; %bb.82:                               ;   in Loop: Header=BB163_78 Depth=2
	s_or_b32 exec_lo, exec_lo, s54
	v_add_lshl_u32 v42, v42, v12, 4
	s_and_saveexec_b32 s54, s67
	s_cbranch_execnz .LBB163_90
.LBB163_83:                             ;   in Loop: Header=BB163_78 Depth=2
	s_or_b32 exec_lo, exec_lo, s54
	s_and_saveexec_b32 s54, s3
	s_cbranch_execnz .LBB163_91
.LBB163_84:                             ;   in Loop: Header=BB163_78 Depth=2
	s_or_b32 exec_lo, exec_lo, s54
	s_and_saveexec_b32 s54, s68
	s_cbranch_execz .LBB163_86
.LBB163_85:                             ;   in Loop: Header=BB163_78 Depth=2
	v_add_co_u32 v43, vcc_lo, s52, v32
	v_add_co_ci_u32_e32 v44, vcc_lo, s53, v33, vcc_lo
	ds_load_b128 v[47:50], v42 offset:384
	v_add_co_u32 v43, vcc_lo, 0x180, v43
	v_add_co_ci_u32_e32 v44, vcc_lo, 0, v44, vcc_lo
	v_add_co_u32 v45, vcc_lo, s52, v40
	v_add_co_ci_u32_e32 v46, vcc_lo, s53, v41, vcc_lo
	s_delay_alu instid0(VALU_DEP_2) | instskip(NEXT) | instid1(VALU_DEP_2)
	v_cndmask_b32_e64 v43, v45, v43, s1
	v_cndmask_b32_e64 v44, v46, v44, s1
	global_load_b128 v[43:46], v[43:44], off
	s_waitcnt vmcnt(0) lgkmcnt(0)
	v_fma_f64 v[47:48], v[10:11], v[43:44], v[47:48]
	v_fma_f64 v[49:50], v[4:5], v[43:44], v[49:50]
	s_delay_alu instid0(VALU_DEP_2) | instskip(NEXT) | instid1(VALU_DEP_2)
	v_fma_f64 v[43:44], -v[4:5], v[45:46], v[47:48]
	v_fma_f64 v[45:46], v[10:11], v[45:46], v[49:50]
	ds_store_b128 v42, v[43:46] offset:384
.LBB163_86:                             ;   in Loop: Header=BB163_78 Depth=2
	s_or_b32 exec_lo, exec_lo, s54
	s_mov_b32 s60, -1
	s_mov_b64 s[54:55], s[56:57]
	s_waitcnt lgkmcnt(0)
	s_waitcnt_vscnt null, 0x0
	s_barrier
	buffer_gl0_inv
.LBB163_87:                             ;   in Loop: Header=BB163_78 Depth=2
	v_cmp_lt_i64_e64 s56, s[4:5], s[6:7]
	s_delay_alu instid0(VALU_DEP_1)
	s_and_b32 s56, s60, s56
	s_add_u32 s50, s50, 8
	s_addc_u32 s51, s51, 0
	s_add_u32 s52, s52, s30
	s_addc_u32 s53, s53, s31
	;; [unrolled: 2-line block ×3, first 2 shown]
	s_and_b32 vcc_lo, exec_lo, s56
	s_cbranch_vccz .LBB163_92
; %bb.88:                               ;   in Loop: Header=BB163_78 Depth=2
	s_mov_b64 s[56:57], s[54:55]
	s_branch .LBB163_78
.LBB163_89:                             ;   in Loop: Header=BB163_78 Depth=2
	v_cndmask_b32_e64 v43, v34, v32, s1
	v_cndmask_b32_e64 v44, v35, v33, s1
	v_or_b32_e32 v47, v42, v12
	s_delay_alu instid0(VALU_DEP_3) | instskip(NEXT) | instid1(VALU_DEP_3)
	v_add_co_u32 v43, vcc_lo, s52, v43
	v_add_co_ci_u32_e32 v44, vcc_lo, s53, v44, vcc_lo
	s_delay_alu instid0(VALU_DEP_3)
	v_lshlrev_b32_e32 v51, 4, v47
	global_load_b128 v[43:46], v[43:44], off
	ds_load_b128 v[47:50], v51
	s_waitcnt vmcnt(0) lgkmcnt(0)
	v_fma_f64 v[47:48], v[10:11], v[43:44], v[47:48]
	v_fma_f64 v[49:50], v[4:5], v[43:44], v[49:50]
	s_delay_alu instid0(VALU_DEP_2) | instskip(NEXT) | instid1(VALU_DEP_2)
	v_fma_f64 v[43:44], -v[4:5], v[45:46], v[47:48]
	v_fma_f64 v[45:46], v[10:11], v[45:46], v[49:50]
	ds_store_b128 v51, v[43:46]
	s_or_b32 exec_lo, exec_lo, s54
	v_add_lshl_u32 v42, v42, v12, 4
	s_and_saveexec_b32 s54, s67
	s_cbranch_execz .LBB163_83
.LBB163_90:                             ;   in Loop: Header=BB163_78 Depth=2
	v_add_co_u32 v43, vcc_lo, s52, v32
	v_add_co_ci_u32_e32 v44, vcc_lo, s53, v33, vcc_lo
	ds_load_b128 v[47:50], v42 offset:128
	v_add_co_u32 v43, vcc_lo, 0x80, v43
	v_add_co_ci_u32_e32 v44, vcc_lo, 0, v44, vcc_lo
	v_add_co_u32 v45, vcc_lo, s52, v36
	v_add_co_ci_u32_e32 v46, vcc_lo, s53, v37, vcc_lo
	s_delay_alu instid0(VALU_DEP_2) | instskip(NEXT) | instid1(VALU_DEP_2)
	v_cndmask_b32_e64 v43, v45, v43, s1
	v_cndmask_b32_e64 v44, v46, v44, s1
	global_load_b128 v[43:46], v[43:44], off
	s_waitcnt vmcnt(0) lgkmcnt(0)
	v_fma_f64 v[47:48], v[10:11], v[43:44], v[47:48]
	v_fma_f64 v[49:50], v[4:5], v[43:44], v[49:50]
	s_delay_alu instid0(VALU_DEP_2) | instskip(NEXT) | instid1(VALU_DEP_2)
	v_fma_f64 v[43:44], -v[4:5], v[45:46], v[47:48]
	v_fma_f64 v[45:46], v[10:11], v[45:46], v[49:50]
	ds_store_b128 v42, v[43:46] offset:128
	s_or_b32 exec_lo, exec_lo, s54
	s_and_saveexec_b32 s54, s3
	s_cbranch_execz .LBB163_84
.LBB163_91:                             ;   in Loop: Header=BB163_78 Depth=2
	v_add_co_u32 v43, vcc_lo, s52, v32
	v_add_co_ci_u32_e32 v44, vcc_lo, s53, v33, vcc_lo
	ds_load_b128 v[47:50], v42 offset:256
	v_add_co_u32 v43, vcc_lo, 0x100, v43
	v_add_co_ci_u32_e32 v44, vcc_lo, 0, v44, vcc_lo
	v_add_co_u32 v45, vcc_lo, s52, v38
	v_add_co_ci_u32_e32 v46, vcc_lo, s53, v39, vcc_lo
	s_delay_alu instid0(VALU_DEP_2) | instskip(NEXT) | instid1(VALU_DEP_2)
	v_cndmask_b32_e64 v43, v45, v43, s1
	v_cndmask_b32_e64 v44, v46, v44, s1
	global_load_b128 v[43:46], v[43:44], off
	s_waitcnt vmcnt(0) lgkmcnt(0)
	v_fma_f64 v[47:48], v[10:11], v[43:44], v[47:48]
	v_fma_f64 v[49:50], v[4:5], v[43:44], v[49:50]
	s_delay_alu instid0(VALU_DEP_2) | instskip(NEXT) | instid1(VALU_DEP_2)
	v_fma_f64 v[43:44], -v[4:5], v[45:46], v[47:48]
	v_fma_f64 v[45:46], v[10:11], v[45:46], v[49:50]
	ds_store_b128 v42, v[43:46] offset:256
	s_or_b32 exec_lo, exec_lo, s54
	s_and_saveexec_b32 s54, s68
	s_cbranch_execnz .LBB163_85
	s_branch .LBB163_86
.LBB163_92:                             ;   in Loop: Header=BB163_16 Depth=1
	s_mov_b64 s[56:57], s[54:55]
.LBB163_93:                             ;   in Loop: Header=BB163_16 Depth=1
	s_waitcnt_vscnt null, 0x0
	s_barrier
	buffer_gl0_inv
	ds_load_u8 v32, v13 offset:32768
	s_add_u32 s4, s14, s22
	s_addc_u32 s5, s15, 0
	s_mov_b32 s6, 0
	s_waitcnt lgkmcnt(0)
	v_cmp_eq_u32_e32 vcc_lo, 0, v32
	s_cbranch_vccnz .LBB163_100
; %bb.94:                               ;   in Loop: Header=BB163_16 Depth=1
	v_mul_lo_u32 v34, v31, s10
	v_mul_lo_u32 v35, v30, s11
	v_mad_u64_u32 v[32:33], null, v30, s10, 0
	v_dual_mov_b32 v37, s5 :: v_dual_mov_b32 v36, s4
	s_delay_alu instid0(VALU_DEP_2) | instskip(SKIP_1) | instid1(VALU_DEP_2)
	v_add3_u32 v33, v33, v35, v34
	v_lshlrev_b64 v[34:35], 3, v[30:31]
	v_lshlrev_b64 v[38:39], 4, v[32:33]
	s_delay_alu instid0(VALU_DEP_2) | instskip(NEXT) | instid1(VALU_DEP_3)
	v_add_co_u32 v40, vcc_lo, s28, v34
	v_add_co_ci_u32_e32 v41, vcc_lo, s29, v35, vcc_lo
	s_delay_alu instid0(VALU_DEP_3) | instskip(NEXT) | instid1(VALU_DEP_4)
	v_add_co_u32 v32, vcc_lo, v62, v38
	v_add_co_ci_u32_e32 v33, vcc_lo, v63, v39, vcc_lo
	v_add_co_u32 v34, vcc_lo, v64, v38
	v_add_co_ci_u32_e32 v35, vcc_lo, v65, v39, vcc_lo
	global_store_b64 v[40:41], v[36:37], off
	s_and_saveexec_b32 s6, s66
	s_cbranch_execnz .LBB163_107
; %bb.95:                               ;   in Loop: Header=BB163_16 Depth=1
	s_or_b32 exec_lo, exec_lo, s6
	s_and_saveexec_b32 s6, s67
	s_cbranch_execnz .LBB163_108
.LBB163_96:                             ;   in Loop: Header=BB163_16 Depth=1
	s_or_b32 exec_lo, exec_lo, s6
	s_and_saveexec_b32 s6, s3
	s_cbranch_execnz .LBB163_109
.LBB163_97:                             ;   in Loop: Header=BB163_16 Depth=1
	s_or_b32 exec_lo, exec_lo, s6
	s_and_saveexec_b32 s6, s68
	s_cbranch_execz .LBB163_99
.LBB163_98:                             ;   in Loop: Header=BB163_16 Depth=1
	v_lshlrev_b32_e32 v42, 4, v12
	v_lshlrev_b64 v[40:41], 4, v[20:21]
	ds_load_2addr_b64 v[36:39], v69 offset1:1
	v_add_co_u32 v34, vcc_lo, v34, v42
	v_add_co_ci_u32_e32 v35, vcc_lo, 0, v35, vcc_lo
	v_add_co_u32 v32, vcc_lo, v32, v40
	v_add_co_ci_u32_e32 v33, vcc_lo, v33, v41, vcc_lo
	s_delay_alu instid0(VALU_DEP_4) | instskip(NEXT) | instid1(VALU_DEP_4)
	v_add_co_u32 v34, vcc_lo, 0x180, v34
	v_add_co_ci_u32_e32 v35, vcc_lo, 0, v35, vcc_lo
	s_delay_alu instid0(VALU_DEP_2) | instskip(NEXT) | instid1(VALU_DEP_2)
	v_cndmask_b32_e64 v32, v32, v34, s1
	v_cndmask_b32_e64 v33, v33, v35, s1
	s_waitcnt lgkmcnt(0)
	global_store_b128 v[32:33], v[36:39], off
.LBB163_99:                             ;   in Loop: Header=BB163_16 Depth=1
	s_or_b32 exec_lo, exec_lo, s6
	s_mov_b32 s6, 1
.LBB163_100:                            ;   in Loop: Header=BB163_16 Depth=1
	ds_load_u8 v32, v13 offset:32769
	s_waitcnt lgkmcnt(0)
	v_and_b32_e32 v32, 1, v32
	s_delay_alu instid0(VALU_DEP_1)
	v_cmp_eq_u32_e32 vcc_lo, 1, v32
	s_cbranch_vccnz .LBB163_102
; %bb.101:                              ;   in Loop: Header=BB163_16 Depth=1
	v_add_co_u32 v32, vcc_lo, s6, v30
	v_add_co_ci_u32_e32 v33, vcc_lo, 0, v31, vcc_lo
	s_cbranch_execnz .LBB163_15
	s_branch .LBB163_103
.LBB163_102:                            ;   in Loop: Header=BB163_16 Depth=1
                                        ; implicit-def: $vgpr32_vgpr33
.LBB163_103:                            ;   in Loop: Header=BB163_16 Depth=1
	s_add_i32 s6, s6, 1
	s_add_u32 s4, s4, 1
	v_add_co_u32 v32, vcc_lo, v30, s6
	v_add_co_ci_u32_e32 v33, vcc_lo, 0, v31, vcc_lo
	s_addc_u32 s5, s5, 0
	s_delay_alu instid0(VALU_DEP_2) | instskip(NEXT) | instid1(VALU_DEP_2)
	v_add_co_u32 v34, vcc_lo, v32, -1
	v_add_co_ci_u32_e32 v30, vcc_lo, -1, v33, vcc_lo
	s_delay_alu instid0(VALU_DEP_2) | instskip(NEXT) | instid1(VALU_DEP_2)
	v_mul_lo_u32 v36, v34, s11
	v_mul_lo_u32 v35, v30, s10
	v_mad_u64_u32 v[30:31], null, v34, s10, 0
	s_delay_alu instid0(VALU_DEP_1) | instskip(SKIP_2) | instid1(VALU_DEP_3)
	v_add3_u32 v31, v31, v36, v35
	v_lshlrev_b64 v[34:35], 3, v[32:33]
	v_dual_mov_b32 v37, s5 :: v_dual_mov_b32 v36, s4
	v_lshlrev_b64 v[30:31], 4, v[30:31]
	s_delay_alu instid0(VALU_DEP_3) | instskip(NEXT) | instid1(VALU_DEP_4)
	v_add_co_u32 v38, vcc_lo, s71, v34
	v_add_co_ci_u32_e32 v39, vcc_lo, s72, v35, vcc_lo
	s_delay_alu instid0(VALU_DEP_3) | instskip(NEXT) | instid1(VALU_DEP_4)
	v_add_co_u32 v34, vcc_lo, v62, v30
	v_add_co_ci_u32_e32 v35, vcc_lo, v63, v31, vcc_lo
	v_add_co_u32 v30, vcc_lo, v64, v30
	v_add_co_ci_u32_e32 v31, vcc_lo, v65, v31, vcc_lo
	global_store_b64 v[38:39], v[36:37], off
	s_and_saveexec_b32 s4, s66
	s_cbranch_execnz .LBB163_110
; %bb.104:                              ;   in Loop: Header=BB163_16 Depth=1
	s_or_b32 exec_lo, exec_lo, s4
	s_and_saveexec_b32 s4, s67
	s_cbranch_execnz .LBB163_111
.LBB163_105:                            ;   in Loop: Header=BB163_16 Depth=1
	s_or_b32 exec_lo, exec_lo, s4
	s_and_saveexec_b32 s4, s3
	s_cbranch_execnz .LBB163_112
.LBB163_106:                            ;   in Loop: Header=BB163_16 Depth=1
	s_or_b32 exec_lo, exec_lo, s4
	s_and_saveexec_b32 s4, s68
	s_cbranch_execz .LBB163_14
	s_branch .LBB163_113
.LBB163_107:                            ;   in Loop: Header=BB163_16 Depth=1
	v_lshlrev_b64 v[40:41], 4, v[14:15]
	ds_load_2addr_b64 v[36:39], v66 offset1:1
	v_lshlrev_b32_e32 v42, 4, v12
	v_add_co_u32 v40, vcc_lo, v32, v40
	v_add_co_ci_u32_e32 v41, vcc_lo, v33, v41, vcc_lo
	s_delay_alu instid0(VALU_DEP_3) | instskip(SKIP_1) | instid1(VALU_DEP_2)
	v_add_co_u32 v42, vcc_lo, v34, v42
	v_add_co_ci_u32_e32 v43, vcc_lo, 0, v35, vcc_lo
	v_cndmask_b32_e64 v40, v40, v42, s1
	s_delay_alu instid0(VALU_DEP_2)
	v_cndmask_b32_e64 v41, v41, v43, s1
	s_waitcnt lgkmcnt(0)
	global_store_b128 v[40:41], v[36:39], off
	s_or_b32 exec_lo, exec_lo, s6
	s_and_saveexec_b32 s6, s67
	s_cbranch_execz .LBB163_96
.LBB163_108:                            ;   in Loop: Header=BB163_16 Depth=1
	v_lshlrev_b32_e32 v42, 4, v12
	v_lshlrev_b64 v[40:41], 4, v[16:17]
	ds_load_2addr_b64 v[36:39], v67 offset1:1
	v_add_co_u32 v42, vcc_lo, v34, v42
	v_add_co_ci_u32_e32 v43, vcc_lo, 0, v35, vcc_lo
	v_add_co_u32 v40, vcc_lo, v32, v40
	v_add_co_ci_u32_e32 v41, vcc_lo, v33, v41, vcc_lo
	s_delay_alu instid0(VALU_DEP_4) | instskip(NEXT) | instid1(VALU_DEP_4)
	v_add_co_u32 v42, vcc_lo, 0x80, v42
	v_add_co_ci_u32_e32 v43, vcc_lo, 0, v43, vcc_lo
	s_delay_alu instid0(VALU_DEP_2) | instskip(NEXT) | instid1(VALU_DEP_2)
	v_cndmask_b32_e64 v40, v40, v42, s1
	v_cndmask_b32_e64 v41, v41, v43, s1
	s_waitcnt lgkmcnt(0)
	global_store_b128 v[40:41], v[36:39], off
	s_or_b32 exec_lo, exec_lo, s6
	s_and_saveexec_b32 s6, s3
	s_cbranch_execz .LBB163_97
.LBB163_109:                            ;   in Loop: Header=BB163_16 Depth=1
	v_lshlrev_b32_e32 v42, 4, v12
	v_lshlrev_b64 v[40:41], 4, v[18:19]
	ds_load_2addr_b64 v[36:39], v68 offset1:1
	v_add_co_u32 v42, vcc_lo, v34, v42
	v_add_co_ci_u32_e32 v43, vcc_lo, 0, v35, vcc_lo
	v_add_co_u32 v40, vcc_lo, v32, v40
	v_add_co_ci_u32_e32 v41, vcc_lo, v33, v41, vcc_lo
	s_delay_alu instid0(VALU_DEP_4) | instskip(NEXT) | instid1(VALU_DEP_4)
	v_add_co_u32 v42, vcc_lo, 0x100, v42
	v_add_co_ci_u32_e32 v43, vcc_lo, 0, v43, vcc_lo
	s_delay_alu instid0(VALU_DEP_2) | instskip(NEXT) | instid1(VALU_DEP_2)
	v_cndmask_b32_e64 v40, v40, v42, s1
	v_cndmask_b32_e64 v41, v41, v43, s1
	s_waitcnt lgkmcnt(0)
	global_store_b128 v[40:41], v[36:39], off
	s_or_b32 exec_lo, exec_lo, s6
	s_and_saveexec_b32 s6, s68
	s_cbranch_execnz .LBB163_98
	s_branch .LBB163_99
.LBB163_110:                            ;   in Loop: Header=BB163_16 Depth=1
	v_lshlrev_b32_e32 v42, 4, v12
	ds_load_2addr_b64 v[36:39], v70 offset1:1
	v_lshlrev_b64 v[40:41], 4, v[14:15]
	v_add_co_u32 v42, vcc_lo, v30, v42
	v_add_co_ci_u32_e32 v43, vcc_lo, 0, v31, vcc_lo
	s_delay_alu instid0(VALU_DEP_3) | instskip(NEXT) | instid1(VALU_DEP_4)
	v_add_co_u32 v40, vcc_lo, v34, v40
	v_add_co_ci_u32_e32 v41, vcc_lo, v35, v41, vcc_lo
	s_delay_alu instid0(VALU_DEP_2) | instskip(NEXT) | instid1(VALU_DEP_2)
	v_cndmask_b32_e64 v40, v40, v42, s1
	v_cndmask_b32_e64 v41, v41, v43, s1
	s_waitcnt lgkmcnt(0)
	global_store_b128 v[40:41], v[36:39], off
	s_or_b32 exec_lo, exec_lo, s4
	s_and_saveexec_b32 s4, s67
	s_cbranch_execz .LBB163_105
.LBB163_111:                            ;   in Loop: Header=BB163_16 Depth=1
	v_lshlrev_b32_e32 v42, 4, v12
	v_lshlrev_b64 v[40:41], 4, v[16:17]
	ds_load_2addr_b64 v[36:39], v71 offset1:1
	v_add_co_u32 v42, vcc_lo, v30, v42
	v_add_co_ci_u32_e32 v43, vcc_lo, 0, v31, vcc_lo
	v_add_co_u32 v40, vcc_lo, v34, v40
	v_add_co_ci_u32_e32 v41, vcc_lo, v35, v41, vcc_lo
	s_delay_alu instid0(VALU_DEP_4) | instskip(NEXT) | instid1(VALU_DEP_4)
	v_add_co_u32 v42, vcc_lo, 0x80, v42
	v_add_co_ci_u32_e32 v43, vcc_lo, 0, v43, vcc_lo
	s_delay_alu instid0(VALU_DEP_2) | instskip(NEXT) | instid1(VALU_DEP_2)
	v_cndmask_b32_e64 v40, v40, v42, s1
	v_cndmask_b32_e64 v41, v41, v43, s1
	s_waitcnt lgkmcnt(0)
	global_store_b128 v[40:41], v[36:39], off
	s_or_b32 exec_lo, exec_lo, s4
	s_and_saveexec_b32 s4, s3
	s_cbranch_execz .LBB163_106
.LBB163_112:                            ;   in Loop: Header=BB163_16 Depth=1
	v_lshlrev_b32_e32 v42, 4, v12
	v_lshlrev_b64 v[40:41], 4, v[18:19]
	ds_load_2addr_b64 v[36:39], v72 offset1:1
	v_add_co_u32 v42, vcc_lo, v30, v42
	v_add_co_ci_u32_e32 v43, vcc_lo, 0, v31, vcc_lo
	v_add_co_u32 v40, vcc_lo, v34, v40
	v_add_co_ci_u32_e32 v41, vcc_lo, v35, v41, vcc_lo
	s_delay_alu instid0(VALU_DEP_4) | instskip(NEXT) | instid1(VALU_DEP_4)
	v_add_co_u32 v42, vcc_lo, 0x100, v42
	v_add_co_ci_u32_e32 v43, vcc_lo, 0, v43, vcc_lo
	s_delay_alu instid0(VALU_DEP_2) | instskip(NEXT) | instid1(VALU_DEP_2)
	v_cndmask_b32_e64 v40, v40, v42, s1
	v_cndmask_b32_e64 v41, v41, v43, s1
	s_waitcnt lgkmcnt(0)
	global_store_b128 v[40:41], v[36:39], off
	s_or_b32 exec_lo, exec_lo, s4
	s_and_saveexec_b32 s4, s68
	s_cbranch_execz .LBB163_14
.LBB163_113:                            ;   in Loop: Header=BB163_16 Depth=1
	s_and_not1_b32 vcc_lo, exec_lo, s64
	s_cbranch_vccnz .LBB163_115
; %bb.114:                              ;   in Loop: Header=BB163_16 Depth=1
	ds_load_2addr_b64 v[36:39], v73 offset1:1
	v_lshlrev_b64 v[40:41], 4, v[20:21]
	s_delay_alu instid0(VALU_DEP_1) | instskip(NEXT) | instid1(VALU_DEP_2)
	v_add_co_u32 v34, vcc_lo, v34, v40
	v_add_co_ci_u32_e32 v35, vcc_lo, v35, v41, vcc_lo
	s_waitcnt lgkmcnt(0)
	global_store_b128 v[34:35], v[36:39], off
	s_cbranch_execnz .LBB163_14
	s_branch .LBB163_116
.LBB163_115:                            ;   in Loop: Header=BB163_16 Depth=1
.LBB163_116:                            ;   in Loop: Header=BB163_16 Depth=1
	ds_load_2addr_b64 v[34:37], v73 offset1:1
	v_lshlrev_b32_e32 v38, 4, v12
	s_delay_alu instid0(VALU_DEP_1)
	v_add_co_u32 v30, vcc_lo, v30, v38
	v_add_co_ci_u32_e32 v31, vcc_lo, 0, v31, vcc_lo
	s_waitcnt lgkmcnt(0)
	global_store_b128 v[30:31], v[34:37], off offset:384
	s_branch .LBB163_14
.LBB163_117:
	s_endpgm
	.section	.rodata,"a",@progbits
	.p2align	6, 0x0
	.amdhsa_kernel _ZN9rocsparseL31bsrgemm_block_per_row_multipassILj256ELj2ELj32Ell21rocsparse_complex_numIdEEEv20rocsparse_direction_T3_S4_PKS4_S6_NS_24const_host_device_scalarIT4_EEPKT2_S6_PKS8_SC_S6_SE_S9_SC_S6_SE_SC_PS4_PS8_PSA_21rocsparse_index_base_SI_SI_SI_bbb
		.amdhsa_group_segment_fixed_size 36872
		.amdhsa_private_segment_fixed_size 0
		.amdhsa_kernarg_size 196
		.amdhsa_user_sgpr_count 15
		.amdhsa_user_sgpr_dispatch_ptr 1
		.amdhsa_user_sgpr_queue_ptr 0
		.amdhsa_user_sgpr_kernarg_segment_ptr 1
		.amdhsa_user_sgpr_dispatch_id 0
		.amdhsa_user_sgpr_private_segment_size 0
		.amdhsa_wavefront_size32 1
		.amdhsa_uses_dynamic_stack 0
		.amdhsa_enable_private_segment 0
		.amdhsa_system_sgpr_workgroup_id_x 1
		.amdhsa_system_sgpr_workgroup_id_y 0
		.amdhsa_system_sgpr_workgroup_id_z 0
		.amdhsa_system_sgpr_workgroup_info 0
		.amdhsa_system_vgpr_workitem_id 2
		.amdhsa_next_free_vgpr 96
		.amdhsa_next_free_sgpr 79
		.amdhsa_reserve_vcc 1
		.amdhsa_float_round_mode_32 0
		.amdhsa_float_round_mode_16_64 0
		.amdhsa_float_denorm_mode_32 3
		.amdhsa_float_denorm_mode_16_64 3
		.amdhsa_dx10_clamp 1
		.amdhsa_ieee_mode 1
		.amdhsa_fp16_overflow 0
		.amdhsa_workgroup_processor_mode 1
		.amdhsa_memory_ordered 1
		.amdhsa_forward_progress 0
		.amdhsa_shared_vgpr_count 0
		.amdhsa_exception_fp_ieee_invalid_op 0
		.amdhsa_exception_fp_denorm_src 0
		.amdhsa_exception_fp_ieee_div_zero 0
		.amdhsa_exception_fp_ieee_overflow 0
		.amdhsa_exception_fp_ieee_underflow 0
		.amdhsa_exception_fp_ieee_inexact 0
		.amdhsa_exception_int_div_zero 0
	.end_amdhsa_kernel
	.section	.text._ZN9rocsparseL31bsrgemm_block_per_row_multipassILj256ELj2ELj32Ell21rocsparse_complex_numIdEEEv20rocsparse_direction_T3_S4_PKS4_S6_NS_24const_host_device_scalarIT4_EEPKT2_S6_PKS8_SC_S6_SE_S9_SC_S6_SE_SC_PS4_PS8_PSA_21rocsparse_index_base_SI_SI_SI_bbb,"axG",@progbits,_ZN9rocsparseL31bsrgemm_block_per_row_multipassILj256ELj2ELj32Ell21rocsparse_complex_numIdEEEv20rocsparse_direction_T3_S4_PKS4_S6_NS_24const_host_device_scalarIT4_EEPKT2_S6_PKS8_SC_S6_SE_S9_SC_S6_SE_SC_PS4_PS8_PSA_21rocsparse_index_base_SI_SI_SI_bbb,comdat
.Lfunc_end163:
	.size	_ZN9rocsparseL31bsrgemm_block_per_row_multipassILj256ELj2ELj32Ell21rocsparse_complex_numIdEEEv20rocsparse_direction_T3_S4_PKS4_S6_NS_24const_host_device_scalarIT4_EEPKT2_S6_PKS8_SC_S6_SE_S9_SC_S6_SE_SC_PS4_PS8_PSA_21rocsparse_index_base_SI_SI_SI_bbb, .Lfunc_end163-_ZN9rocsparseL31bsrgemm_block_per_row_multipassILj256ELj2ELj32Ell21rocsparse_complex_numIdEEEv20rocsparse_direction_T3_S4_PKS4_S6_NS_24const_host_device_scalarIT4_EEPKT2_S6_PKS8_SC_S6_SE_S9_SC_S6_SE_SC_PS4_PS8_PSA_21rocsparse_index_base_SI_SI_SI_bbb
                                        ; -- End function
	.section	.AMDGPU.csdata,"",@progbits
; Kernel info:
; codeLenInByte = 6752
; NumSgprs: 81
; NumVgprs: 96
; ScratchSize: 0
; MemoryBound: 1
; FloatMode: 240
; IeeeMode: 1
; LDSByteSize: 36872 bytes/workgroup (compile time only)
; SGPRBlocks: 10
; VGPRBlocks: 11
; NumSGPRsForWavesPerEU: 81
; NumVGPRsForWavesPerEU: 96
; Occupancy: 6
; WaveLimiterHint : 1
; COMPUTE_PGM_RSRC2:SCRATCH_EN: 0
; COMPUTE_PGM_RSRC2:USER_SGPR: 15
; COMPUTE_PGM_RSRC2:TRAP_HANDLER: 0
; COMPUTE_PGM_RSRC2:TGID_X_EN: 1
; COMPUTE_PGM_RSRC2:TGID_Y_EN: 0
; COMPUTE_PGM_RSRC2:TGID_Z_EN: 0
; COMPUTE_PGM_RSRC2:TIDIG_COMP_CNT: 2
	.section	.text._ZN9rocsparseL25csrgemm_max_row_nnz_part1ILj256EliEEvT1_PKT0_PS1_,"axG",@progbits,_ZN9rocsparseL25csrgemm_max_row_nnz_part1ILj256EliEEvT1_PKT0_PS1_,comdat
	.globl	_ZN9rocsparseL25csrgemm_max_row_nnz_part1ILj256EliEEvT1_PKT0_PS1_ ; -- Begin function _ZN9rocsparseL25csrgemm_max_row_nnz_part1ILj256EliEEvT1_PKT0_PS1_
	.p2align	8
	.type	_ZN9rocsparseL25csrgemm_max_row_nnz_part1ILj256EliEEvT1_PKT0_PS1_,@function
_ZN9rocsparseL25csrgemm_max_row_nnz_part1ILj256EliEEvT1_PKT0_PS1_: ; @_ZN9rocsparseL25csrgemm_max_row_nnz_part1ILj256EliEEvT1_PKT0_PS1_
; %bb.0:
	s_clause 0x1
	s_load_b32 s3, s[0:1], 0x0
	s_load_b64 s[4:5], s[0:1], 0x10
	s_mov_b32 s2, s15
	v_mov_b32_e32 v3, 0
	v_lshl_or_b32 v1, s2, 8, v0
	s_mov_b32 s6, exec_lo
	s_waitcnt lgkmcnt(0)
	s_delay_alu instid0(VALU_DEP_1)
	v_cmpx_gt_i32_e64 s3, v1
	s_cbranch_execz .LBB164_4
; %bb.1:
	s_clause 0x1
	s_load_b32 s7, s[0:1], 0x18
	s_load_b64 s[0:1], s[0:1], 0x8
	v_mov_b32_e32 v3, 0
	s_waitcnt lgkmcnt(0)
	s_lshl_b32 s8, s7, 8
	s_mov_b32 s7, 0
.LBB164_2:                              ; =>This Inner Loop Header: Depth=1
	v_ashrrev_i32_e32 v2, 31, v1
	s_delay_alu instid0(VALU_DEP_1) | instskip(SKIP_1) | instid1(VALU_DEP_2)
	v_lshlrev_b64 v[4:5], 3, v[1:2]
	v_add_nc_u32_e32 v1, s8, v1
	v_add_co_u32 v4, vcc_lo, s0, v4
	s_delay_alu instid0(VALU_DEP_3) | instskip(NEXT) | instid1(VALU_DEP_3)
	v_add_co_ci_u32_e32 v5, vcc_lo, s1, v5, vcc_lo
	v_cmp_le_i32_e32 vcc_lo, s3, v1
	global_load_b128 v[4:7], v[4:5], off
	s_or_b32 s7, vcc_lo, s7
	s_waitcnt vmcnt(0)
	v_sub_nc_u32_e32 v2, v6, v4
	s_delay_alu instid0(VALU_DEP_1)
	v_max_i32_e32 v3, v3, v2
	s_and_not1_b32 exec_lo, exec_lo, s7
	s_cbranch_execnz .LBB164_2
; %bb.3:
	s_or_b32 exec_lo, exec_lo, s7
.LBB164_4:
	s_delay_alu instid0(SALU_CYCLE_1)
	s_or_b32 exec_lo, exec_lo, s6
	v_lshlrev_b32_e32 v1, 2, v0
	s_mov_b32 s0, exec_lo
	ds_store_b32 v1, v3
	s_waitcnt lgkmcnt(0)
	s_barrier
	buffer_gl0_inv
	v_cmpx_gt_u32_e32 0x80, v0
	s_cbranch_execz .LBB164_6
; %bb.5:
	ds_load_2addr_stride64_b32 v[2:3], v1 offset1:2
	s_waitcnt lgkmcnt(0)
	v_max_i32_e32 v2, v2, v3
	ds_store_b32 v1, v2
.LBB164_6:
	s_or_b32 exec_lo, exec_lo, s0
	s_delay_alu instid0(SALU_CYCLE_1)
	s_mov_b32 s0, exec_lo
	s_waitcnt lgkmcnt(0)
	s_barrier
	buffer_gl0_inv
	v_cmpx_gt_u32_e32 64, v0
	s_cbranch_execz .LBB164_8
; %bb.7:
	ds_load_2addr_stride64_b32 v[2:3], v1 offset1:1
	s_waitcnt lgkmcnt(0)
	v_max_i32_e32 v2, v2, v3
	ds_store_b32 v1, v2
.LBB164_8:
	s_or_b32 exec_lo, exec_lo, s0
	s_delay_alu instid0(SALU_CYCLE_1)
	s_mov_b32 s0, exec_lo
	s_waitcnt lgkmcnt(0)
	s_barrier
	buffer_gl0_inv
	v_cmpx_gt_u32_e32 32, v0
	s_cbranch_execz .LBB164_10
; %bb.9:
	ds_load_2addr_b32 v[2:3], v1 offset1:32
	s_waitcnt lgkmcnt(0)
	v_max_i32_e32 v2, v2, v3
	ds_store_b32 v1, v2
.LBB164_10:
	s_or_b32 exec_lo, exec_lo, s0
	s_delay_alu instid0(SALU_CYCLE_1)
	s_mov_b32 s0, exec_lo
	s_waitcnt lgkmcnt(0)
	s_barrier
	buffer_gl0_inv
	v_cmpx_gt_u32_e32 16, v0
	s_cbranch_execz .LBB164_12
; %bb.11:
	ds_load_2addr_b32 v[2:3], v1 offset1:16
	s_waitcnt lgkmcnt(0)
	v_max_i32_e32 v2, v2, v3
	ds_store_b32 v1, v2
.LBB164_12:
	s_or_b32 exec_lo, exec_lo, s0
	s_delay_alu instid0(SALU_CYCLE_1)
	s_mov_b32 s0, exec_lo
	s_waitcnt lgkmcnt(0)
	s_barrier
	buffer_gl0_inv
	v_cmpx_gt_u32_e32 8, v0
	s_cbranch_execz .LBB164_14
; %bb.13:
	ds_load_2addr_b32 v[2:3], v1 offset1:8
	s_waitcnt lgkmcnt(0)
	v_max_i32_e32 v2, v2, v3
	ds_store_b32 v1, v2
.LBB164_14:
	s_or_b32 exec_lo, exec_lo, s0
	s_delay_alu instid0(SALU_CYCLE_1)
	s_mov_b32 s0, exec_lo
	s_waitcnt lgkmcnt(0)
	s_barrier
	buffer_gl0_inv
	v_cmpx_gt_u32_e32 4, v0
	s_cbranch_execz .LBB164_16
; %bb.15:
	ds_load_2addr_b32 v[2:3], v1 offset1:4
	s_waitcnt lgkmcnt(0)
	v_max_i32_e32 v2, v2, v3
	ds_store_b32 v1, v2
.LBB164_16:
	s_or_b32 exec_lo, exec_lo, s0
	s_delay_alu instid0(SALU_CYCLE_1)
	s_mov_b32 s0, exec_lo
	s_waitcnt lgkmcnt(0)
	s_barrier
	buffer_gl0_inv
	v_cmpx_gt_u32_e32 2, v0
	s_cbranch_execz .LBB164_18
; %bb.17:
	ds_load_2addr_b32 v[2:3], v1 offset1:2
	s_waitcnt lgkmcnt(0)
	v_max_i32_e32 v2, v2, v3
	ds_store_b32 v1, v2
.LBB164_18:
	s_or_b32 exec_lo, exec_lo, s0
	v_cmp_eq_u32_e32 vcc_lo, 0, v0
	s_waitcnt lgkmcnt(0)
	s_barrier
	buffer_gl0_inv
	s_and_saveexec_b32 s0, vcc_lo
	s_cbranch_execz .LBB164_20
; %bb.19:
	v_mov_b32_e32 v2, 0
	ds_load_b64 v[0:1], v2
	s_waitcnt lgkmcnt(0)
	v_max_i32_e32 v0, v0, v1
	ds_store_b32 v2, v0
.LBB164_20:
	s_or_b32 exec_lo, exec_lo, s0
	s_waitcnt lgkmcnt(0)
	s_barrier
	buffer_gl0_inv
	s_and_saveexec_b32 s0, vcc_lo
	s_cbranch_execz .LBB164_22
; %bb.21:
	v_mov_b32_e32 v0, 0
	s_mov_b32 s3, 0
	s_delay_alu instid0(SALU_CYCLE_1) | instskip(NEXT) | instid1(SALU_CYCLE_1)
	s_lshl_b64 s[0:1], s[2:3], 2
	s_add_u32 s0, s4, s0
	ds_load_b32 v1, v0
	s_addc_u32 s1, s5, s1
	s_waitcnt lgkmcnt(0)
	global_store_b32 v0, v1, s[0:1]
.LBB164_22:
	s_nop 0
	s_sendmsg sendmsg(MSG_DEALLOC_VGPRS)
	s_endpgm
	.section	.rodata,"a",@progbits
	.p2align	6, 0x0
	.amdhsa_kernel _ZN9rocsparseL25csrgemm_max_row_nnz_part1ILj256EliEEvT1_PKT0_PS1_
		.amdhsa_group_segment_fixed_size 1024
		.amdhsa_private_segment_fixed_size 0
		.amdhsa_kernarg_size 280
		.amdhsa_user_sgpr_count 15
		.amdhsa_user_sgpr_dispatch_ptr 0
		.amdhsa_user_sgpr_queue_ptr 0
		.amdhsa_user_sgpr_kernarg_segment_ptr 1
		.amdhsa_user_sgpr_dispatch_id 0
		.amdhsa_user_sgpr_private_segment_size 0
		.amdhsa_wavefront_size32 1
		.amdhsa_uses_dynamic_stack 0
		.amdhsa_enable_private_segment 0
		.amdhsa_system_sgpr_workgroup_id_x 1
		.amdhsa_system_sgpr_workgroup_id_y 0
		.amdhsa_system_sgpr_workgroup_id_z 0
		.amdhsa_system_sgpr_workgroup_info 0
		.amdhsa_system_vgpr_workitem_id 0
		.amdhsa_next_free_vgpr 8
		.amdhsa_next_free_sgpr 16
		.amdhsa_reserve_vcc 1
		.amdhsa_float_round_mode_32 0
		.amdhsa_float_round_mode_16_64 0
		.amdhsa_float_denorm_mode_32 3
		.amdhsa_float_denorm_mode_16_64 3
		.amdhsa_dx10_clamp 1
		.amdhsa_ieee_mode 1
		.amdhsa_fp16_overflow 0
		.amdhsa_workgroup_processor_mode 1
		.amdhsa_memory_ordered 1
		.amdhsa_forward_progress 0
		.amdhsa_shared_vgpr_count 0
		.amdhsa_exception_fp_ieee_invalid_op 0
		.amdhsa_exception_fp_denorm_src 0
		.amdhsa_exception_fp_ieee_div_zero 0
		.amdhsa_exception_fp_ieee_overflow 0
		.amdhsa_exception_fp_ieee_underflow 0
		.amdhsa_exception_fp_ieee_inexact 0
		.amdhsa_exception_int_div_zero 0
	.end_amdhsa_kernel
	.section	.text._ZN9rocsparseL25csrgemm_max_row_nnz_part1ILj256EliEEvT1_PKT0_PS1_,"axG",@progbits,_ZN9rocsparseL25csrgemm_max_row_nnz_part1ILj256EliEEvT1_PKT0_PS1_,comdat
.Lfunc_end164:
	.size	_ZN9rocsparseL25csrgemm_max_row_nnz_part1ILj256EliEEvT1_PKT0_PS1_, .Lfunc_end164-_ZN9rocsparseL25csrgemm_max_row_nnz_part1ILj256EliEEvT1_PKT0_PS1_
                                        ; -- End function
	.section	.AMDGPU.csdata,"",@progbits
; Kernel info:
; codeLenInByte = 756
; NumSgprs: 18
; NumVgprs: 8
; ScratchSize: 0
; MemoryBound: 0
; FloatMode: 240
; IeeeMode: 1
; LDSByteSize: 1024 bytes/workgroup (compile time only)
; SGPRBlocks: 2
; VGPRBlocks: 0
; NumSGPRsForWavesPerEU: 18
; NumVGPRsForWavesPerEU: 8
; Occupancy: 16
; WaveLimiterHint : 0
; COMPUTE_PGM_RSRC2:SCRATCH_EN: 0
; COMPUTE_PGM_RSRC2:USER_SGPR: 15
; COMPUTE_PGM_RSRC2:TRAP_HANDLER: 0
; COMPUTE_PGM_RSRC2:TGID_X_EN: 1
; COMPUTE_PGM_RSRC2:TGID_Y_EN: 0
; COMPUTE_PGM_RSRC2:TGID_Z_EN: 0
; COMPUTE_PGM_RSRC2:TIDIG_COMP_CNT: 0
	.section	.text._ZN9rocsparseL26bsrgemm_group_reduce_part2ILj256ELj8ELj2EfliEEvT4_PKT3_PS1_Pi,"axG",@progbits,_ZN9rocsparseL26bsrgemm_group_reduce_part2ILj256ELj8ELj2EfliEEvT4_PKT3_PS1_Pi,comdat
	.globl	_ZN9rocsparseL26bsrgemm_group_reduce_part2ILj256ELj8ELj2EfliEEvT4_PKT3_PS1_Pi ; -- Begin function _ZN9rocsparseL26bsrgemm_group_reduce_part2ILj256ELj8ELj2EfliEEvT4_PKT3_PS1_Pi
	.p2align	8
	.type	_ZN9rocsparseL26bsrgemm_group_reduce_part2ILj256ELj8ELj2EfliEEvT4_PKT3_PS1_Pi,@function
_ZN9rocsparseL26bsrgemm_group_reduce_part2ILj256ELj8ELj2EfliEEvT4_PKT3_PS1_Pi: ; @_ZN9rocsparseL26bsrgemm_group_reduce_part2ILj256ELj8ELj2EfliEEvT4_PKT3_PS1_Pi
; %bb.0:
	s_clause 0x1
	s_load_b32 s10, s[0:1], 0x0
	s_load_b64 s[2:3], s[0:1], 0x10
	s_mov_b32 s4, 0
	v_lshl_or_b32 v1, s15, 8, v0
	s_mov_b32 s7, s4
	s_mov_b32 s5, s4
	;; [unrolled: 1-line block ×3, first 2 shown]
	v_dual_mov_b32 v9, s7 :: v_dual_mov_b32 v6, s4
	v_dual_mov_b32 v8, s6 :: v_dual_lshlrev_b32 v5, 5, v0
	v_mov_b32_e32 v7, s5
	s_mov_b32 s5, exec_lo
	ds_store_b128 v5, v[6:9]
	ds_store_b128 v5, v[6:9] offset:16
	s_waitcnt lgkmcnt(0)
	buffer_gl0_inv
	v_cmpx_gt_i32_e64 s10, v1
	s_cbranch_execz .LBB165_31
; %bb.1:
	s_clause 0x2
	s_load_b32 s11, s[0:1], 0x20
	s_load_b64 s[6:7], s[0:1], 0x8
	s_load_b64 s[8:9], s[0:1], 0x18
	v_dual_mov_b32 v6, 7 :: v_dual_mov_b32 v7, 6
	v_dual_mov_b32 v8, 5 :: v_dual_mov_b32 v9, 4
	v_dual_mov_b32 v10, 3 :: v_dual_mov_b32 v11, 2
	v_dual_mov_b32 v12, 1 :: v_dual_mov_b32 v13, 0
	s_waitcnt lgkmcnt(0)
	s_lshl_b32 s1, s11, 8
	s_branch .LBB165_3
.LBB165_2:                              ;   in Loop: Header=BB165_3 Depth=1
	s_or_b32 exec_lo, exec_lo, s0
	v_add_nc_u32_e32 v1, s1, v1
	s_delay_alu instid0(VALU_DEP_1) | instskip(SKIP_1) | instid1(SALU_CYCLE_1)
	v_cmp_le_i32_e32 vcc_lo, s10, v1
	s_or_b32 s4, vcc_lo, s4
	s_and_not1_b32 exec_lo, exec_lo, s4
	s_cbranch_execz .LBB165_31
.LBB165_3:                              ; =>This Inner Loop Header: Depth=1
	v_ashrrev_i32_e32 v2, 31, v1
	s_mov_b32 s0, exec_lo
	s_delay_alu instid0(VALU_DEP_1) | instskip(NEXT) | instid1(VALU_DEP_1)
	v_lshlrev_b64 v[3:4], 3, v[1:2]
	v_add_co_u32 v3, vcc_lo, s6, v3
	s_delay_alu instid0(VALU_DEP_2) | instskip(SKIP_4) | instid1(VALU_DEP_1)
	v_add_co_ci_u32_e32 v4, vcc_lo, s7, v4, vcc_lo
	global_load_b128 v[14:17], v[3:4], off
	s_waitcnt vmcnt(0)
	v_sub_co_u32 v3, vcc_lo, v16, v14
	v_sub_co_ci_u32_e32 v4, vcc_lo, v17, v15, vcc_lo
	v_cmpx_lt_i64_e32 8, v[3:4]
	s_xor_b32 s11, exec_lo, s0
	s_cbranch_execz .LBB165_29
; %bb.4:                                ;   in Loop: Header=BB165_3 Depth=1
	s_mov_b32 s0, exec_lo
	v_cmpx_lt_u64_e32 16, v[3:4]
	s_xor_b32 s12, exec_lo, s0
	s_cbranch_execz .LBB165_26
; %bb.5:                                ;   in Loop: Header=BB165_3 Depth=1
	s_mov_b32 s0, exec_lo
	v_cmpx_lt_u64_e32 32, v[3:4]
	;; [unrolled: 5-line block ×5, first 2 shown]
	s_xor_b32 s17, exec_lo, s0
	s_cbranch_execz .LBB165_14
; %bb.9:                                ;   in Loop: Header=BB165_3 Depth=1
	v_lshlrev_b64 v[14:15], 2, v[1:2]
	v_cmp_lt_u64_e32 vcc_lo, 0x200, v[3:4]
	s_delay_alu instid0(VALU_DEP_2) | instskip(NEXT) | instid1(VALU_DEP_1)
	v_add_co_u32 v3, s0, s8, v14
	v_add_co_ci_u32_e64 v4, s0, s9, v15, s0
	s_and_saveexec_b32 s0, vcc_lo
	s_delay_alu instid0(SALU_CYCLE_1)
	s_xor_b32 s0, exec_lo, s0
	s_cbranch_execz .LBB165_11
; %bb.10:                               ;   in Loop: Header=BB165_3 Depth=1
	ds_load_b32 v14, v5 offset:28
	global_store_b32 v[3:4], v6, off
                                        ; implicit-def: $vgpr3_vgpr4
	s_waitcnt lgkmcnt(0)
	v_add_nc_u32_e32 v14, 1, v14
	ds_store_b32 v5, v14 offset:28
.LBB165_11:                             ;   in Loop: Header=BB165_3 Depth=1
	s_and_not1_saveexec_b32 s0, s0
	s_cbranch_execz .LBB165_13
; %bb.12:                               ;   in Loop: Header=BB165_3 Depth=1
	ds_load_b32 v14, v5 offset:24
	global_store_b32 v[3:4], v7, off
	s_waitcnt lgkmcnt(0)
	v_add_nc_u32_e32 v14, 1, v14
	ds_store_b32 v5, v14 offset:24
.LBB165_13:                             ;   in Loop: Header=BB165_3 Depth=1
	s_or_b32 exec_lo, exec_lo, s0
.LBB165_14:                             ;   in Loop: Header=BB165_3 Depth=1
	s_and_not1_saveexec_b32 s0, s17
	s_cbranch_execz .LBB165_16
; %bb.15:                               ;   in Loop: Header=BB165_3 Depth=1
	ds_load_b32 v14, v5 offset:20
	v_lshlrev_b64 v[3:4], 2, v[1:2]
	s_delay_alu instid0(VALU_DEP_1) | instskip(NEXT) | instid1(VALU_DEP_2)
	v_add_co_u32 v3, vcc_lo, s8, v3
	v_add_co_ci_u32_e32 v4, vcc_lo, s9, v4, vcc_lo
	global_store_b32 v[3:4], v8, off
	s_waitcnt lgkmcnt(0)
	v_add_nc_u32_e32 v14, 1, v14
	ds_store_b32 v5, v14 offset:20
.LBB165_16:                             ;   in Loop: Header=BB165_3 Depth=1
	s_or_b32 exec_lo, exec_lo, s0
.LBB165_17:                             ;   in Loop: Header=BB165_3 Depth=1
	s_and_not1_saveexec_b32 s0, s16
	s_cbranch_execz .LBB165_19
; %bb.18:                               ;   in Loop: Header=BB165_3 Depth=1
	ds_load_b32 v14, v5 offset:16
	v_lshlrev_b64 v[3:4], 2, v[1:2]
	s_delay_alu instid0(VALU_DEP_1) | instskip(NEXT) | instid1(VALU_DEP_2)
	v_add_co_u32 v3, vcc_lo, s8, v3
	v_add_co_ci_u32_e32 v4, vcc_lo, s9, v4, vcc_lo
	global_store_b32 v[3:4], v9, off
	s_waitcnt lgkmcnt(0)
	v_add_nc_u32_e32 v14, 1, v14
	ds_store_b32 v5, v14 offset:16
.LBB165_19:                             ;   in Loop: Header=BB165_3 Depth=1
	s_or_b32 exec_lo, exec_lo, s0
.LBB165_20:                             ;   in Loop: Header=BB165_3 Depth=1
	s_and_not1_saveexec_b32 s0, s14
	s_cbranch_execz .LBB165_22
; %bb.21:                               ;   in Loop: Header=BB165_3 Depth=1
	ds_load_b32 v14, v5 offset:12
	v_lshlrev_b64 v[3:4], 2, v[1:2]
	s_delay_alu instid0(VALU_DEP_1) | instskip(NEXT) | instid1(VALU_DEP_2)
	v_add_co_u32 v3, vcc_lo, s8, v3
	v_add_co_ci_u32_e32 v4, vcc_lo, s9, v4, vcc_lo
	global_store_b32 v[3:4], v10, off
	s_waitcnt lgkmcnt(0)
	v_add_nc_u32_e32 v14, 1, v14
	ds_store_b32 v5, v14 offset:12
.LBB165_22:                             ;   in Loop: Header=BB165_3 Depth=1
	s_or_b32 exec_lo, exec_lo, s0
.LBB165_23:                             ;   in Loop: Header=BB165_3 Depth=1
	s_and_not1_saveexec_b32 s0, s13
	s_cbranch_execz .LBB165_25
; %bb.24:                               ;   in Loop: Header=BB165_3 Depth=1
	ds_load_b32 v14, v5 offset:8
	v_lshlrev_b64 v[3:4], 2, v[1:2]
	s_delay_alu instid0(VALU_DEP_1) | instskip(NEXT) | instid1(VALU_DEP_2)
	v_add_co_u32 v3, vcc_lo, s8, v3
	v_add_co_ci_u32_e32 v4, vcc_lo, s9, v4, vcc_lo
	global_store_b32 v[3:4], v11, off
	s_waitcnt lgkmcnt(0)
	v_add_nc_u32_e32 v14, 1, v14
	ds_store_b32 v5, v14 offset:8
.LBB165_25:                             ;   in Loop: Header=BB165_3 Depth=1
	s_or_b32 exec_lo, exec_lo, s0
.LBB165_26:                             ;   in Loop: Header=BB165_3 Depth=1
	s_and_not1_saveexec_b32 s0, s12
	s_cbranch_execz .LBB165_28
; %bb.27:                               ;   in Loop: Header=BB165_3 Depth=1
	ds_load_b32 v14, v5 offset:4
	v_lshlrev_b64 v[3:4], 2, v[1:2]
	s_delay_alu instid0(VALU_DEP_1) | instskip(NEXT) | instid1(VALU_DEP_2)
	v_add_co_u32 v3, vcc_lo, s8, v3
	v_add_co_ci_u32_e32 v4, vcc_lo, s9, v4, vcc_lo
	global_store_b32 v[3:4], v12, off
	s_waitcnt lgkmcnt(0)
	v_add_nc_u32_e32 v14, 1, v14
	ds_store_b32 v5, v14 offset:4
.LBB165_28:                             ;   in Loop: Header=BB165_3 Depth=1
	s_or_b32 exec_lo, exec_lo, s0
.LBB165_29:                             ;   in Loop: Header=BB165_3 Depth=1
	s_and_not1_saveexec_b32 s0, s11
	s_cbranch_execz .LBB165_2
; %bb.30:                               ;   in Loop: Header=BB165_3 Depth=1
	ds_load_b32 v4, v5
	v_lshlrev_b64 v[2:3], 2, v[1:2]
	s_delay_alu instid0(VALU_DEP_1) | instskip(NEXT) | instid1(VALU_DEP_2)
	v_add_co_u32 v2, vcc_lo, s8, v2
	v_add_co_ci_u32_e32 v3, vcc_lo, s9, v3, vcc_lo
	global_store_b32 v[2:3], v13, off
	s_waitcnt lgkmcnt(0)
	v_add_nc_u32_e32 v4, 1, v4
	ds_store_b32 v5, v4
	s_branch .LBB165_2
.LBB165_31:
	s_or_b32 exec_lo, exec_lo, s5
	s_delay_alu instid0(SALU_CYCLE_1)
	s_mov_b32 s0, exec_lo
	s_waitcnt lgkmcnt(0)
	s_waitcnt_vscnt null, 0x0
	s_barrier
	buffer_gl0_inv
	s_barrier
	buffer_gl0_inv
	;; [unrolled: 2-line block ×3, first 2 shown]
	v_cmpx_gt_u32_e32 0x80, v0
	s_cbranch_execz .LBB165_33
; %bb.32:
	ds_load_b128 v[1:4], v5 offset:4096
	ds_load_b128 v[6:9], v5
	ds_load_b128 v[10:13], v5 offset:16
	ds_load_b128 v[14:17], v5 offset:4112
	s_waitcnt lgkmcnt(2)
	v_add_nc_u32_e32 v1, v6, v1
	v_add_nc_u32_e32 v2, v7, v2
	v_add_nc_u32_e32 v3, v8, v3
	v_add_nc_u32_e32 v4, v9, v4
	s_waitcnt lgkmcnt(0)
	v_add_nc_u32_e32 v6, v10, v14
	v_add_nc_u32_e32 v7, v11, v15
	v_add_nc_u32_e32 v8, v12, v16
	v_add_nc_u32_e32 v9, v13, v17
	ds_store_b128 v5, v[1:4]
	ds_store_b128 v5, v[6:9] offset:16
.LBB165_33:
	s_or_b32 exec_lo, exec_lo, s0
	s_delay_alu instid0(SALU_CYCLE_1)
	s_mov_b32 s0, exec_lo
	s_waitcnt lgkmcnt(0)
	s_barrier
	buffer_gl0_inv
	v_cmpx_gt_u32_e32 64, v0
	s_cbranch_execz .LBB165_35
; %bb.34:
	ds_load_b128 v[1:4], v5 offset:2048
	ds_load_b128 v[6:9], v5
	ds_load_b128 v[10:13], v5 offset:16
	ds_load_b128 v[14:17], v5 offset:2064
	s_waitcnt lgkmcnt(2)
	v_add_nc_u32_e32 v1, v6, v1
	v_add_nc_u32_e32 v2, v7, v2
	v_add_nc_u32_e32 v3, v8, v3
	v_add_nc_u32_e32 v4, v9, v4
	s_waitcnt lgkmcnt(0)
	v_add_nc_u32_e32 v6, v10, v14
	v_add_nc_u32_e32 v7, v11, v15
	v_add_nc_u32_e32 v8, v12, v16
	v_add_nc_u32_e32 v9, v13, v17
	ds_store_b128 v5, v[1:4]
	ds_store_b128 v5, v[6:9] offset:16
.LBB165_35:
	s_or_b32 exec_lo, exec_lo, s0
	s_delay_alu instid0(SALU_CYCLE_1)
	s_mov_b32 s0, exec_lo
	s_waitcnt lgkmcnt(0)
	s_barrier
	buffer_gl0_inv
	;; [unrolled: 26-line block ×3, first 2 shown]
	v_cmpx_gt_u32_e32 16, v0
	s_cbranch_execz .LBB165_39
; %bb.38:
	ds_load_b128 v[1:4], v5 offset:512
	ds_load_b128 v[6:9], v5
	ds_load_b128 v[10:13], v5 offset:16
	ds_load_b128 v[14:17], v5 offset:528
	s_waitcnt lgkmcnt(2)
	v_add_nc_u32_e32 v1, v6, v1
	v_add_nc_u32_e32 v2, v7, v2
	;; [unrolled: 1-line block ×4, first 2 shown]
	s_waitcnt lgkmcnt(0)
	v_add_nc_u32_e32 v6, v10, v14
	v_add_nc_u32_e32 v7, v11, v15
	;; [unrolled: 1-line block ×4, first 2 shown]
	ds_store_b128 v5, v[1:4]
	ds_store_b128 v5, v[6:9] offset:16
.LBB165_39:
	s_or_b32 exec_lo, exec_lo, s0
	v_cmp_gt_u32_e32 vcc_lo, 8, v0
	s_waitcnt lgkmcnt(0)
	s_barrier
	buffer_gl0_inv
	s_and_saveexec_b32 s0, vcc_lo
	s_cbranch_execz .LBB165_41
; %bb.40:
	ds_load_b128 v[1:4], v5 offset:256
	ds_load_b128 v[6:9], v5
	ds_load_b128 v[10:13], v5 offset:16
	ds_load_b128 v[14:17], v5 offset:272
	s_waitcnt lgkmcnt(2)
	v_add_nc_u32_e32 v1, v6, v1
	v_add_nc_u32_e32 v2, v7, v2
	;; [unrolled: 1-line block ×4, first 2 shown]
	s_waitcnt lgkmcnt(0)
	v_add_nc_u32_e32 v6, v10, v14
	v_add_nc_u32_e32 v7, v11, v15
	;; [unrolled: 1-line block ×4, first 2 shown]
	ds_store_b128 v5, v[1:4]
	ds_store_b128 v5, v[6:9] offset:16
.LBB165_41:
	s_or_b32 exec_lo, exec_lo, s0
	s_delay_alu instid0(SALU_CYCLE_1)
	s_mov_b32 s1, exec_lo
	s_waitcnt lgkmcnt(0)
	s_barrier
	buffer_gl0_inv
	v_cmpx_gt_u32_e32 4, v0
	s_cbranch_execz .LBB165_43
; %bb.42:
	ds_load_b128 v[1:4], v5 offset:128
	ds_load_b128 v[6:9], v5
	ds_load_b128 v[10:13], v5 offset:16
	ds_load_b128 v[14:17], v5 offset:144
	s_waitcnt lgkmcnt(2)
	v_add_nc_u32_e32 v1, v6, v1
	v_add_nc_u32_e32 v2, v7, v2
	;; [unrolled: 1-line block ×4, first 2 shown]
	s_waitcnt lgkmcnt(0)
	v_add_nc_u32_e32 v6, v10, v14
	v_add_nc_u32_e32 v7, v11, v15
	;; [unrolled: 1-line block ×4, first 2 shown]
	ds_store_b128 v5, v[1:4]
	ds_store_b128 v5, v[6:9] offset:16
.LBB165_43:
	s_or_b32 exec_lo, exec_lo, s1
	s_delay_alu instid0(SALU_CYCLE_1)
	s_mov_b32 s1, exec_lo
	s_waitcnt lgkmcnt(0)
	s_barrier
	buffer_gl0_inv
	v_cmpx_gt_u32_e32 2, v0
	s_cbranch_execz .LBB165_45
; %bb.44:
	ds_load_b128 v[1:4], v5 offset:64
	ds_load_b128 v[6:9], v5
	ds_load_b128 v[10:13], v5 offset:16
	ds_load_b128 v[14:17], v5 offset:80
	s_waitcnt lgkmcnt(2)
	v_add_nc_u32_e32 v1, v6, v1
	v_add_nc_u32_e32 v2, v7, v2
	;; [unrolled: 1-line block ×4, first 2 shown]
	s_waitcnt lgkmcnt(0)
	v_add_nc_u32_e32 v6, v10, v14
	v_add_nc_u32_e32 v7, v11, v15
	;; [unrolled: 1-line block ×4, first 2 shown]
	ds_store_b128 v5, v[1:4]
	ds_store_b128 v5, v[6:9] offset:16
.LBB165_45:
	s_or_b32 exec_lo, exec_lo, s1
	s_delay_alu instid0(SALU_CYCLE_1)
	s_mov_b32 s1, exec_lo
	s_waitcnt lgkmcnt(0)
	s_barrier
	buffer_gl0_inv
	v_cmpx_eq_u32_e32 0, v0
	s_cbranch_execz .LBB165_47
; %bb.46:
	v_mov_b32_e32 v17, 0
	ds_load_b128 v[1:4], v17 offset:32
	ds_load_b128 v[5:8], v17
	ds_load_b128 v[9:12], v17 offset:16
	ds_load_b128 v[13:16], v17 offset:48
	s_waitcnt lgkmcnt(2)
	v_add_nc_u32_e32 v2, v6, v2
	v_add_nc_u32_e32 v1, v5, v1
	;; [unrolled: 1-line block ×4, first 2 shown]
	s_waitcnt lgkmcnt(0)
	v_add_nc_u32_e32 v5, v9, v13
	v_add_nc_u32_e32 v6, v10, v14
	;; [unrolled: 1-line block ×4, first 2 shown]
	ds_store_b128 v17, v[1:4]
	ds_store_b128 v17, v[5:8] offset:16
.LBB165_47:
	s_or_b32 exec_lo, exec_lo, s1
	s_waitcnt lgkmcnt(0)
	s_barrier
	buffer_gl0_inv
	s_and_saveexec_b32 s0, vcc_lo
	s_cbranch_execz .LBB165_49
; %bb.48:
	v_lshlrev_b32_e32 v1, 2, v0
	v_lshl_or_b32 v0, s15, 3, v0
	ds_load_b32 v2, v1
	v_mov_b32_e32 v1, 0
	s_delay_alu instid0(VALU_DEP_1) | instskip(NEXT) | instid1(VALU_DEP_1)
	v_lshlrev_b64 v[0:1], 2, v[0:1]
	v_add_co_u32 v0, vcc_lo, s2, v0
	s_delay_alu instid0(VALU_DEP_2)
	v_add_co_ci_u32_e32 v1, vcc_lo, s3, v1, vcc_lo
	s_waitcnt lgkmcnt(0)
	global_store_b32 v[0:1], v2, off
.LBB165_49:
	s_nop 0
	s_sendmsg sendmsg(MSG_DEALLOC_VGPRS)
	s_endpgm
	.section	.rodata,"a",@progbits
	.p2align	6, 0x0
	.amdhsa_kernel _ZN9rocsparseL26bsrgemm_group_reduce_part2ILj256ELj8ELj2EfliEEvT4_PKT3_PS1_Pi
		.amdhsa_group_segment_fixed_size 8192
		.amdhsa_private_segment_fixed_size 0
		.amdhsa_kernarg_size 288
		.amdhsa_user_sgpr_count 15
		.amdhsa_user_sgpr_dispatch_ptr 0
		.amdhsa_user_sgpr_queue_ptr 0
		.amdhsa_user_sgpr_kernarg_segment_ptr 1
		.amdhsa_user_sgpr_dispatch_id 0
		.amdhsa_user_sgpr_private_segment_size 0
		.amdhsa_wavefront_size32 1
		.amdhsa_uses_dynamic_stack 0
		.amdhsa_enable_private_segment 0
		.amdhsa_system_sgpr_workgroup_id_x 1
		.amdhsa_system_sgpr_workgroup_id_y 0
		.amdhsa_system_sgpr_workgroup_id_z 0
		.amdhsa_system_sgpr_workgroup_info 0
		.amdhsa_system_vgpr_workitem_id 0
		.amdhsa_next_free_vgpr 18
		.amdhsa_next_free_sgpr 18
		.amdhsa_reserve_vcc 1
		.amdhsa_float_round_mode_32 0
		.amdhsa_float_round_mode_16_64 0
		.amdhsa_float_denorm_mode_32 3
		.amdhsa_float_denorm_mode_16_64 3
		.amdhsa_dx10_clamp 1
		.amdhsa_ieee_mode 1
		.amdhsa_fp16_overflow 0
		.amdhsa_workgroup_processor_mode 1
		.amdhsa_memory_ordered 1
		.amdhsa_forward_progress 0
		.amdhsa_shared_vgpr_count 0
		.amdhsa_exception_fp_ieee_invalid_op 0
		.amdhsa_exception_fp_denorm_src 0
		.amdhsa_exception_fp_ieee_div_zero 0
		.amdhsa_exception_fp_ieee_overflow 0
		.amdhsa_exception_fp_ieee_underflow 0
		.amdhsa_exception_fp_ieee_inexact 0
		.amdhsa_exception_int_div_zero 0
	.end_amdhsa_kernel
	.section	.text._ZN9rocsparseL26bsrgemm_group_reduce_part2ILj256ELj8ELj2EfliEEvT4_PKT3_PS1_Pi,"axG",@progbits,_ZN9rocsparseL26bsrgemm_group_reduce_part2ILj256ELj8ELj2EfliEEvT4_PKT3_PS1_Pi,comdat
.Lfunc_end165:
	.size	_ZN9rocsparseL26bsrgemm_group_reduce_part2ILj256ELj8ELj2EfliEEvT4_PKT3_PS1_Pi, .Lfunc_end165-_ZN9rocsparseL26bsrgemm_group_reduce_part2ILj256ELj8ELj2EfliEEvT4_PKT3_PS1_Pi
                                        ; -- End function
	.section	.AMDGPU.csdata,"",@progbits
; Kernel info:
; codeLenInByte = 2032
; NumSgprs: 20
; NumVgprs: 18
; ScratchSize: 0
; MemoryBound: 0
; FloatMode: 240
; IeeeMode: 1
; LDSByteSize: 8192 bytes/workgroup (compile time only)
; SGPRBlocks: 2
; VGPRBlocks: 2
; NumSGPRsForWavesPerEU: 20
; NumVGPRsForWavesPerEU: 18
; Occupancy: 16
; WaveLimiterHint : 0
; COMPUTE_PGM_RSRC2:SCRATCH_EN: 0
; COMPUTE_PGM_RSRC2:USER_SGPR: 15
; COMPUTE_PGM_RSRC2:TRAP_HANDLER: 0
; COMPUTE_PGM_RSRC2:TGID_X_EN: 1
; COMPUTE_PGM_RSRC2:TGID_Y_EN: 0
; COMPUTE_PGM_RSRC2:TGID_Z_EN: 0
; COMPUTE_PGM_RSRC2:TIDIG_COMP_CNT: 0
	.section	.text._ZN9rocsparseL26bsrgemm_group_reduce_part2ILj256ELj8ELj8EfliEEvT4_PKT3_PS1_Pi,"axG",@progbits,_ZN9rocsparseL26bsrgemm_group_reduce_part2ILj256ELj8ELj8EfliEEvT4_PKT3_PS1_Pi,comdat
	.globl	_ZN9rocsparseL26bsrgemm_group_reduce_part2ILj256ELj8ELj8EfliEEvT4_PKT3_PS1_Pi ; -- Begin function _ZN9rocsparseL26bsrgemm_group_reduce_part2ILj256ELj8ELj8EfliEEvT4_PKT3_PS1_Pi
	.p2align	8
	.type	_ZN9rocsparseL26bsrgemm_group_reduce_part2ILj256ELj8ELj8EfliEEvT4_PKT3_PS1_Pi,@function
_ZN9rocsparseL26bsrgemm_group_reduce_part2ILj256ELj8ELj8EfliEEvT4_PKT3_PS1_Pi: ; @_ZN9rocsparseL26bsrgemm_group_reduce_part2ILj256ELj8ELj8EfliEEvT4_PKT3_PS1_Pi
; %bb.0:
	s_clause 0x1
	s_load_b32 s10, s[0:1], 0x0
	s_load_b64 s[2:3], s[0:1], 0x10
	s_mov_b32 s4, 0
	v_lshl_or_b32 v1, s15, 8, v0
	s_mov_b32 s7, s4
	s_mov_b32 s5, s4
	;; [unrolled: 1-line block ×3, first 2 shown]
	v_dual_mov_b32 v9, s7 :: v_dual_mov_b32 v6, s4
	v_dual_mov_b32 v8, s6 :: v_dual_lshlrev_b32 v5, 5, v0
	v_mov_b32_e32 v7, s5
	s_mov_b32 s5, exec_lo
	ds_store_b128 v5, v[6:9]
	ds_store_b128 v5, v[6:9] offset:16
	s_waitcnt lgkmcnt(0)
	buffer_gl0_inv
	v_cmpx_gt_i32_e64 s10, v1
	s_cbranch_execz .LBB166_31
; %bb.1:
	s_clause 0x2
	s_load_b32 s11, s[0:1], 0x20
	s_load_b64 s[6:7], s[0:1], 0x8
	s_load_b64 s[8:9], s[0:1], 0x18
	v_dual_mov_b32 v6, 7 :: v_dual_mov_b32 v7, 6
	v_dual_mov_b32 v8, 5 :: v_dual_mov_b32 v9, 4
	;; [unrolled: 1-line block ×4, first 2 shown]
	s_waitcnt lgkmcnt(0)
	s_lshl_b32 s1, s11, 8
	s_branch .LBB166_3
.LBB166_2:                              ;   in Loop: Header=BB166_3 Depth=1
	s_or_b32 exec_lo, exec_lo, s0
	v_add_nc_u32_e32 v1, s1, v1
	s_delay_alu instid0(VALU_DEP_1) | instskip(SKIP_1) | instid1(SALU_CYCLE_1)
	v_cmp_le_i32_e32 vcc_lo, s10, v1
	s_or_b32 s4, vcc_lo, s4
	s_and_not1_b32 exec_lo, exec_lo, s4
	s_cbranch_execz .LBB166_31
.LBB166_3:                              ; =>This Inner Loop Header: Depth=1
	v_ashrrev_i32_e32 v2, 31, v1
	s_mov_b32 s0, exec_lo
	s_delay_alu instid0(VALU_DEP_1) | instskip(NEXT) | instid1(VALU_DEP_1)
	v_lshlrev_b64 v[3:4], 3, v[1:2]
	v_add_co_u32 v3, vcc_lo, s6, v3
	s_delay_alu instid0(VALU_DEP_2) | instskip(SKIP_4) | instid1(VALU_DEP_1)
	v_add_co_ci_u32_e32 v4, vcc_lo, s7, v4, vcc_lo
	global_load_b128 v[14:17], v[3:4], off
	s_waitcnt vmcnt(0)
	v_sub_co_u32 v3, vcc_lo, v16, v14
	v_sub_co_ci_u32_e32 v4, vcc_lo, v17, v15, vcc_lo
	v_cmpx_lt_i64_e32 8, v[3:4]
	s_xor_b32 s11, exec_lo, s0
	s_cbranch_execz .LBB166_29
; %bb.4:                                ;   in Loop: Header=BB166_3 Depth=1
	s_mov_b32 s0, exec_lo
	v_cmpx_lt_u64_e32 16, v[3:4]
	s_xor_b32 s12, exec_lo, s0
	s_cbranch_execz .LBB166_26
; %bb.5:                                ;   in Loop: Header=BB166_3 Depth=1
	s_mov_b32 s0, exec_lo
	v_cmpx_lt_u64_e32 32, v[3:4]
	;; [unrolled: 5-line block ×5, first 2 shown]
	s_xor_b32 s17, exec_lo, s0
	s_cbranch_execz .LBB166_14
; %bb.9:                                ;   in Loop: Header=BB166_3 Depth=1
	v_lshlrev_b64 v[14:15], 2, v[1:2]
	v_cmp_lt_u64_e32 vcc_lo, 0x200, v[3:4]
	s_delay_alu instid0(VALU_DEP_2) | instskip(NEXT) | instid1(VALU_DEP_1)
	v_add_co_u32 v3, s0, s8, v14
	v_add_co_ci_u32_e64 v4, s0, s9, v15, s0
	s_and_saveexec_b32 s0, vcc_lo
	s_delay_alu instid0(SALU_CYCLE_1)
	s_xor_b32 s0, exec_lo, s0
	s_cbranch_execz .LBB166_11
; %bb.10:                               ;   in Loop: Header=BB166_3 Depth=1
	ds_load_b32 v14, v5 offset:28
	global_store_b32 v[3:4], v6, off
                                        ; implicit-def: $vgpr3_vgpr4
	s_waitcnt lgkmcnt(0)
	v_add_nc_u32_e32 v14, 1, v14
	ds_store_b32 v5, v14 offset:28
.LBB166_11:                             ;   in Loop: Header=BB166_3 Depth=1
	s_and_not1_saveexec_b32 s0, s0
	s_cbranch_execz .LBB166_13
; %bb.12:                               ;   in Loop: Header=BB166_3 Depth=1
	ds_load_b32 v14, v5 offset:24
	global_store_b32 v[3:4], v7, off
	s_waitcnt lgkmcnt(0)
	v_add_nc_u32_e32 v14, 1, v14
	ds_store_b32 v5, v14 offset:24
.LBB166_13:                             ;   in Loop: Header=BB166_3 Depth=1
	s_or_b32 exec_lo, exec_lo, s0
.LBB166_14:                             ;   in Loop: Header=BB166_3 Depth=1
	s_and_not1_saveexec_b32 s0, s17
	s_cbranch_execz .LBB166_16
; %bb.15:                               ;   in Loop: Header=BB166_3 Depth=1
	ds_load_b32 v14, v5 offset:20
	v_lshlrev_b64 v[3:4], 2, v[1:2]
	s_delay_alu instid0(VALU_DEP_1) | instskip(NEXT) | instid1(VALU_DEP_2)
	v_add_co_u32 v3, vcc_lo, s8, v3
	v_add_co_ci_u32_e32 v4, vcc_lo, s9, v4, vcc_lo
	global_store_b32 v[3:4], v8, off
	s_waitcnt lgkmcnt(0)
	v_add_nc_u32_e32 v14, 1, v14
	ds_store_b32 v5, v14 offset:20
.LBB166_16:                             ;   in Loop: Header=BB166_3 Depth=1
	s_or_b32 exec_lo, exec_lo, s0
.LBB166_17:                             ;   in Loop: Header=BB166_3 Depth=1
	s_and_not1_saveexec_b32 s0, s16
	s_cbranch_execz .LBB166_19
; %bb.18:                               ;   in Loop: Header=BB166_3 Depth=1
	ds_load_b32 v14, v5 offset:16
	v_lshlrev_b64 v[3:4], 2, v[1:2]
	s_delay_alu instid0(VALU_DEP_1) | instskip(NEXT) | instid1(VALU_DEP_2)
	v_add_co_u32 v3, vcc_lo, s8, v3
	v_add_co_ci_u32_e32 v4, vcc_lo, s9, v4, vcc_lo
	global_store_b32 v[3:4], v9, off
	s_waitcnt lgkmcnt(0)
	v_add_nc_u32_e32 v14, 1, v14
	ds_store_b32 v5, v14 offset:16
.LBB166_19:                             ;   in Loop: Header=BB166_3 Depth=1
	s_or_b32 exec_lo, exec_lo, s0
.LBB166_20:                             ;   in Loop: Header=BB166_3 Depth=1
	s_and_not1_saveexec_b32 s0, s14
	s_cbranch_execz .LBB166_22
; %bb.21:                               ;   in Loop: Header=BB166_3 Depth=1
	ds_load_b32 v14, v5 offset:12
	v_lshlrev_b64 v[3:4], 2, v[1:2]
	s_delay_alu instid0(VALU_DEP_1) | instskip(NEXT) | instid1(VALU_DEP_2)
	v_add_co_u32 v3, vcc_lo, s8, v3
	v_add_co_ci_u32_e32 v4, vcc_lo, s9, v4, vcc_lo
	global_store_b32 v[3:4], v10, off
	s_waitcnt lgkmcnt(0)
	v_add_nc_u32_e32 v14, 1, v14
	ds_store_b32 v5, v14 offset:12
.LBB166_22:                             ;   in Loop: Header=BB166_3 Depth=1
	s_or_b32 exec_lo, exec_lo, s0
.LBB166_23:                             ;   in Loop: Header=BB166_3 Depth=1
	s_and_not1_saveexec_b32 s0, s13
	s_cbranch_execz .LBB166_25
; %bb.24:                               ;   in Loop: Header=BB166_3 Depth=1
	ds_load_b32 v14, v5 offset:8
	v_lshlrev_b64 v[3:4], 2, v[1:2]
	s_delay_alu instid0(VALU_DEP_1) | instskip(NEXT) | instid1(VALU_DEP_2)
	v_add_co_u32 v3, vcc_lo, s8, v3
	v_add_co_ci_u32_e32 v4, vcc_lo, s9, v4, vcc_lo
	global_store_b32 v[3:4], v11, off
	s_waitcnt lgkmcnt(0)
	v_add_nc_u32_e32 v14, 1, v14
	ds_store_b32 v5, v14 offset:8
.LBB166_25:                             ;   in Loop: Header=BB166_3 Depth=1
	s_or_b32 exec_lo, exec_lo, s0
.LBB166_26:                             ;   in Loop: Header=BB166_3 Depth=1
	s_and_not1_saveexec_b32 s0, s12
	s_cbranch_execz .LBB166_28
; %bb.27:                               ;   in Loop: Header=BB166_3 Depth=1
	ds_load_b32 v14, v5 offset:4
	v_lshlrev_b64 v[3:4], 2, v[1:2]
	s_delay_alu instid0(VALU_DEP_1) | instskip(NEXT) | instid1(VALU_DEP_2)
	v_add_co_u32 v3, vcc_lo, s8, v3
	v_add_co_ci_u32_e32 v4, vcc_lo, s9, v4, vcc_lo
	global_store_b32 v[3:4], v12, off
	s_waitcnt lgkmcnt(0)
	v_add_nc_u32_e32 v14, 1, v14
	ds_store_b32 v5, v14 offset:4
.LBB166_28:                             ;   in Loop: Header=BB166_3 Depth=1
	s_or_b32 exec_lo, exec_lo, s0
.LBB166_29:                             ;   in Loop: Header=BB166_3 Depth=1
	s_and_not1_saveexec_b32 s0, s11
	s_cbranch_execz .LBB166_2
; %bb.30:                               ;   in Loop: Header=BB166_3 Depth=1
	ds_load_b32 v4, v5
	v_lshlrev_b64 v[2:3], 2, v[1:2]
	s_delay_alu instid0(VALU_DEP_1) | instskip(NEXT) | instid1(VALU_DEP_2)
	v_add_co_u32 v2, vcc_lo, s8, v2
	v_add_co_ci_u32_e32 v3, vcc_lo, s9, v3, vcc_lo
	global_store_b32 v[2:3], v13, off
	s_waitcnt lgkmcnt(0)
	v_add_nc_u32_e32 v4, 1, v4
	ds_store_b32 v5, v4
	s_branch .LBB166_2
.LBB166_31:
	s_or_b32 exec_lo, exec_lo, s5
	s_delay_alu instid0(SALU_CYCLE_1)
	s_mov_b32 s0, exec_lo
	s_waitcnt lgkmcnt(0)
	s_waitcnt_vscnt null, 0x0
	s_barrier
	buffer_gl0_inv
	s_barrier
	buffer_gl0_inv
	;; [unrolled: 2-line block ×3, first 2 shown]
	v_cmpx_gt_u32_e32 0x80, v0
	s_cbranch_execz .LBB166_33
; %bb.32:
	ds_load_b128 v[1:4], v5 offset:4096
	ds_load_b128 v[6:9], v5
	ds_load_b128 v[10:13], v5 offset:16
	ds_load_b128 v[14:17], v5 offset:4112
	s_waitcnt lgkmcnt(2)
	v_add_nc_u32_e32 v1, v6, v1
	v_add_nc_u32_e32 v2, v7, v2
	v_add_nc_u32_e32 v3, v8, v3
	v_add_nc_u32_e32 v4, v9, v4
	s_waitcnt lgkmcnt(0)
	v_add_nc_u32_e32 v6, v10, v14
	v_add_nc_u32_e32 v7, v11, v15
	v_add_nc_u32_e32 v8, v12, v16
	v_add_nc_u32_e32 v9, v13, v17
	ds_store_b128 v5, v[1:4]
	ds_store_b128 v5, v[6:9] offset:16
.LBB166_33:
	s_or_b32 exec_lo, exec_lo, s0
	s_delay_alu instid0(SALU_CYCLE_1)
	s_mov_b32 s0, exec_lo
	s_waitcnt lgkmcnt(0)
	s_barrier
	buffer_gl0_inv
	v_cmpx_gt_u32_e32 64, v0
	s_cbranch_execz .LBB166_35
; %bb.34:
	ds_load_b128 v[1:4], v5 offset:2048
	ds_load_b128 v[6:9], v5
	ds_load_b128 v[10:13], v5 offset:16
	ds_load_b128 v[14:17], v5 offset:2064
	s_waitcnt lgkmcnt(2)
	v_add_nc_u32_e32 v1, v6, v1
	v_add_nc_u32_e32 v2, v7, v2
	v_add_nc_u32_e32 v3, v8, v3
	v_add_nc_u32_e32 v4, v9, v4
	s_waitcnt lgkmcnt(0)
	v_add_nc_u32_e32 v6, v10, v14
	v_add_nc_u32_e32 v7, v11, v15
	v_add_nc_u32_e32 v8, v12, v16
	v_add_nc_u32_e32 v9, v13, v17
	ds_store_b128 v5, v[1:4]
	ds_store_b128 v5, v[6:9] offset:16
.LBB166_35:
	s_or_b32 exec_lo, exec_lo, s0
	s_delay_alu instid0(SALU_CYCLE_1)
	s_mov_b32 s0, exec_lo
	s_waitcnt lgkmcnt(0)
	s_barrier
	buffer_gl0_inv
	;; [unrolled: 26-line block ×3, first 2 shown]
	v_cmpx_gt_u32_e32 16, v0
	s_cbranch_execz .LBB166_39
; %bb.38:
	ds_load_b128 v[1:4], v5 offset:512
	ds_load_b128 v[6:9], v5
	ds_load_b128 v[10:13], v5 offset:16
	ds_load_b128 v[14:17], v5 offset:528
	s_waitcnt lgkmcnt(2)
	v_add_nc_u32_e32 v1, v6, v1
	v_add_nc_u32_e32 v2, v7, v2
	;; [unrolled: 1-line block ×4, first 2 shown]
	s_waitcnt lgkmcnt(0)
	v_add_nc_u32_e32 v6, v10, v14
	v_add_nc_u32_e32 v7, v11, v15
	;; [unrolled: 1-line block ×4, first 2 shown]
	ds_store_b128 v5, v[1:4]
	ds_store_b128 v5, v[6:9] offset:16
.LBB166_39:
	s_or_b32 exec_lo, exec_lo, s0
	v_cmp_gt_u32_e32 vcc_lo, 8, v0
	s_waitcnt lgkmcnt(0)
	s_barrier
	buffer_gl0_inv
	s_and_saveexec_b32 s0, vcc_lo
	s_cbranch_execz .LBB166_41
; %bb.40:
	ds_load_b128 v[1:4], v5 offset:256
	ds_load_b128 v[6:9], v5
	ds_load_b128 v[10:13], v5 offset:16
	ds_load_b128 v[14:17], v5 offset:272
	s_waitcnt lgkmcnt(2)
	v_add_nc_u32_e32 v1, v6, v1
	v_add_nc_u32_e32 v2, v7, v2
	;; [unrolled: 1-line block ×4, first 2 shown]
	s_waitcnt lgkmcnt(0)
	v_add_nc_u32_e32 v6, v10, v14
	v_add_nc_u32_e32 v7, v11, v15
	;; [unrolled: 1-line block ×4, first 2 shown]
	ds_store_b128 v5, v[1:4]
	ds_store_b128 v5, v[6:9] offset:16
.LBB166_41:
	s_or_b32 exec_lo, exec_lo, s0
	s_delay_alu instid0(SALU_CYCLE_1)
	s_mov_b32 s1, exec_lo
	s_waitcnt lgkmcnt(0)
	s_barrier
	buffer_gl0_inv
	v_cmpx_gt_u32_e32 4, v0
	s_cbranch_execz .LBB166_43
; %bb.42:
	ds_load_b128 v[1:4], v5 offset:128
	ds_load_b128 v[6:9], v5
	ds_load_b128 v[10:13], v5 offset:16
	ds_load_b128 v[14:17], v5 offset:144
	s_waitcnt lgkmcnt(2)
	v_add_nc_u32_e32 v1, v6, v1
	v_add_nc_u32_e32 v2, v7, v2
	;; [unrolled: 1-line block ×4, first 2 shown]
	s_waitcnt lgkmcnt(0)
	v_add_nc_u32_e32 v6, v10, v14
	v_add_nc_u32_e32 v7, v11, v15
	;; [unrolled: 1-line block ×4, first 2 shown]
	ds_store_b128 v5, v[1:4]
	ds_store_b128 v5, v[6:9] offset:16
.LBB166_43:
	s_or_b32 exec_lo, exec_lo, s1
	s_delay_alu instid0(SALU_CYCLE_1)
	s_mov_b32 s1, exec_lo
	s_waitcnt lgkmcnt(0)
	s_barrier
	buffer_gl0_inv
	v_cmpx_gt_u32_e32 2, v0
	s_cbranch_execz .LBB166_45
; %bb.44:
	ds_load_b128 v[1:4], v5 offset:64
	ds_load_b128 v[6:9], v5
	ds_load_b128 v[10:13], v5 offset:16
	ds_load_b128 v[14:17], v5 offset:80
	s_waitcnt lgkmcnt(2)
	v_add_nc_u32_e32 v1, v6, v1
	v_add_nc_u32_e32 v2, v7, v2
	;; [unrolled: 1-line block ×4, first 2 shown]
	s_waitcnt lgkmcnt(0)
	v_add_nc_u32_e32 v6, v10, v14
	v_add_nc_u32_e32 v7, v11, v15
	;; [unrolled: 1-line block ×4, first 2 shown]
	ds_store_b128 v5, v[1:4]
	ds_store_b128 v5, v[6:9] offset:16
.LBB166_45:
	s_or_b32 exec_lo, exec_lo, s1
	s_delay_alu instid0(SALU_CYCLE_1)
	s_mov_b32 s1, exec_lo
	s_waitcnt lgkmcnt(0)
	s_barrier
	buffer_gl0_inv
	v_cmpx_eq_u32_e32 0, v0
	s_cbranch_execz .LBB166_47
; %bb.46:
	v_mov_b32_e32 v17, 0
	ds_load_b128 v[1:4], v17 offset:32
	ds_load_b128 v[5:8], v17
	ds_load_b128 v[9:12], v17 offset:16
	ds_load_b128 v[13:16], v17 offset:48
	s_waitcnt lgkmcnt(2)
	v_add_nc_u32_e32 v2, v6, v2
	v_add_nc_u32_e32 v1, v5, v1
	;; [unrolled: 1-line block ×4, first 2 shown]
	s_waitcnt lgkmcnt(0)
	v_add_nc_u32_e32 v5, v9, v13
	v_add_nc_u32_e32 v6, v10, v14
	;; [unrolled: 1-line block ×4, first 2 shown]
	ds_store_b128 v17, v[1:4]
	ds_store_b128 v17, v[5:8] offset:16
.LBB166_47:
	s_or_b32 exec_lo, exec_lo, s1
	s_waitcnt lgkmcnt(0)
	s_barrier
	buffer_gl0_inv
	s_and_saveexec_b32 s0, vcc_lo
	s_cbranch_execz .LBB166_49
; %bb.48:
	v_lshlrev_b32_e32 v1, 2, v0
	v_lshl_or_b32 v0, s15, 3, v0
	ds_load_b32 v2, v1
	v_mov_b32_e32 v1, 0
	s_delay_alu instid0(VALU_DEP_1) | instskip(NEXT) | instid1(VALU_DEP_1)
	v_lshlrev_b64 v[0:1], 2, v[0:1]
	v_add_co_u32 v0, vcc_lo, s2, v0
	s_delay_alu instid0(VALU_DEP_2)
	v_add_co_ci_u32_e32 v1, vcc_lo, s3, v1, vcc_lo
	s_waitcnt lgkmcnt(0)
	global_store_b32 v[0:1], v2, off
.LBB166_49:
	s_nop 0
	s_sendmsg sendmsg(MSG_DEALLOC_VGPRS)
	s_endpgm
	.section	.rodata,"a",@progbits
	.p2align	6, 0x0
	.amdhsa_kernel _ZN9rocsparseL26bsrgemm_group_reduce_part2ILj256ELj8ELj8EfliEEvT4_PKT3_PS1_Pi
		.amdhsa_group_segment_fixed_size 8192
		.amdhsa_private_segment_fixed_size 0
		.amdhsa_kernarg_size 288
		.amdhsa_user_sgpr_count 15
		.amdhsa_user_sgpr_dispatch_ptr 0
		.amdhsa_user_sgpr_queue_ptr 0
		.amdhsa_user_sgpr_kernarg_segment_ptr 1
		.amdhsa_user_sgpr_dispatch_id 0
		.amdhsa_user_sgpr_private_segment_size 0
		.amdhsa_wavefront_size32 1
		.amdhsa_uses_dynamic_stack 0
		.amdhsa_enable_private_segment 0
		.amdhsa_system_sgpr_workgroup_id_x 1
		.amdhsa_system_sgpr_workgroup_id_y 0
		.amdhsa_system_sgpr_workgroup_id_z 0
		.amdhsa_system_sgpr_workgroup_info 0
		.amdhsa_system_vgpr_workitem_id 0
		.amdhsa_next_free_vgpr 18
		.amdhsa_next_free_sgpr 18
		.amdhsa_reserve_vcc 1
		.amdhsa_float_round_mode_32 0
		.amdhsa_float_round_mode_16_64 0
		.amdhsa_float_denorm_mode_32 3
		.amdhsa_float_denorm_mode_16_64 3
		.amdhsa_dx10_clamp 1
		.amdhsa_ieee_mode 1
		.amdhsa_fp16_overflow 0
		.amdhsa_workgroup_processor_mode 1
		.amdhsa_memory_ordered 1
		.amdhsa_forward_progress 0
		.amdhsa_shared_vgpr_count 0
		.amdhsa_exception_fp_ieee_invalid_op 0
		.amdhsa_exception_fp_denorm_src 0
		.amdhsa_exception_fp_ieee_div_zero 0
		.amdhsa_exception_fp_ieee_overflow 0
		.amdhsa_exception_fp_ieee_underflow 0
		.amdhsa_exception_fp_ieee_inexact 0
		.amdhsa_exception_int_div_zero 0
	.end_amdhsa_kernel
	.section	.text._ZN9rocsparseL26bsrgemm_group_reduce_part2ILj256ELj8ELj8EfliEEvT4_PKT3_PS1_Pi,"axG",@progbits,_ZN9rocsparseL26bsrgemm_group_reduce_part2ILj256ELj8ELj8EfliEEvT4_PKT3_PS1_Pi,comdat
.Lfunc_end166:
	.size	_ZN9rocsparseL26bsrgemm_group_reduce_part2ILj256ELj8ELj8EfliEEvT4_PKT3_PS1_Pi, .Lfunc_end166-_ZN9rocsparseL26bsrgemm_group_reduce_part2ILj256ELj8ELj8EfliEEvT4_PKT3_PS1_Pi
                                        ; -- End function
	.section	.AMDGPU.csdata,"",@progbits
; Kernel info:
; codeLenInByte = 2032
; NumSgprs: 20
; NumVgprs: 18
; ScratchSize: 0
; MemoryBound: 0
; FloatMode: 240
; IeeeMode: 1
; LDSByteSize: 8192 bytes/workgroup (compile time only)
; SGPRBlocks: 2
; VGPRBlocks: 2
; NumSGPRsForWavesPerEU: 20
; NumVGPRsForWavesPerEU: 18
; Occupancy: 16
; WaveLimiterHint : 0
; COMPUTE_PGM_RSRC2:SCRATCH_EN: 0
; COMPUTE_PGM_RSRC2:USER_SGPR: 15
; COMPUTE_PGM_RSRC2:TRAP_HANDLER: 0
; COMPUTE_PGM_RSRC2:TGID_X_EN: 1
; COMPUTE_PGM_RSRC2:TGID_Y_EN: 0
; COMPUTE_PGM_RSRC2:TGID_Z_EN: 0
; COMPUTE_PGM_RSRC2:TIDIG_COMP_CNT: 0
	.section	.text._ZN9rocsparseL27bsrgemm_fill_wf_per_row_2x2ILj256ELj16ELj8ELj137ElifEEv20rocsparse_direction_T4_S2_PKS2_S4_NS_24const_host_device_scalarIT5_EEPKT3_S4_PKS6_SA_S4_SC_S7_SA_S4_SC_SA_PS2_PS6_21rocsparse_index_base_SF_SF_SF_bbb,"axG",@progbits,_ZN9rocsparseL27bsrgemm_fill_wf_per_row_2x2ILj256ELj16ELj8ELj137ElifEEv20rocsparse_direction_T4_S2_PKS2_S4_NS_24const_host_device_scalarIT5_EEPKT3_S4_PKS6_SA_S4_SC_S7_SA_S4_SC_SA_PS2_PS6_21rocsparse_index_base_SF_SF_SF_bbb,comdat
	.globl	_ZN9rocsparseL27bsrgemm_fill_wf_per_row_2x2ILj256ELj16ELj8ELj137ElifEEv20rocsparse_direction_T4_S2_PKS2_S4_NS_24const_host_device_scalarIT5_EEPKT3_S4_PKS6_SA_S4_SC_S7_SA_S4_SC_SA_PS2_PS6_21rocsparse_index_base_SF_SF_SF_bbb ; -- Begin function _ZN9rocsparseL27bsrgemm_fill_wf_per_row_2x2ILj256ELj16ELj8ELj137ElifEEv20rocsparse_direction_T4_S2_PKS2_S4_NS_24const_host_device_scalarIT5_EEPKT3_S4_PKS6_SA_S4_SC_S7_SA_S4_SC_SA_PS2_PS6_21rocsparse_index_base_SF_SF_SF_bbb
	.p2align	8
	.type	_ZN9rocsparseL27bsrgemm_fill_wf_per_row_2x2ILj256ELj16ELj8ELj137ElifEEv20rocsparse_direction_T4_S2_PKS2_S4_NS_24const_host_device_scalarIT5_EEPKT3_S4_PKS6_SA_S4_SC_S7_SA_S4_SC_SA_PS2_PS6_21rocsparse_index_base_SF_SF_SF_bbb,@function
_ZN9rocsparseL27bsrgemm_fill_wf_per_row_2x2ILj256ELj16ELj8ELj137ElifEEv20rocsparse_direction_T4_S2_PKS2_S4_NS_24const_host_device_scalarIT5_EEPKT3_S4_PKS6_SA_S4_SC_S7_SA_S4_SC_SA_PS2_PS6_21rocsparse_index_base_SF_SF_SF_bbb: ; @_ZN9rocsparseL27bsrgemm_fill_wf_per_row_2x2ILj256ELj16ELj8ELj137ElifEEv20rocsparse_direction_T4_S2_PKS2_S4_NS_24const_host_device_scalarIT5_EEPKT3_S4_PKS6_SA_S4_SC_S7_SA_S4_SC_SA_PS2_PS6_21rocsparse_index_base_SF_SF_SF_bbb
; %bb.0:
	s_clause 0x2
	s_load_b32 s6, s[0:1], 0xa0
	s_load_b64 s[4:5], s[0:1], 0x20
	s_load_b64 s[2:3], s[0:1], 0x58
	s_waitcnt lgkmcnt(0)
	s_bitcmp1_b32 s6, 0
	s_cselect_b32 s13, -1, 0
	s_bitcmp1_b32 s6, 16
	s_cselect_b32 s7, -1, 0
	s_xor_b32 s8, s13, -1
	s_delay_alu instid0(SALU_CYCLE_1) | instskip(NEXT) | instid1(SALU_CYCLE_1)
	s_or_b32 s8, s8, s7
	s_and_b32 vcc_lo, exec_lo, s8
	s_cbranch_vccnz .LBB167_2
; %bb.1:
	s_load_b32 s4, s[4:5], 0x0
	s_waitcnt lgkmcnt(0)
	v_mov_b32_e32 v17, s4
	s_branch .LBB167_3
.LBB167_2:
	v_cndmask_b32_e64 v17, 0, s4, s13
.LBB167_3:
	s_load_b128 s[36:39], s[0:1], 0x90
	s_bitcmp1_b32 s6, 8
	s_cselect_b32 s12, -1, 0
	s_delay_alu instid0(SALU_CYCLE_1) | instskip(NEXT) | instid1(SALU_CYCLE_1)
	s_xor_b32 s4, s12, -1
	s_or_b32 s4, s4, s7
	s_delay_alu instid0(SALU_CYCLE_1)
	s_and_b32 vcc_lo, exec_lo, s4
	s_cbranch_vccnz .LBB167_5
; %bb.4:
	s_load_b32 s2, s[2:3], 0x0
	s_waitcnt lgkmcnt(0)
	v_mov_b32_e32 v15, s2
	s_branch .LBB167_6
.LBB167_5:
	v_cndmask_b32_e64 v15, 0, s2, s12
.LBB167_6:
	s_clause 0x4
	s_load_b128 s[40:43], s[0:1], 0x80
	s_load_b256 s[4:11], s[0:1], 0x60
	s_load_b128 s[44:47], s[0:1], 0x48
	s_load_b256 s[16:23], s[0:1], 0x0
	s_load_b256 s[24:31], s[0:1], 0x28
	v_lshrrev_b32_e32 v1, 4, v0
	v_and_b32_e32 v16, 15, v0
	s_delay_alu instid0(VALU_DEP_2) | instskip(NEXT) | instid1(VALU_DEP_2)
	v_lshl_or_b32 v12, v1, 5, 0x800
	v_cmp_gt_u32_e64 s0, 8, v16
	s_delay_alu instid0(VALU_DEP_1)
	s_and_saveexec_b32 s1, s0
	s_cbranch_execz .LBB167_8
; %bb.7:
	s_delay_alu instid0(VALU_DEP_2)
	v_lshl_add_u32 v0, v16, 2, v12
	s_waitcnt lgkmcnt(0)
	v_mov_b32_e32 v2, s18
	ds_store_b32 v0, v2
.LBB167_8:
	s_or_b32 exec_lo, exec_lo, s1
	v_lshlrev_b32_e32 v13, 2, v16
	v_or_b32_e32 v0, -16, v16
	v_mov_b32_e32 v3, 0
	s_mov_b32 s1, 0
	s_delay_alu instid0(VALU_DEP_3)
	v_lshl_or_b32 v2, v1, 7, v13
.LBB167_9:                              ; =>This Inner Loop Header: Depth=1
	s_delay_alu instid0(VALU_DEP_3) | instskip(NEXT) | instid1(VALU_DEP_1)
	v_add_co_u32 v0, s2, v0, 16
	s_xor_b32 s2, s2, -1
	ds_store_b32 v2, v3
	v_add_nc_u32_e32 v2, 64, v2
	s_and_b32 s2, exec_lo, s2
	s_delay_alu instid0(SALU_CYCLE_1) | instskip(NEXT) | instid1(SALU_CYCLE_1)
	s_or_b32 s1, s2, s1
	s_and_not1_b32 exec_lo, exec_lo, s1
	s_cbranch_execnz .LBB167_9
; %bb.10:
	s_or_b32 exec_lo, exec_lo, s1
	v_lshl_or_b32 v4, s15, 4, v1
	s_waitcnt lgkmcnt(0)
	s_barrier
	buffer_gl0_inv
	s_mov_b32 s1, exec_lo
	v_cmpx_gt_i32_e64 s17, v4
	s_cbranch_execz .LBB167_16
; %bb.11:
	s_cmp_eq_u64 s[22:23], 0
	s_cbranch_scc1 .LBB167_13
; %bb.12:
	s_load_b32 s1, s[20:21], 0x0
	s_waitcnt lgkmcnt(0)
	v_add_nc_u32_e32 v2, s1, v4
	s_delay_alu instid0(VALU_DEP_1) | instskip(NEXT) | instid1(VALU_DEP_1)
	v_ashrrev_i32_e32 v3, 31, v2
	v_lshlrev_b64 v[2:3], 2, v[2:3]
	s_delay_alu instid0(VALU_DEP_1) | instskip(NEXT) | instid1(VALU_DEP_2)
	v_add_co_u32 v2, vcc_lo, s22, v2
	v_add_co_ci_u32_e32 v3, vcc_lo, s23, v3, vcc_lo
	global_load_b32 v4, v[2:3], off
.LBB167_13:
	v_lshlrev_b32_e32 v14, 7, v1
	s_waitcnt vmcnt(0)
	v_ashrrev_i32_e32 v5, 31, v4
	s_and_not1_b32 vcc_lo, exec_lo, s13
	s_cbranch_vccz .LBB167_17
; %bb.14:
	s_and_not1_b32 vcc_lo, exec_lo, s12
	buffer_gl0_inv
	s_cbranch_vccz .LBB167_72
.LBB167_15:
	buffer_gl0_inv
	s_and_b32 exec_lo, exec_lo, s0
	s_cbranch_execnz .LBB167_124
.LBB167_16:
	s_endpgm
.LBB167_17:
	s_delay_alu instid0(VALU_DEP_1) | instskip(SKIP_1) | instid1(VALU_DEP_1)
	v_lshlrev_b64 v[0:1], 3, v[4:5]
	v_sub_co_u32 v8, s1, v16, s36
	v_sub_co_ci_u32_e64 v9, null, 0, 0, s1
	s_mov_b32 s2, 0
	s_delay_alu instid0(VALU_DEP_3) | instskip(NEXT) | instid1(VALU_DEP_4)
	v_add_co_u32 v0, vcc_lo, s24, v0
	v_add_co_ci_u32_e32 v1, vcc_lo, s25, v1, vcc_lo
	s_mov_b32 s1, exec_lo
	global_load_b128 v[0:3], v[0:1], off
	s_waitcnt vmcnt(0)
	v_sub_co_u32 v6, vcc_lo, v2, s36
	v_subrev_co_ci_u32_e32 v7, vcc_lo, 0, v3, vcc_lo
	v_add_co_u32 v8, vcc_lo, v0, v8
	v_add_co_ci_u32_e32 v9, vcc_lo, v1, v9, vcc_lo
	s_delay_alu instid0(VALU_DEP_1)
	v_cmpx_lt_i64_e64 v[8:9], v[6:7]
	s_cbranch_execz .LBB167_71
; %bb.18:
	v_add_nc_u32_e32 v18, 4, v14
	v_add_nc_u32_e32 v19, 8, v14
	;; [unrolled: 1-line block ×3, first 2 shown]
	s_cmp_eq_u32 s16, 0
	s_mov_b32 s3, s37
	s_cselect_b32 s13, 1, 2
	s_cselect_b32 s14, 2, 1
	s_branch .LBB167_20
.LBB167_19:                             ;   in Loop: Header=BB167_20 Depth=1
	s_or_b32 exec_lo, exec_lo, s15
	v_add_co_u32 v8, vcc_lo, v8, 16
	v_add_co_ci_u32_e32 v9, vcc_lo, 0, v9, vcc_lo
	s_delay_alu instid0(VALU_DEP_1) | instskip(SKIP_1) | instid1(SALU_CYCLE_1)
	v_cmp_ge_i64_e32 vcc_lo, v[8:9], v[6:7]
	s_or_b32 s2, vcc_lo, s2
	s_and_not1_b32 exec_lo, exec_lo, s2
	s_cbranch_execz .LBB167_71
.LBB167_20:                             ; =>This Loop Header: Depth=1
                                        ;     Child Loop BB167_23 Depth 2
                                        ;       Child Loop BB167_25 Depth 3
                                        ;       Child Loop BB167_37 Depth 3
	;; [unrolled: 1-line block ×4, first 2 shown]
	v_lshlrev_b64 v[10:11], 2, v[8:9]
	s_mov_b32 s15, exec_lo
	s_delay_alu instid0(VALU_DEP_1) | instskip(NEXT) | instid1(VALU_DEP_2)
	v_add_co_u32 v0, vcc_lo, s26, v10
	v_add_co_ci_u32_e32 v1, vcc_lo, s27, v11, vcc_lo
	global_load_b32 v0, v[0:1], off
	s_waitcnt vmcnt(0)
	v_subrev_nc_u32_e32 v0, s36, v0
	s_delay_alu instid0(VALU_DEP_1) | instskip(NEXT) | instid1(VALU_DEP_1)
	v_ashrrev_i32_e32 v1, 31, v0
	v_lshlrev_b64 v[0:1], 3, v[0:1]
	s_delay_alu instid0(VALU_DEP_1) | instskip(NEXT) | instid1(VALU_DEP_2)
	v_add_co_u32 v0, vcc_lo, s30, v0
	v_add_co_ci_u32_e32 v1, vcc_lo, s31, v1, vcc_lo
	global_load_b128 v[0:3], v[0:1], off
	s_waitcnt vmcnt(0)
	v_cmpx_lt_i64_e64 v[0:1], v[2:3]
	s_cbranch_execz .LBB167_19
; %bb.21:                               ;   in Loop: Header=BB167_20 Depth=1
	v_or_b32_e32 v22, 0, v11
	v_or_b32_e32 v21, s14, v10
	v_lshlrev_b64 v[23:24], 4, v[8:9]
	v_or_b32_e32 v11, 0, v11
	v_or_b32_e32 v10, s13, v10
	s_mov_b32 s17, 0
	v_lshlrev_b64 v[21:22], 2, v[21:22]
	s_delay_alu instid0(VALU_DEP_4) | instskip(NEXT) | instid1(VALU_DEP_3)
	v_add_co_u32 v23, vcc_lo, s28, v23
	v_lshlrev_b64 v[10:11], 2, v[10:11]
	v_add_co_ci_u32_e32 v24, vcc_lo, s29, v24, vcc_lo
	s_delay_alu instid0(VALU_DEP_4) | instskip(SKIP_1) | instid1(VALU_DEP_4)
	v_add_co_u32 v21, vcc_lo, s28, v21
	v_add_co_ci_u32_e32 v22, vcc_lo, s29, v22, vcc_lo
	v_add_co_u32 v10, vcc_lo, s28, v10
	v_add_co_ci_u32_e32 v11, vcc_lo, s29, v11, vcc_lo
	s_clause 0x3
	global_load_b32 v25, v[23:24], off offset:12
	global_load_b32 v21, v[21:22], off
	global_load_b32 v22, v[10:11], off
	;; [unrolled: 1-line block ×3, first 2 shown]
	v_sub_co_u32 v2, vcc_lo, v2, s3
	v_subrev_co_ci_u32_e32 v3, vcc_lo, 0, v3, vcc_lo
	v_sub_co_u32 v0, vcc_lo, v0, s3
	v_subrev_co_ci_u32_e32 v1, vcc_lo, 0, v1, vcc_lo
	s_waitcnt vmcnt(3)
	v_mul_f32_e32 v10, v17, v25
	s_waitcnt vmcnt(2)
	v_mul_f32_e32 v11, v17, v21
	;; [unrolled: 2-line block ×4, first 2 shown]
	s_branch .LBB167_23
.LBB167_22:                             ;   in Loop: Header=BB167_23 Depth=2
	s_or_b32 exec_lo, exec_lo, s19
	v_add_co_u32 v0, vcc_lo, v0, 1
	v_add_co_ci_u32_e32 v1, vcc_lo, 0, v1, vcc_lo
	s_delay_alu instid0(VALU_DEP_1) | instskip(SKIP_1) | instid1(SALU_CYCLE_1)
	v_cmp_ge_i64_e32 vcc_lo, v[0:1], v[2:3]
	s_or_b32 s17, vcc_lo, s17
	s_and_not1_b32 exec_lo, exec_lo, s17
	s_cbranch_execz .LBB167_19
.LBB167_23:                             ;   Parent Loop BB167_20 Depth=1
                                        ; =>  This Loop Header: Depth=2
                                        ;       Child Loop BB167_25 Depth 3
                                        ;       Child Loop BB167_37 Depth 3
	;; [unrolled: 1-line block ×4, first 2 shown]
	v_lshlrev_b64 v[23:24], 2, v[0:1]
	v_lshlrev_b64 v[29:30], 4, v[0:1]
	s_mov_b32 s19, 0
	s_delay_alu instid0(VALU_DEP_2) | instskip(NEXT) | instid1(VALU_DEP_3)
	v_or_b32_e32 v28, 0, v24
	v_or_b32_e32 v27, s14, v23
	;; [unrolled: 1-line block ×3, first 2 shown]
	v_add_co_u32 v23, vcc_lo, s44, v23
	v_or_b32_e32 v26, 0, v24
	s_delay_alu instid0(VALU_DEP_4) | instskip(SKIP_1) | instid1(VALU_DEP_3)
	v_lshlrev_b64 v[27:28], 2, v[27:28]
	v_add_co_ci_u32_e32 v24, vcc_lo, s45, v24, vcc_lo
	v_lshlrev_b64 v[25:26], 2, v[25:26]
	global_load_b32 v31, v[23:24], off
	v_add_co_u32 v23, vcc_lo, s46, v27
	v_add_co_ci_u32_e32 v24, vcc_lo, s47, v28, vcc_lo
	v_add_co_u32 v29, vcc_lo, s46, v29
	v_add_co_ci_u32_e32 v30, vcc_lo, s47, v30, vcc_lo
	global_load_b32 v27, v[23:24], off
	v_add_co_u32 v23, vcc_lo, s46, v25
	v_add_co_ci_u32_e32 v24, vcc_lo, s47, v26, vcc_lo
	s_clause 0x2
	global_load_b32 v28, v[29:30], off
	global_load_b32 v25, v[23:24], off
	global_load_b32 v26, v[29:30], off offset:12
	s_waitcnt vmcnt(4)
	v_subrev_nc_u32_e32 v23, s37, v31
	s_delay_alu instid0(VALU_DEP_1) | instskip(SKIP_1) | instid1(VALU_DEP_1)
	v_and_b32_e32 v24, 7, v23
	s_waitcnt vmcnt(3)
	v_dual_mul_f32 v29, v22, v27 :: v_dual_mov_b32 v30, v24
	s_waitcnt vmcnt(2)
	s_delay_alu instid0(VALU_DEP_1)
	v_fmac_f32_e32 v29, v21, v28
	s_branch .LBB167_25
.LBB167_24:                             ;   in Loop: Header=BB167_25 Depth=3
	s_or_b32 exec_lo, exec_lo, s20
	s_xor_b32 s20, s21, -1
	s_delay_alu instid0(SALU_CYCLE_1) | instskip(NEXT) | instid1(SALU_CYCLE_1)
	s_and_b32 s20, exec_lo, s20
	s_or_b32 s19, s20, s19
	s_delay_alu instid0(SALU_CYCLE_1)
	s_and_not1_b32 exec_lo, exec_lo, s19
	s_cbranch_execz .LBB167_35
.LBB167_25:                             ;   Parent Loop BB167_20 Depth=1
                                        ;     Parent Loop BB167_23 Depth=2
                                        ; =>    This Inner Loop Header: Depth=3
	s_delay_alu instid0(VALU_DEP_2)
	v_lshl_add_u32 v31, v30, 2, v12
	s_mov_b32 s20, exec_lo
                                        ; implicit-def: $sgpr21
	ds_load_b32 v32, v31
	s_waitcnt lgkmcnt(0)
	v_cmpx_ne_u32_e64 v32, v23
	s_xor_b32 s20, exec_lo, s20
	s_cbranch_execz .LBB167_33
; %bb.26:                               ;   in Loop: Header=BB167_25 Depth=3
	s_mov_b32 s22, exec_lo
                                        ; implicit-def: $sgpr21
	v_cmpx_ne_u32_e64 s18, v32
	s_xor_b32 s22, exec_lo, s22
; %bb.27:                               ;   in Loop: Header=BB167_25 Depth=3
	v_add_nc_u32_e32 v30, 1, v30
	s_mov_b32 s21, -1
                                        ; implicit-def: $vgpr31
	s_delay_alu instid0(VALU_DEP_1)
	v_and_b32_e32 v30, 7, v30
; %bb.28:                               ;   in Loop: Header=BB167_25 Depth=3
	s_and_not1_saveexec_b32 s22, s22
	s_cbranch_execz .LBB167_32
; %bb.29:                               ;   in Loop: Header=BB167_25 Depth=3
	v_mov_b32_e32 v32, s18
	s_mov_b32 s23, -1
	s_mov_b32 s24, exec_lo
	ds_cmpstore_rtn_b32 v31, v31, v23, v32
	s_waitcnt lgkmcnt(0)
	v_cmpx_eq_u32_e64 s18, v31
	s_cbranch_execz .LBB167_31
; %bb.30:                               ;   in Loop: Header=BB167_25 Depth=3
	v_lshl_add_u32 v31, v30, 4, v14
	s_xor_b32 s23, exec_lo, -1
	ds_add_f32 v31, v29
.LBB167_31:                             ;   in Loop: Header=BB167_25 Depth=3
	s_or_b32 exec_lo, exec_lo, s24
	s_delay_alu instid0(SALU_CYCLE_1) | instskip(SKIP_1) | instid1(SALU_CYCLE_1)
	s_and_not1_b32 s21, s21, exec_lo
	s_and_b32 s23, s23, exec_lo
	s_or_b32 s21, s21, s23
.LBB167_32:                             ;   in Loop: Header=BB167_25 Depth=3
	s_or_b32 exec_lo, exec_lo, s22
	s_delay_alu instid0(SALU_CYCLE_1)
	s_and_b32 s21, s21, exec_lo
.LBB167_33:                             ;   in Loop: Header=BB167_25 Depth=3
	s_and_not1_saveexec_b32 s20, s20
	s_cbranch_execz .LBB167_24
; %bb.34:                               ;   in Loop: Header=BB167_25 Depth=3
	v_lshl_add_u32 v31, v30, 4, v14
	s_and_not1_b32 s21, s21, exec_lo
	ds_add_f32 v31, v29
	s_branch .LBB167_24
.LBB167_35:                             ;   in Loop: Header=BB167_23 Depth=2
	s_or_b32 exec_lo, exec_lo, s19
	s_waitcnt vmcnt(0)
	v_dual_mul_f32 v29, v22, v26 :: v_dual_mov_b32 v30, v24
	s_mov_b32 s19, 0
	s_delay_alu instid0(VALU_DEP_1)
	v_fmac_f32_e32 v29, v21, v25
	s_branch .LBB167_37
.LBB167_36:                             ;   in Loop: Header=BB167_37 Depth=3
	s_or_b32 exec_lo, exec_lo, s20
	s_xor_b32 s20, s21, -1
	s_delay_alu instid0(SALU_CYCLE_1) | instskip(NEXT) | instid1(SALU_CYCLE_1)
	s_and_b32 s20, exec_lo, s20
	s_or_b32 s19, s20, s19
	s_delay_alu instid0(SALU_CYCLE_1)
	s_and_not1_b32 exec_lo, exec_lo, s19
	s_cbranch_execz .LBB167_47
.LBB167_37:                             ;   Parent Loop BB167_20 Depth=1
                                        ;     Parent Loop BB167_23 Depth=2
                                        ; =>    This Inner Loop Header: Depth=3
	s_delay_alu instid0(VALU_DEP_2)
	v_lshl_add_u32 v31, v30, 2, v12
	s_mov_b32 s20, exec_lo
                                        ; implicit-def: $sgpr21
	ds_load_b32 v32, v31
	s_waitcnt lgkmcnt(0)
	v_cmpx_ne_u32_e64 v32, v23
	s_xor_b32 s20, exec_lo, s20
	s_cbranch_execz .LBB167_45
; %bb.38:                               ;   in Loop: Header=BB167_37 Depth=3
	s_mov_b32 s22, exec_lo
                                        ; implicit-def: $sgpr21
	v_cmpx_ne_u32_e64 s18, v32
	s_xor_b32 s22, exec_lo, s22
; %bb.39:                               ;   in Loop: Header=BB167_37 Depth=3
	v_add_nc_u32_e32 v30, 1, v30
	s_mov_b32 s21, -1
                                        ; implicit-def: $vgpr31
	s_delay_alu instid0(VALU_DEP_1)
	v_and_b32_e32 v30, 7, v30
; %bb.40:                               ;   in Loop: Header=BB167_37 Depth=3
	s_and_not1_saveexec_b32 s22, s22
	s_cbranch_execz .LBB167_44
; %bb.41:                               ;   in Loop: Header=BB167_37 Depth=3
	v_mov_b32_e32 v32, s18
	s_mov_b32 s23, -1
	s_mov_b32 s24, exec_lo
	ds_cmpstore_rtn_b32 v31, v31, v23, v32
	s_waitcnt lgkmcnt(0)
	v_cmpx_eq_u32_e64 s18, v31
	s_cbranch_execz .LBB167_43
; %bb.42:                               ;   in Loop: Header=BB167_37 Depth=3
	v_lshl_add_u32 v31, v30, 4, v18
	s_xor_b32 s23, exec_lo, -1
	ds_add_f32 v31, v29
.LBB167_43:                             ;   in Loop: Header=BB167_37 Depth=3
	s_or_b32 exec_lo, exec_lo, s24
	s_delay_alu instid0(SALU_CYCLE_1) | instskip(SKIP_1) | instid1(SALU_CYCLE_1)
	s_and_not1_b32 s21, s21, exec_lo
	s_and_b32 s23, s23, exec_lo
	s_or_b32 s21, s21, s23
.LBB167_44:                             ;   in Loop: Header=BB167_37 Depth=3
	s_or_b32 exec_lo, exec_lo, s22
	s_delay_alu instid0(SALU_CYCLE_1)
	s_and_b32 s21, s21, exec_lo
.LBB167_45:                             ;   in Loop: Header=BB167_37 Depth=3
	s_and_not1_saveexec_b32 s20, s20
	s_cbranch_execz .LBB167_36
; %bb.46:                               ;   in Loop: Header=BB167_37 Depth=3
	v_lshl_add_u32 v31, v30, 4, v18
	s_and_not1_b32 s21, s21, exec_lo
	ds_add_f32 v31, v29
	s_branch .LBB167_36
.LBB167_47:                             ;   in Loop: Header=BB167_23 Depth=2
	s_or_b32 exec_lo, exec_lo, s19
	v_mul_f32_e32 v27, v10, v27
	s_mov_b32 s19, 0
	s_delay_alu instid0(VALU_DEP_1)
	v_dual_fmac_f32 v27, v11, v28 :: v_dual_mov_b32 v28, v24
	s_branch .LBB167_49
.LBB167_48:                             ;   in Loop: Header=BB167_49 Depth=3
	s_or_b32 exec_lo, exec_lo, s20
	s_xor_b32 s20, s21, -1
	s_delay_alu instid0(SALU_CYCLE_1) | instskip(NEXT) | instid1(SALU_CYCLE_1)
	s_and_b32 s20, exec_lo, s20
	s_or_b32 s19, s20, s19
	s_delay_alu instid0(SALU_CYCLE_1)
	s_and_not1_b32 exec_lo, exec_lo, s19
	s_cbranch_execz .LBB167_59
.LBB167_49:                             ;   Parent Loop BB167_20 Depth=1
                                        ;     Parent Loop BB167_23 Depth=2
                                        ; =>    This Inner Loop Header: Depth=3
	s_delay_alu instid0(VALU_DEP_1)
	v_lshl_add_u32 v29, v28, 2, v12
	s_mov_b32 s20, exec_lo
                                        ; implicit-def: $sgpr21
	ds_load_b32 v30, v29
	s_waitcnt lgkmcnt(0)
	v_cmpx_ne_u32_e64 v30, v23
	s_xor_b32 s20, exec_lo, s20
	s_cbranch_execz .LBB167_57
; %bb.50:                               ;   in Loop: Header=BB167_49 Depth=3
	s_mov_b32 s22, exec_lo
                                        ; implicit-def: $sgpr21
	v_cmpx_ne_u32_e64 s18, v30
	s_xor_b32 s22, exec_lo, s22
; %bb.51:                               ;   in Loop: Header=BB167_49 Depth=3
	v_add_nc_u32_e32 v28, 1, v28
	s_mov_b32 s21, -1
                                        ; implicit-def: $vgpr29
	s_delay_alu instid0(VALU_DEP_1)
	v_and_b32_e32 v28, 7, v28
; %bb.52:                               ;   in Loop: Header=BB167_49 Depth=3
	s_and_not1_saveexec_b32 s22, s22
	s_cbranch_execz .LBB167_56
; %bb.53:                               ;   in Loop: Header=BB167_49 Depth=3
	v_mov_b32_e32 v30, s18
	s_mov_b32 s23, -1
	s_mov_b32 s24, exec_lo
	ds_cmpstore_rtn_b32 v29, v29, v23, v30
	s_waitcnt lgkmcnt(0)
	v_cmpx_eq_u32_e64 s18, v29
	s_cbranch_execz .LBB167_55
; %bb.54:                               ;   in Loop: Header=BB167_49 Depth=3
	v_lshl_add_u32 v29, v28, 4, v19
	s_xor_b32 s23, exec_lo, -1
	ds_add_f32 v29, v27
.LBB167_55:                             ;   in Loop: Header=BB167_49 Depth=3
	s_or_b32 exec_lo, exec_lo, s24
	s_delay_alu instid0(SALU_CYCLE_1) | instskip(SKIP_1) | instid1(SALU_CYCLE_1)
	s_and_not1_b32 s21, s21, exec_lo
	s_and_b32 s23, s23, exec_lo
	s_or_b32 s21, s21, s23
.LBB167_56:                             ;   in Loop: Header=BB167_49 Depth=3
	s_or_b32 exec_lo, exec_lo, s22
	s_delay_alu instid0(SALU_CYCLE_1)
	s_and_b32 s21, s21, exec_lo
.LBB167_57:                             ;   in Loop: Header=BB167_49 Depth=3
	s_and_not1_saveexec_b32 s20, s20
	s_cbranch_execz .LBB167_48
; %bb.58:                               ;   in Loop: Header=BB167_49 Depth=3
	v_lshl_add_u32 v29, v28, 4, v19
	s_and_not1_b32 s21, s21, exec_lo
	ds_add_f32 v29, v27
	s_branch .LBB167_48
.LBB167_59:                             ;   in Loop: Header=BB167_23 Depth=2
	s_or_b32 exec_lo, exec_lo, s19
	v_mul_f32_e32 v26, v10, v26
	s_mov_b32 s19, 0
	s_delay_alu instid0(VALU_DEP_1)
	v_fmac_f32_e32 v26, v11, v25
	s_branch .LBB167_61
.LBB167_60:                             ;   in Loop: Header=BB167_61 Depth=3
	s_or_b32 exec_lo, exec_lo, s20
	s_xor_b32 s20, s21, -1
	s_delay_alu instid0(SALU_CYCLE_1) | instskip(NEXT) | instid1(SALU_CYCLE_1)
	s_and_b32 s20, exec_lo, s20
	s_or_b32 s19, s20, s19
	s_delay_alu instid0(SALU_CYCLE_1)
	s_and_not1_b32 exec_lo, exec_lo, s19
	s_cbranch_execz .LBB167_22
.LBB167_61:                             ;   Parent Loop BB167_20 Depth=1
                                        ;     Parent Loop BB167_23 Depth=2
                                        ; =>    This Inner Loop Header: Depth=3
	v_lshl_add_u32 v25, v24, 2, v12
	s_mov_b32 s20, exec_lo
                                        ; implicit-def: $sgpr21
	ds_load_b32 v27, v25
	s_waitcnt lgkmcnt(0)
	v_cmpx_ne_u32_e64 v27, v23
	s_xor_b32 s20, exec_lo, s20
	s_cbranch_execz .LBB167_69
; %bb.62:                               ;   in Loop: Header=BB167_61 Depth=3
	s_mov_b32 s22, exec_lo
                                        ; implicit-def: $sgpr21
	v_cmpx_ne_u32_e64 s18, v27
	s_xor_b32 s22, exec_lo, s22
; %bb.63:                               ;   in Loop: Header=BB167_61 Depth=3
	v_add_nc_u32_e32 v24, 1, v24
	s_mov_b32 s21, -1
                                        ; implicit-def: $vgpr25
	s_delay_alu instid0(VALU_DEP_1)
	v_and_b32_e32 v24, 7, v24
; %bb.64:                               ;   in Loop: Header=BB167_61 Depth=3
	s_and_not1_saveexec_b32 s22, s22
	s_cbranch_execz .LBB167_68
; %bb.65:                               ;   in Loop: Header=BB167_61 Depth=3
	v_mov_b32_e32 v27, s18
	s_mov_b32 s23, -1
	s_mov_b32 s24, exec_lo
	ds_cmpstore_rtn_b32 v25, v25, v23, v27
	s_waitcnt lgkmcnt(0)
	v_cmpx_eq_u32_e64 s18, v25
	s_cbranch_execz .LBB167_67
; %bb.66:                               ;   in Loop: Header=BB167_61 Depth=3
	v_lshl_add_u32 v25, v24, 4, v20
	s_xor_b32 s23, exec_lo, -1
	ds_add_f32 v25, v26
.LBB167_67:                             ;   in Loop: Header=BB167_61 Depth=3
	s_or_b32 exec_lo, exec_lo, s24
	s_delay_alu instid0(SALU_CYCLE_1) | instskip(SKIP_1) | instid1(SALU_CYCLE_1)
	s_and_not1_b32 s21, s21, exec_lo
	s_and_b32 s23, s23, exec_lo
	s_or_b32 s21, s21, s23
.LBB167_68:                             ;   in Loop: Header=BB167_61 Depth=3
	s_or_b32 exec_lo, exec_lo, s22
	s_delay_alu instid0(SALU_CYCLE_1)
	s_and_b32 s21, s21, exec_lo
.LBB167_69:                             ;   in Loop: Header=BB167_61 Depth=3
	s_and_not1_saveexec_b32 s20, s20
	s_cbranch_execz .LBB167_60
; %bb.70:                               ;   in Loop: Header=BB167_61 Depth=3
	v_lshl_add_u32 v25, v24, 4, v20
	s_and_not1_b32 s21, s21, exec_lo
	ds_add_f32 v25, v26
	s_branch .LBB167_60
.LBB167_71:
	s_or_b32 exec_lo, exec_lo, s1
	s_delay_alu instid0(SALU_CYCLE_1)
	s_and_not1_b32 vcc_lo, exec_lo, s12
	s_waitcnt lgkmcnt(0)
	buffer_gl0_inv
	s_cbranch_vccnz .LBB167_15
.LBB167_72:
	v_lshlrev_b64 v[0:1], 3, v[4:5]
	v_sub_co_u32 v2, s1, v16, s39
	s_delay_alu instid0(VALU_DEP_1) | instskip(SKIP_1) | instid1(VALU_DEP_3)
	v_sub_co_ci_u32_e64 v3, null, 0, 0, s1
	s_mov_b32 s2, 0
	v_add_co_u32 v0, vcc_lo, s4, v0
	s_delay_alu instid0(VALU_DEP_4)
	v_add_co_ci_u32_e32 v1, vcc_lo, s5, v1, vcc_lo
	s_mov_b32 s1, exec_lo
	global_load_b128 v[6:9], v[0:1], off
	s_waitcnt vmcnt(0)
	v_sub_co_u32 v0, vcc_lo, v8, s39
	v_subrev_co_ci_u32_e32 v1, vcc_lo, 0, v9, vcc_lo
	v_add_co_u32 v2, vcc_lo, v6, v2
	v_add_co_ci_u32_e32 v3, vcc_lo, v7, v3, vcc_lo
	s_delay_alu instid0(VALU_DEP_1)
	v_cmpx_lt_i64_e64 v[2:3], v[0:1]
	s_cbranch_execz .LBB167_123
; %bb.73:
	v_add_nc_u32_e32 v6, 4, v14
	v_add_nc_u32_e32 v7, 8, v14
	v_add_nc_u32_e32 v8, 12, v14
	s_cmp_eq_u32 s16, 0
	s_cselect_b32 s3, 1, 2
	s_cselect_b32 s4, 2, 1
	s_branch .LBB167_75
.LBB167_74:                             ;   in Loop: Header=BB167_75 Depth=1
	s_or_b32 exec_lo, exec_lo, s5
	v_add_co_u32 v2, vcc_lo, v2, 16
	v_add_co_ci_u32_e32 v3, vcc_lo, 0, v3, vcc_lo
	s_delay_alu instid0(VALU_DEP_1) | instskip(SKIP_1) | instid1(SALU_CYCLE_1)
	v_cmp_ge_i64_e32 vcc_lo, v[2:3], v[0:1]
	s_or_b32 s2, vcc_lo, s2
	s_and_not1_b32 exec_lo, exec_lo, s2
	s_cbranch_execz .LBB167_123
.LBB167_75:                             ; =>This Loop Header: Depth=1
                                        ;     Child Loop BB167_77 Depth 2
                                        ;     Child Loop BB167_89 Depth 2
                                        ;     Child Loop BB167_101 Depth 2
                                        ;     Child Loop BB167_113 Depth 2
	v_lshlrev_b64 v[17:18], 4, v[2:3]
	v_lshlrev_b64 v[9:10], 2, v[2:3]
	s_mov_b32 s5, 0
	s_delay_alu instid0(VALU_DEP_2) | instskip(NEXT) | instid1(VALU_DEP_3)
	v_add_co_u32 v21, vcc_lo, s8, v17
	v_add_co_ci_u32_e32 v22, vcc_lo, s9, v18, vcc_lo
	s_delay_alu instid0(VALU_DEP_3) | instskip(NEXT) | instid1(VALU_DEP_4)
	v_or_b32_e32 v20, 0, v10
	v_or_b32_e32 v19, s4, v9
	v_add_co_u32 v17, vcc_lo, s6, v9
	v_add_co_ci_u32_e32 v18, vcc_lo, s7, v10, vcc_lo
	v_or_b32_e32 v11, 0, v10
	v_or_b32_e32 v10, s3, v9
	v_lshlrev_b64 v[19:20], 2, v[19:20]
	global_load_b32 v23, v[21:22], off
	global_load_b32 v24, v[17:18], off
	v_lshlrev_b64 v[9:10], 2, v[10:11]
	v_add_co_u32 v17, vcc_lo, s8, v19
	v_add_co_ci_u32_e32 v18, vcc_lo, s9, v20, vcc_lo
	s_delay_alu instid0(VALU_DEP_3) | instskip(NEXT) | instid1(VALU_DEP_4)
	v_add_co_u32 v9, vcc_lo, s8, v9
	v_add_co_ci_u32_e32 v10, vcc_lo, s9, v10, vcc_lo
	s_clause 0x2
	global_load_b32 v17, v[17:18], off
	global_load_b32 v18, v[9:10], off
	global_load_b32 v11, v[21:22], off offset:12
	s_waitcnt vmcnt(4)
	v_mul_f32_e32 v19, v15, v23
	s_waitcnt vmcnt(3)
	v_subrev_nc_u32_e32 v9, s39, v24
	s_delay_alu instid0(VALU_DEP_1) | instskip(NEXT) | instid1(VALU_DEP_1)
	v_and_b32_e32 v10, 7, v9
	v_mov_b32_e32 v20, v10
	s_branch .LBB167_77
.LBB167_76:                             ;   in Loop: Header=BB167_77 Depth=2
	s_or_b32 exec_lo, exec_lo, s12
	s_xor_b32 s12, s13, -1
	s_delay_alu instid0(SALU_CYCLE_1) | instskip(NEXT) | instid1(SALU_CYCLE_1)
	s_and_b32 s12, exec_lo, s12
	s_or_b32 s5, s12, s5
	s_delay_alu instid0(SALU_CYCLE_1)
	s_and_not1_b32 exec_lo, exec_lo, s5
	s_cbranch_execz .LBB167_87
.LBB167_77:                             ;   Parent Loop BB167_75 Depth=1
                                        ; =>  This Inner Loop Header: Depth=2
	s_delay_alu instid0(VALU_DEP_1)
	v_lshl_add_u32 v21, v20, 2, v12
	s_mov_b32 s12, exec_lo
                                        ; implicit-def: $sgpr13
	ds_load_b32 v22, v21
	s_waitcnt lgkmcnt(0)
	v_cmpx_ne_u32_e64 v22, v9
	s_xor_b32 s12, exec_lo, s12
	s_cbranch_execz .LBB167_85
; %bb.78:                               ;   in Loop: Header=BB167_77 Depth=2
	s_mov_b32 s14, exec_lo
                                        ; implicit-def: $sgpr13
	v_cmpx_ne_u32_e64 s18, v22
	s_xor_b32 s14, exec_lo, s14
; %bb.79:                               ;   in Loop: Header=BB167_77 Depth=2
	v_add_nc_u32_e32 v20, 1, v20
	s_mov_b32 s13, -1
                                        ; implicit-def: $vgpr21
	s_delay_alu instid0(VALU_DEP_1)
	v_and_b32_e32 v20, 7, v20
; %bb.80:                               ;   in Loop: Header=BB167_77 Depth=2
	s_and_not1_saveexec_b32 s14, s14
	s_cbranch_execz .LBB167_84
; %bb.81:                               ;   in Loop: Header=BB167_77 Depth=2
	v_mov_b32_e32 v22, s18
	s_mov_b32 s15, -1
	s_mov_b32 s17, exec_lo
	ds_cmpstore_rtn_b32 v21, v21, v9, v22
	s_waitcnt lgkmcnt(0)
	v_cmpx_eq_u32_e64 s18, v21
	s_cbranch_execz .LBB167_83
; %bb.82:                               ;   in Loop: Header=BB167_77 Depth=2
	v_lshl_add_u32 v21, v20, 4, v14
	s_xor_b32 s15, exec_lo, -1
	ds_add_f32 v21, v19
.LBB167_83:                             ;   in Loop: Header=BB167_77 Depth=2
	s_or_b32 exec_lo, exec_lo, s17
	s_delay_alu instid0(SALU_CYCLE_1) | instskip(SKIP_1) | instid1(SALU_CYCLE_1)
	s_and_not1_b32 s13, s13, exec_lo
	s_and_b32 s15, s15, exec_lo
	s_or_b32 s13, s13, s15
.LBB167_84:                             ;   in Loop: Header=BB167_77 Depth=2
	s_or_b32 exec_lo, exec_lo, s14
	s_delay_alu instid0(SALU_CYCLE_1)
	s_and_b32 s13, s13, exec_lo
.LBB167_85:                             ;   in Loop: Header=BB167_77 Depth=2
	s_and_not1_saveexec_b32 s12, s12
	s_cbranch_execz .LBB167_76
; %bb.86:                               ;   in Loop: Header=BB167_77 Depth=2
	v_lshl_add_u32 v21, v20, 4, v14
	s_and_not1_b32 s13, s13, exec_lo
	ds_add_f32 v21, v19
	s_branch .LBB167_76
.LBB167_87:                             ;   in Loop: Header=BB167_75 Depth=1
	s_or_b32 exec_lo, exec_lo, s5
	s_waitcnt vmcnt(1)
	v_dual_mul_f32 v18, v15, v18 :: v_dual_mov_b32 v19, v10
	s_mov_b32 s5, 0
	s_branch .LBB167_89
.LBB167_88:                             ;   in Loop: Header=BB167_89 Depth=2
	s_or_b32 exec_lo, exec_lo, s12
	s_xor_b32 s12, s13, -1
	s_delay_alu instid0(SALU_CYCLE_1) | instskip(NEXT) | instid1(SALU_CYCLE_1)
	s_and_b32 s12, exec_lo, s12
	s_or_b32 s5, s12, s5
	s_delay_alu instid0(SALU_CYCLE_1)
	s_and_not1_b32 exec_lo, exec_lo, s5
	s_cbranch_execz .LBB167_99
.LBB167_89:                             ;   Parent Loop BB167_75 Depth=1
                                        ; =>  This Inner Loop Header: Depth=2
	s_delay_alu instid0(VALU_DEP_1)
	v_lshl_add_u32 v20, v19, 2, v12
	s_mov_b32 s12, exec_lo
                                        ; implicit-def: $sgpr13
	ds_load_b32 v21, v20
	s_waitcnt lgkmcnt(0)
	v_cmpx_ne_u32_e64 v21, v9
	s_xor_b32 s12, exec_lo, s12
	s_cbranch_execz .LBB167_97
; %bb.90:                               ;   in Loop: Header=BB167_89 Depth=2
	s_mov_b32 s14, exec_lo
                                        ; implicit-def: $sgpr13
	v_cmpx_ne_u32_e64 s18, v21
	s_xor_b32 s14, exec_lo, s14
; %bb.91:                               ;   in Loop: Header=BB167_89 Depth=2
	v_add_nc_u32_e32 v19, 1, v19
	s_mov_b32 s13, -1
                                        ; implicit-def: $vgpr20
	s_delay_alu instid0(VALU_DEP_1)
	v_and_b32_e32 v19, 7, v19
; %bb.92:                               ;   in Loop: Header=BB167_89 Depth=2
	s_and_not1_saveexec_b32 s14, s14
	s_cbranch_execz .LBB167_96
; %bb.93:                               ;   in Loop: Header=BB167_89 Depth=2
	v_mov_b32_e32 v21, s18
	s_mov_b32 s15, -1
	s_mov_b32 s17, exec_lo
	ds_cmpstore_rtn_b32 v20, v20, v9, v21
	s_waitcnt lgkmcnt(0)
	v_cmpx_eq_u32_e64 s18, v20
	s_cbranch_execz .LBB167_95
; %bb.94:                               ;   in Loop: Header=BB167_89 Depth=2
	v_lshl_add_u32 v20, v19, 4, v6
	s_xor_b32 s15, exec_lo, -1
	ds_add_f32 v20, v18
.LBB167_95:                             ;   in Loop: Header=BB167_89 Depth=2
	s_or_b32 exec_lo, exec_lo, s17
	s_delay_alu instid0(SALU_CYCLE_1) | instskip(SKIP_1) | instid1(SALU_CYCLE_1)
	s_and_not1_b32 s13, s13, exec_lo
	s_and_b32 s15, s15, exec_lo
	s_or_b32 s13, s13, s15
.LBB167_96:                             ;   in Loop: Header=BB167_89 Depth=2
	s_or_b32 exec_lo, exec_lo, s14
	s_delay_alu instid0(SALU_CYCLE_1)
	s_and_b32 s13, s13, exec_lo
.LBB167_97:                             ;   in Loop: Header=BB167_89 Depth=2
	s_and_not1_saveexec_b32 s12, s12
	s_cbranch_execz .LBB167_88
; %bb.98:                               ;   in Loop: Header=BB167_89 Depth=2
	v_lshl_add_u32 v20, v19, 4, v6
	s_and_not1_b32 s13, s13, exec_lo
	ds_add_f32 v20, v18
	s_branch .LBB167_88
.LBB167_99:                             ;   in Loop: Header=BB167_75 Depth=1
	s_or_b32 exec_lo, exec_lo, s5
	v_dual_mul_f32 v17, v15, v17 :: v_dual_mov_b32 v18, v10
	s_mov_b32 s5, 0
	s_branch .LBB167_101
.LBB167_100:                            ;   in Loop: Header=BB167_101 Depth=2
	s_or_b32 exec_lo, exec_lo, s12
	s_xor_b32 s12, s13, -1
	s_delay_alu instid0(SALU_CYCLE_1) | instskip(NEXT) | instid1(SALU_CYCLE_1)
	s_and_b32 s12, exec_lo, s12
	s_or_b32 s5, s12, s5
	s_delay_alu instid0(SALU_CYCLE_1)
	s_and_not1_b32 exec_lo, exec_lo, s5
	s_cbranch_execz .LBB167_111
.LBB167_101:                            ;   Parent Loop BB167_75 Depth=1
                                        ; =>  This Inner Loop Header: Depth=2
	s_delay_alu instid0(VALU_DEP_1)
	v_lshl_add_u32 v19, v18, 2, v12
	s_mov_b32 s12, exec_lo
                                        ; implicit-def: $sgpr13
	ds_load_b32 v20, v19
	s_waitcnt lgkmcnt(0)
	v_cmpx_ne_u32_e64 v20, v9
	s_xor_b32 s12, exec_lo, s12
	s_cbranch_execz .LBB167_109
; %bb.102:                              ;   in Loop: Header=BB167_101 Depth=2
	s_mov_b32 s14, exec_lo
                                        ; implicit-def: $sgpr13
	v_cmpx_ne_u32_e64 s18, v20
	s_xor_b32 s14, exec_lo, s14
; %bb.103:                              ;   in Loop: Header=BB167_101 Depth=2
	v_add_nc_u32_e32 v18, 1, v18
	s_mov_b32 s13, -1
                                        ; implicit-def: $vgpr19
	s_delay_alu instid0(VALU_DEP_1)
	v_and_b32_e32 v18, 7, v18
; %bb.104:                              ;   in Loop: Header=BB167_101 Depth=2
	s_and_not1_saveexec_b32 s14, s14
	s_cbranch_execz .LBB167_108
; %bb.105:                              ;   in Loop: Header=BB167_101 Depth=2
	v_mov_b32_e32 v20, s18
	s_mov_b32 s15, -1
	s_mov_b32 s17, exec_lo
	ds_cmpstore_rtn_b32 v19, v19, v9, v20
	s_waitcnt lgkmcnt(0)
	v_cmpx_eq_u32_e64 s18, v19
	s_cbranch_execz .LBB167_107
; %bb.106:                              ;   in Loop: Header=BB167_101 Depth=2
	v_lshl_add_u32 v19, v18, 4, v7
	s_xor_b32 s15, exec_lo, -1
	ds_add_f32 v19, v17
.LBB167_107:                            ;   in Loop: Header=BB167_101 Depth=2
	s_or_b32 exec_lo, exec_lo, s17
	s_delay_alu instid0(SALU_CYCLE_1) | instskip(SKIP_1) | instid1(SALU_CYCLE_1)
	s_and_not1_b32 s13, s13, exec_lo
	s_and_b32 s15, s15, exec_lo
	s_or_b32 s13, s13, s15
.LBB167_108:                            ;   in Loop: Header=BB167_101 Depth=2
	s_or_b32 exec_lo, exec_lo, s14
	s_delay_alu instid0(SALU_CYCLE_1)
	s_and_b32 s13, s13, exec_lo
.LBB167_109:                            ;   in Loop: Header=BB167_101 Depth=2
	s_and_not1_saveexec_b32 s12, s12
	s_cbranch_execz .LBB167_100
; %bb.110:                              ;   in Loop: Header=BB167_101 Depth=2
	v_lshl_add_u32 v19, v18, 4, v7
	s_and_not1_b32 s13, s13, exec_lo
	ds_add_f32 v19, v17
	s_branch .LBB167_100
.LBB167_111:                            ;   in Loop: Header=BB167_75 Depth=1
	s_or_b32 exec_lo, exec_lo, s5
	s_waitcnt vmcnt(0)
	v_mul_f32_e32 v11, v15, v11
	s_mov_b32 s5, 0
	s_branch .LBB167_113
.LBB167_112:                            ;   in Loop: Header=BB167_113 Depth=2
	s_or_b32 exec_lo, exec_lo, s12
	s_xor_b32 s12, s13, -1
	s_delay_alu instid0(SALU_CYCLE_1) | instskip(NEXT) | instid1(SALU_CYCLE_1)
	s_and_b32 s12, exec_lo, s12
	s_or_b32 s5, s12, s5
	s_delay_alu instid0(SALU_CYCLE_1)
	s_and_not1_b32 exec_lo, exec_lo, s5
	s_cbranch_execz .LBB167_74
.LBB167_113:                            ;   Parent Loop BB167_75 Depth=1
                                        ; =>  This Inner Loop Header: Depth=2
	v_lshl_add_u32 v17, v10, 2, v12
	s_mov_b32 s12, exec_lo
                                        ; implicit-def: $sgpr13
	ds_load_b32 v18, v17
	s_waitcnt lgkmcnt(0)
	v_cmpx_ne_u32_e64 v18, v9
	s_xor_b32 s12, exec_lo, s12
	s_cbranch_execz .LBB167_121
; %bb.114:                              ;   in Loop: Header=BB167_113 Depth=2
	s_mov_b32 s14, exec_lo
                                        ; implicit-def: $sgpr13
	v_cmpx_ne_u32_e64 s18, v18
	s_xor_b32 s14, exec_lo, s14
; %bb.115:                              ;   in Loop: Header=BB167_113 Depth=2
	v_add_nc_u32_e32 v10, 1, v10
	s_mov_b32 s13, -1
                                        ; implicit-def: $vgpr17
	s_delay_alu instid0(VALU_DEP_1)
	v_and_b32_e32 v10, 7, v10
; %bb.116:                              ;   in Loop: Header=BB167_113 Depth=2
	s_and_not1_saveexec_b32 s14, s14
	s_cbranch_execz .LBB167_120
; %bb.117:                              ;   in Loop: Header=BB167_113 Depth=2
	v_mov_b32_e32 v18, s18
	s_mov_b32 s15, -1
	s_mov_b32 s17, exec_lo
	ds_cmpstore_rtn_b32 v17, v17, v9, v18
	s_waitcnt lgkmcnt(0)
	v_cmpx_eq_u32_e64 s18, v17
	s_cbranch_execz .LBB167_119
; %bb.118:                              ;   in Loop: Header=BB167_113 Depth=2
	v_lshl_add_u32 v17, v10, 4, v8
	s_xor_b32 s15, exec_lo, -1
	ds_add_f32 v17, v11
.LBB167_119:                            ;   in Loop: Header=BB167_113 Depth=2
	s_or_b32 exec_lo, exec_lo, s17
	s_delay_alu instid0(SALU_CYCLE_1) | instskip(SKIP_1) | instid1(SALU_CYCLE_1)
	s_and_not1_b32 s13, s13, exec_lo
	s_and_b32 s15, s15, exec_lo
	s_or_b32 s13, s13, s15
.LBB167_120:                            ;   in Loop: Header=BB167_113 Depth=2
	s_or_b32 exec_lo, exec_lo, s14
	s_delay_alu instid0(SALU_CYCLE_1)
	s_and_b32 s13, s13, exec_lo
.LBB167_121:                            ;   in Loop: Header=BB167_113 Depth=2
	s_and_not1_saveexec_b32 s12, s12
	s_cbranch_execz .LBB167_112
; %bb.122:                              ;   in Loop: Header=BB167_113 Depth=2
	v_lshl_add_u32 v17, v10, 4, v8
	s_and_not1_b32 s13, s13, exec_lo
	ds_add_f32 v17, v11
	s_branch .LBB167_112
.LBB167_123:
	s_or_b32 exec_lo, exec_lo, s1
	s_waitcnt lgkmcnt(0)
	buffer_gl0_inv
	s_and_b32 exec_lo, exec_lo, s0
	s_cbranch_execz .LBB167_16
.LBB167_124:
	v_lshl_add_u32 v0, v16, 2, v12
	ds_load_b32 v0, v0
	s_waitcnt lgkmcnt(0)
	v_cmp_gt_i32_e32 vcc_lo, s18, v0
	s_and_b32 exec_lo, exec_lo, vcc_lo
	s_cbranch_execz .LBB167_16
; %bb.125:
	v_lshlrev_b64 v[1:2], 3, v[4:5]
	s_cmp_eq_u32 s16, 0
	v_lshl_add_u32 v11, v13, 2, v14
	s_cselect_b32 s0, 1, 2
	ds_load_b128 v[5:8], v12 offset:16
	v_or_b32_e32 v15, s0, v13
	v_add_co_u32 v1, vcc_lo, s10, v1
	v_add_co_ci_u32_e32 v2, vcc_lo, s11, v2, vcc_lo
	s_cselect_b32 s0, 2, 1
	s_delay_alu instid0(VALU_DEP_3)
	v_lshl_add_u32 v15, v15, 2, v14
	v_or_b32_e32 v13, s0, v13
	global_load_b64 v[9:10], v[1:2], off
	ds_load_b128 v[1:4], v12
	ds_load_2addr_b32 v[11:12], v11 offset1:3
	s_waitcnt lgkmcnt(1)
	v_cmp_gt_i32_e32 vcc_lo, v0, v1
	v_cndmask_b32_e64 v1, 0, 1, vcc_lo
	s_waitcnt vmcnt(0)
	v_sub_co_u32 v9, vcc_lo, v9, s38
	v_subrev_co_ci_u32_e32 v10, vcc_lo, 0, v10, vcc_lo
	v_cmp_gt_i32_e32 vcc_lo, v0, v2
	v_cndmask_b32_e64 v2, 0, 1, vcc_lo
	s_delay_alu instid0(VALU_DEP_4) | instskip(NEXT) | instid1(VALU_DEP_4)
	v_add_co_u32 v1, vcc_lo, v9, v1
	v_add_co_ci_u32_e32 v9, vcc_lo, 0, v10, vcc_lo
	v_cmp_gt_i32_e32 vcc_lo, v0, v3
	v_cndmask_b32_e64 v3, 0, 1, vcc_lo
	s_delay_alu instid0(VALU_DEP_4) | instskip(NEXT) | instid1(VALU_DEP_4)
	v_add_co_u32 v1, vcc_lo, v1, v2
	v_add_co_ci_u32_e32 v2, vcc_lo, 0, v9, vcc_lo
	;; [unrolled: 5-line block ×6, first 2 shown]
	v_cmp_gt_i32_e32 vcc_lo, v0, v8
	v_add_nc_u32_e32 v8, s38, v0
	s_waitcnt lgkmcnt(0)
	v_mov_b32_e32 v0, v11
	v_cndmask_b32_e64 v4, 0, 1, vcc_lo
	v_add_co_u32 v1, vcc_lo, v1, v3
	v_add_co_ci_u32_e32 v2, vcc_lo, 0, v2, vcc_lo
	v_lshl_add_u32 v3, v13, 2, v14
	s_delay_alu instid0(VALU_DEP_3) | instskip(NEXT) | instid1(VALU_DEP_3)
	v_add_co_u32 v4, vcc_lo, v1, v4
	v_add_co_ci_u32_e32 v5, vcc_lo, 0, v2, vcc_lo
	ds_load_b32 v1, v15
	ds_load_b32 v2, v3
	v_mov_b32_e32 v3, v12
	v_lshlrev_b64 v[6:7], 2, v[4:5]
	v_lshlrev_b64 v[4:5], 4, v[4:5]
	s_delay_alu instid0(VALU_DEP_2) | instskip(NEXT) | instid1(VALU_DEP_3)
	v_add_co_u32 v6, vcc_lo, s40, v6
	v_add_co_ci_u32_e32 v7, vcc_lo, s41, v7, vcc_lo
	s_delay_alu instid0(VALU_DEP_3) | instskip(NEXT) | instid1(VALU_DEP_4)
	v_add_co_u32 v4, vcc_lo, s42, v4
	v_add_co_ci_u32_e32 v5, vcc_lo, s43, v5, vcc_lo
	global_store_b32 v[6:7], v8, off
	s_waitcnt lgkmcnt(0)
	global_store_b128 v[4:5], v[0:3], off
	s_nop 0
	s_sendmsg sendmsg(MSG_DEALLOC_VGPRS)
	s_endpgm
	.section	.rodata,"a",@progbits
	.p2align	6, 0x0
	.amdhsa_kernel _ZN9rocsparseL27bsrgemm_fill_wf_per_row_2x2ILj256ELj16ELj8ELj137ElifEEv20rocsparse_direction_T4_S2_PKS2_S4_NS_24const_host_device_scalarIT5_EEPKT3_S4_PKS6_SA_S4_SC_S7_SA_S4_SC_SA_PS2_PS6_21rocsparse_index_base_SF_SF_SF_bbb
		.amdhsa_group_segment_fixed_size 2560
		.amdhsa_private_segment_fixed_size 0
		.amdhsa_kernarg_size 164
		.amdhsa_user_sgpr_count 15
		.amdhsa_user_sgpr_dispatch_ptr 0
		.amdhsa_user_sgpr_queue_ptr 0
		.amdhsa_user_sgpr_kernarg_segment_ptr 1
		.amdhsa_user_sgpr_dispatch_id 0
		.amdhsa_user_sgpr_private_segment_size 0
		.amdhsa_wavefront_size32 1
		.amdhsa_uses_dynamic_stack 0
		.amdhsa_enable_private_segment 0
		.amdhsa_system_sgpr_workgroup_id_x 1
		.amdhsa_system_sgpr_workgroup_id_y 0
		.amdhsa_system_sgpr_workgroup_id_z 0
		.amdhsa_system_sgpr_workgroup_info 0
		.amdhsa_system_vgpr_workitem_id 0
		.amdhsa_next_free_vgpr 33
		.amdhsa_next_free_sgpr 48
		.amdhsa_reserve_vcc 1
		.amdhsa_float_round_mode_32 0
		.amdhsa_float_round_mode_16_64 0
		.amdhsa_float_denorm_mode_32 3
		.amdhsa_float_denorm_mode_16_64 3
		.amdhsa_dx10_clamp 1
		.amdhsa_ieee_mode 1
		.amdhsa_fp16_overflow 0
		.amdhsa_workgroup_processor_mode 1
		.amdhsa_memory_ordered 1
		.amdhsa_forward_progress 0
		.amdhsa_shared_vgpr_count 0
		.amdhsa_exception_fp_ieee_invalid_op 0
		.amdhsa_exception_fp_denorm_src 0
		.amdhsa_exception_fp_ieee_div_zero 0
		.amdhsa_exception_fp_ieee_overflow 0
		.amdhsa_exception_fp_ieee_underflow 0
		.amdhsa_exception_fp_ieee_inexact 0
		.amdhsa_exception_int_div_zero 0
	.end_amdhsa_kernel
	.section	.text._ZN9rocsparseL27bsrgemm_fill_wf_per_row_2x2ILj256ELj16ELj8ELj137ElifEEv20rocsparse_direction_T4_S2_PKS2_S4_NS_24const_host_device_scalarIT5_EEPKT3_S4_PKS6_SA_S4_SC_S7_SA_S4_SC_SA_PS2_PS6_21rocsparse_index_base_SF_SF_SF_bbb,"axG",@progbits,_ZN9rocsparseL27bsrgemm_fill_wf_per_row_2x2ILj256ELj16ELj8ELj137ElifEEv20rocsparse_direction_T4_S2_PKS2_S4_NS_24const_host_device_scalarIT5_EEPKT3_S4_PKS6_SA_S4_SC_S7_SA_S4_SC_SA_PS2_PS6_21rocsparse_index_base_SF_SF_SF_bbb,comdat
.Lfunc_end167:
	.size	_ZN9rocsparseL27bsrgemm_fill_wf_per_row_2x2ILj256ELj16ELj8ELj137ElifEEv20rocsparse_direction_T4_S2_PKS2_S4_NS_24const_host_device_scalarIT5_EEPKT3_S4_PKS6_SA_S4_SC_S7_SA_S4_SC_SA_PS2_PS6_21rocsparse_index_base_SF_SF_SF_bbb, .Lfunc_end167-_ZN9rocsparseL27bsrgemm_fill_wf_per_row_2x2ILj256ELj16ELj8ELj137ElifEEv20rocsparse_direction_T4_S2_PKS2_S4_NS_24const_host_device_scalarIT5_EEPKT3_S4_PKS6_SA_S4_SC_S7_SA_S4_SC_SA_PS2_PS6_21rocsparse_index_base_SF_SF_SF_bbb
                                        ; -- End function
	.section	.AMDGPU.csdata,"",@progbits
; Kernel info:
; codeLenInByte = 4132
; NumSgprs: 50
; NumVgprs: 33
; ScratchSize: 0
; MemoryBound: 0
; FloatMode: 240
; IeeeMode: 1
; LDSByteSize: 2560 bytes/workgroup (compile time only)
; SGPRBlocks: 6
; VGPRBlocks: 4
; NumSGPRsForWavesPerEU: 50
; NumVGPRsForWavesPerEU: 33
; Occupancy: 16
; WaveLimiterHint : 1
; COMPUTE_PGM_RSRC2:SCRATCH_EN: 0
; COMPUTE_PGM_RSRC2:USER_SGPR: 15
; COMPUTE_PGM_RSRC2:TRAP_HANDLER: 0
; COMPUTE_PGM_RSRC2:TGID_X_EN: 1
; COMPUTE_PGM_RSRC2:TGID_Y_EN: 0
; COMPUTE_PGM_RSRC2:TGID_Z_EN: 0
; COMPUTE_PGM_RSRC2:TIDIG_COMP_CNT: 0
	.section	.text._ZN9rocsparseL27bsrgemm_fill_wf_per_row_2x2ILj256ELj16ELj16ELj137ElifEEv20rocsparse_direction_T4_S2_PKS2_S4_NS_24const_host_device_scalarIT5_EEPKT3_S4_PKS6_SA_S4_SC_S7_SA_S4_SC_SA_PS2_PS6_21rocsparse_index_base_SF_SF_SF_bbb,"axG",@progbits,_ZN9rocsparseL27bsrgemm_fill_wf_per_row_2x2ILj256ELj16ELj16ELj137ElifEEv20rocsparse_direction_T4_S2_PKS2_S4_NS_24const_host_device_scalarIT5_EEPKT3_S4_PKS6_SA_S4_SC_S7_SA_S4_SC_SA_PS2_PS6_21rocsparse_index_base_SF_SF_SF_bbb,comdat
	.globl	_ZN9rocsparseL27bsrgemm_fill_wf_per_row_2x2ILj256ELj16ELj16ELj137ElifEEv20rocsparse_direction_T4_S2_PKS2_S4_NS_24const_host_device_scalarIT5_EEPKT3_S4_PKS6_SA_S4_SC_S7_SA_S4_SC_SA_PS2_PS6_21rocsparse_index_base_SF_SF_SF_bbb ; -- Begin function _ZN9rocsparseL27bsrgemm_fill_wf_per_row_2x2ILj256ELj16ELj16ELj137ElifEEv20rocsparse_direction_T4_S2_PKS2_S4_NS_24const_host_device_scalarIT5_EEPKT3_S4_PKS6_SA_S4_SC_S7_SA_S4_SC_SA_PS2_PS6_21rocsparse_index_base_SF_SF_SF_bbb
	.p2align	8
	.type	_ZN9rocsparseL27bsrgemm_fill_wf_per_row_2x2ILj256ELj16ELj16ELj137ElifEEv20rocsparse_direction_T4_S2_PKS2_S4_NS_24const_host_device_scalarIT5_EEPKT3_S4_PKS6_SA_S4_SC_S7_SA_S4_SC_SA_PS2_PS6_21rocsparse_index_base_SF_SF_SF_bbb,@function
_ZN9rocsparseL27bsrgemm_fill_wf_per_row_2x2ILj256ELj16ELj16ELj137ElifEEv20rocsparse_direction_T4_S2_PKS2_S4_NS_24const_host_device_scalarIT5_EEPKT3_S4_PKS6_SA_S4_SC_S7_SA_S4_SC_SA_PS2_PS6_21rocsparse_index_base_SF_SF_SF_bbb: ; @_ZN9rocsparseL27bsrgemm_fill_wf_per_row_2x2ILj256ELj16ELj16ELj137ElifEEv20rocsparse_direction_T4_S2_PKS2_S4_NS_24const_host_device_scalarIT5_EEPKT3_S4_PKS6_SA_S4_SC_S7_SA_S4_SC_SA_PS2_PS6_21rocsparse_index_base_SF_SF_SF_bbb
; %bb.0:
	s_clause 0x3
	s_load_b32 s12, s[0:1], 0xa0
	s_load_b128 s[24:27], s[0:1], 0x90
	s_load_b64 s[4:5], s[0:1], 0x20
	s_load_b64 s[2:3], s[0:1], 0x58
	s_waitcnt lgkmcnt(0)
	s_bitcmp1_b32 s12, 0
	s_cselect_b32 s13, -1, 0
	s_bitcmp1_b32 s12, 16
	s_cselect_b32 s14, -1, 0
	s_xor_b32 s6, s13, -1
	s_delay_alu instid0(SALU_CYCLE_1) | instskip(NEXT) | instid1(SALU_CYCLE_1)
	s_or_b32 s6, s6, s14
	s_and_b32 vcc_lo, exec_lo, s6
	s_cbranch_vccnz .LBB168_2
; %bb.1:
	s_load_b32 s4, s[4:5], 0x0
	s_waitcnt lgkmcnt(0)
	v_mov_b32_e32 v17, s4
	s_branch .LBB168_3
.LBB168_2:
	v_cndmask_b32_e64 v17, 0, s4, s13
.LBB168_3:
	s_clause 0x4
	s_load_b128 s[28:31], s[0:1], 0x80
	s_load_b256 s[4:11], s[0:1], 0x60
	s_load_b128 s[36:39], s[0:1], 0x48
	s_load_b128 s[40:43], s[0:1], 0x10
	s_load_b256 s[16:23], s[0:1], 0x28
	s_bitcmp1_b32 s12, 8
	s_cselect_b32 s12, -1, 0
	s_delay_alu instid0(SALU_CYCLE_1) | instskip(NEXT) | instid1(SALU_CYCLE_1)
	s_xor_b32 s33, s12, -1
	s_or_b32 s14, s33, s14
	s_delay_alu instid0(SALU_CYCLE_1)
	s_and_b32 vcc_lo, exec_lo, s14
	s_cbranch_vccnz .LBB168_5
; %bb.4:
	s_load_b32 s2, s[2:3], 0x0
	s_waitcnt lgkmcnt(0)
	v_mov_b32_e32 v15, s2
	s_branch .LBB168_6
.LBB168_5:
	v_cndmask_b32_e64 v15, 0, s2, s12
.LBB168_6:
	s_load_b128 s[0:3], s[0:1], 0x0
	v_and_b32_e32 v1, 0xf0, v0
	v_dual_mov_b32 v3, 0 :: v_dual_and_b32 v18, 15, v0
	v_lshrrev_b32_e32 v2, 4, v0
	s_waitcnt lgkmcnt(0)
	s_mov_b32 s3, 0
	s_delay_alu instid0(VALU_DEP_2) | instskip(SKIP_3) | instid1(VALU_DEP_4)
	v_lshlrev_b32_e32 v12, 2, v18
	v_or_b32_e32 v0, -16, v18
	v_mov_b32_e32 v4, s2
	v_lshl_or_b32 v13, v1, 2, 0x1000
	v_lshl_or_b32 v1, v2, 8, v12
	s_delay_alu instid0(VALU_DEP_2)
	v_or_b32_e32 v16, v13, v12
	ds_store_b32 v16, v4
.LBB168_7:                              ; =>This Inner Loop Header: Depth=1
	v_add_nc_u32_e32 v0, 16, v0
	ds_store_b32 v1, v3
	v_add_nc_u32_e32 v1, 64, v1
	v_cmp_lt_u32_e32 vcc_lo, 47, v0
	s_or_b32 s3, vcc_lo, s3
	s_delay_alu instid0(SALU_CYCLE_1)
	s_and_not1_b32 exec_lo, exec_lo, s3
	s_cbranch_execnz .LBB168_7
; %bb.8:
	s_or_b32 exec_lo, exec_lo, s3
	v_lshl_or_b32 v0, s15, 4, v2
	s_waitcnt lgkmcnt(0)
	s_barrier
	buffer_gl0_inv
	v_cmp_gt_i32_e32 vcc_lo, s1, v0
	s_and_saveexec_b32 s1, vcc_lo
	s_cbranch_execz .LBB168_122
; %bb.9:
	s_cmp_eq_u64 s[42:43], 0
	s_cbranch_scc1 .LBB168_11
; %bb.10:
	s_load_b32 s1, s[40:41], 0x0
	s_waitcnt lgkmcnt(0)
	v_add_nc_u32_e32 v0, s1, v0
	s_delay_alu instid0(VALU_DEP_1) | instskip(NEXT) | instid1(VALU_DEP_1)
	v_ashrrev_i32_e32 v1, 31, v0
	v_lshlrev_b64 v[0:1], 2, v[0:1]
	s_delay_alu instid0(VALU_DEP_1) | instskip(NEXT) | instid1(VALU_DEP_2)
	v_add_co_u32 v0, vcc_lo, s42, v0
	v_add_co_ci_u32_e32 v1, vcc_lo, s43, v1, vcc_lo
	global_load_b32 v0, v[0:1], off
.LBB168_11:
	s_waitcnt vmcnt(0)
	v_ashrrev_i32_e32 v1, 31, v0
	v_lshlrev_b32_e32 v14, 8, v2
	s_and_not1_b32 vcc_lo, exec_lo, s13
	s_delay_alu instid0(VALU_DEP_2)
	v_lshlrev_b64 v[4:5], 3, v[0:1]
	s_cbranch_vccnz .LBB168_67
; %bb.12:
	s_delay_alu instid0(VALU_DEP_1) | instskip(NEXT) | instid1(VALU_DEP_2)
	v_add_co_u32 v0, vcc_lo, s16, v4
	v_add_co_ci_u32_e32 v1, vcc_lo, s17, v5, vcc_lo
	v_sub_co_u32 v8, s1, v18, s24
	s_delay_alu instid0(VALU_DEP_1)
	v_sub_co_ci_u32_e64 v9, null, 0, 0, s1
	global_load_b128 v[0:3], v[0:1], off
	s_mov_b32 s3, 0
	s_mov_b32 s1, exec_lo
	s_waitcnt vmcnt(0)
	v_sub_co_u32 v6, vcc_lo, v2, s24
	v_subrev_co_ci_u32_e32 v7, vcc_lo, 0, v3, vcc_lo
	v_add_co_u32 v8, vcc_lo, v0, v8
	v_add_co_ci_u32_e32 v9, vcc_lo, v1, v9, vcc_lo
	s_delay_alu instid0(VALU_DEP_1)
	v_cmpx_lt_i64_e64 v[8:9], v[6:7]
	s_cbranch_execz .LBB168_66
; %bb.13:
	v_add_nc_u32_e32 v19, 4, v14
	v_add_nc_u32_e32 v20, 8, v14
	;; [unrolled: 1-line block ×3, first 2 shown]
	s_cmp_eq_u32 s0, 0
	s_mov_b32 s13, s25
	s_cselect_b32 s14, 1, 2
	s_cselect_b32 s15, 2, 1
	s_branch .LBB168_15
.LBB168_14:                             ;   in Loop: Header=BB168_15 Depth=1
	s_or_b32 exec_lo, exec_lo, s16
	v_add_co_u32 v8, vcc_lo, v8, 16
	v_add_co_ci_u32_e32 v9, vcc_lo, 0, v9, vcc_lo
	s_delay_alu instid0(VALU_DEP_1) | instskip(SKIP_1) | instid1(SALU_CYCLE_1)
	v_cmp_ge_i64_e32 vcc_lo, v[8:9], v[6:7]
	s_or_b32 s3, vcc_lo, s3
	s_and_not1_b32 exec_lo, exec_lo, s3
	s_cbranch_execz .LBB168_66
.LBB168_15:                             ; =>This Loop Header: Depth=1
                                        ;     Child Loop BB168_18 Depth 2
                                        ;       Child Loop BB168_20 Depth 3
                                        ;       Child Loop BB168_32 Depth 3
	;; [unrolled: 1-line block ×4, first 2 shown]
	v_lshlrev_b64 v[10:11], 2, v[8:9]
	s_mov_b32 s16, exec_lo
	s_delay_alu instid0(VALU_DEP_1) | instskip(NEXT) | instid1(VALU_DEP_2)
	v_add_co_u32 v0, vcc_lo, s18, v10
	v_add_co_ci_u32_e32 v1, vcc_lo, s19, v11, vcc_lo
	global_load_b32 v0, v[0:1], off
	s_waitcnt vmcnt(0)
	v_subrev_nc_u32_e32 v0, s24, v0
	s_delay_alu instid0(VALU_DEP_1) | instskip(NEXT) | instid1(VALU_DEP_1)
	v_ashrrev_i32_e32 v1, 31, v0
	v_lshlrev_b64 v[0:1], 3, v[0:1]
	s_delay_alu instid0(VALU_DEP_1) | instskip(NEXT) | instid1(VALU_DEP_2)
	v_add_co_u32 v0, vcc_lo, s22, v0
	v_add_co_ci_u32_e32 v1, vcc_lo, s23, v1, vcc_lo
	global_load_b128 v[0:3], v[0:1], off
	s_waitcnt vmcnt(0)
	v_cmpx_lt_i64_e64 v[0:1], v[2:3]
	s_cbranch_execz .LBB168_14
; %bb.16:                               ;   in Loop: Header=BB168_15 Depth=1
	v_or_b32_e32 v23, 0, v11
	v_or_b32_e32 v22, s15, v10
	v_lshlrev_b64 v[24:25], 4, v[8:9]
	v_or_b32_e32 v11, 0, v11
	v_or_b32_e32 v10, s14, v10
	s_mov_b32 s17, 0
	v_lshlrev_b64 v[22:23], 2, v[22:23]
	s_delay_alu instid0(VALU_DEP_4) | instskip(NEXT) | instid1(VALU_DEP_3)
	v_add_co_u32 v24, vcc_lo, s20, v24
	v_lshlrev_b64 v[10:11], 2, v[10:11]
	v_add_co_ci_u32_e32 v25, vcc_lo, s21, v25, vcc_lo
	s_delay_alu instid0(VALU_DEP_4) | instskip(SKIP_1) | instid1(VALU_DEP_4)
	v_add_co_u32 v22, vcc_lo, s20, v22
	v_add_co_ci_u32_e32 v23, vcc_lo, s21, v23, vcc_lo
	v_add_co_u32 v10, vcc_lo, s20, v10
	v_add_co_ci_u32_e32 v11, vcc_lo, s21, v11, vcc_lo
	s_clause 0x3
	global_load_b32 v26, v[24:25], off offset:12
	global_load_b32 v22, v[22:23], off
	global_load_b32 v23, v[10:11], off
	;; [unrolled: 1-line block ×3, first 2 shown]
	v_sub_co_u32 v2, vcc_lo, v2, s13
	v_subrev_co_ci_u32_e32 v3, vcc_lo, 0, v3, vcc_lo
	v_sub_co_u32 v0, vcc_lo, v0, s13
	v_subrev_co_ci_u32_e32 v1, vcc_lo, 0, v1, vcc_lo
	s_waitcnt vmcnt(3)
	v_mul_f32_e32 v10, v17, v26
	s_waitcnt vmcnt(2)
	v_mul_f32_e32 v11, v17, v22
	s_waitcnt vmcnt(1)
	v_mul_f32_e32 v23, v17, v23
	s_waitcnt vmcnt(0)
	v_mul_f32_e32 v22, v17, v24
	s_branch .LBB168_18
.LBB168_17:                             ;   in Loop: Header=BB168_18 Depth=2
	s_or_b32 exec_lo, exec_lo, s33
	v_add_co_u32 v0, vcc_lo, v0, 1
	v_add_co_ci_u32_e32 v1, vcc_lo, 0, v1, vcc_lo
	s_delay_alu instid0(VALU_DEP_1) | instskip(SKIP_1) | instid1(SALU_CYCLE_1)
	v_cmp_ge_i64_e32 vcc_lo, v[0:1], v[2:3]
	s_or_b32 s17, vcc_lo, s17
	s_and_not1_b32 exec_lo, exec_lo, s17
	s_cbranch_execz .LBB168_14
.LBB168_18:                             ;   Parent Loop BB168_15 Depth=1
                                        ; =>  This Loop Header: Depth=2
                                        ;       Child Loop BB168_20 Depth 3
                                        ;       Child Loop BB168_32 Depth 3
	;; [unrolled: 1-line block ×4, first 2 shown]
	v_lshlrev_b64 v[24:25], 2, v[0:1]
	v_lshlrev_b64 v[30:31], 4, v[0:1]
	s_mov_b32 s33, 0
	s_delay_alu instid0(VALU_DEP_2) | instskip(NEXT) | instid1(VALU_DEP_3)
	v_or_b32_e32 v29, 0, v25
	v_or_b32_e32 v28, s15, v24
	;; [unrolled: 1-line block ×3, first 2 shown]
	v_add_co_u32 v24, vcc_lo, s36, v24
	v_or_b32_e32 v27, 0, v25
	v_add_co_ci_u32_e32 v25, vcc_lo, s37, v25, vcc_lo
	v_lshlrev_b64 v[28:29], 2, v[28:29]
	s_delay_alu instid0(VALU_DEP_3)
	v_lshlrev_b64 v[26:27], 2, v[26:27]
	global_load_b32 v32, v[24:25], off
	v_add_co_u32 v24, vcc_lo, s38, v28
	v_add_co_ci_u32_e32 v25, vcc_lo, s39, v29, vcc_lo
	v_add_co_u32 v30, vcc_lo, s38, v30
	v_add_co_ci_u32_e32 v31, vcc_lo, s39, v31, vcc_lo
	global_load_b32 v28, v[24:25], off
	v_add_co_u32 v24, vcc_lo, s38, v26
	v_add_co_ci_u32_e32 v25, vcc_lo, s39, v27, vcc_lo
	s_clause 0x2
	global_load_b32 v29, v[30:31], off
	global_load_b32 v26, v[24:25], off
	global_load_b32 v27, v[30:31], off offset:12
	s_waitcnt vmcnt(4)
	v_subrev_nc_u32_e32 v24, s25, v32
	s_delay_alu instid0(VALU_DEP_1) | instskip(SKIP_1) | instid1(VALU_DEP_1)
	v_lshl_add_u32 v25, v24, 3, v24
	s_waitcnt vmcnt(3)
	v_dual_mul_f32 v30, v23, v28 :: v_dual_and_b32 v25, 15, v25
	s_waitcnt vmcnt(2)
	s_delay_alu instid0(VALU_DEP_1)
	v_dual_mov_b32 v31, v25 :: v_dual_fmac_f32 v30, v22, v29
	s_branch .LBB168_20
.LBB168_19:                             ;   in Loop: Header=BB168_20 Depth=3
	s_or_b32 exec_lo, exec_lo, s34
	s_xor_b32 s34, s35, -1
	s_delay_alu instid0(SALU_CYCLE_1) | instskip(NEXT) | instid1(SALU_CYCLE_1)
	s_and_b32 s34, exec_lo, s34
	s_or_b32 s33, s34, s33
	s_delay_alu instid0(SALU_CYCLE_1)
	s_and_not1_b32 exec_lo, exec_lo, s33
	s_cbranch_execz .LBB168_30
.LBB168_20:                             ;   Parent Loop BB168_15 Depth=1
                                        ;     Parent Loop BB168_18 Depth=2
                                        ; =>    This Inner Loop Header: Depth=3
	s_delay_alu instid0(VALU_DEP_1)
	v_lshl_add_u32 v32, v31, 2, v13
	s_mov_b32 s34, exec_lo
                                        ; implicit-def: $sgpr35
	ds_load_b32 v33, v32
	s_waitcnt lgkmcnt(0)
	v_cmpx_ne_u32_e64 v33, v24
	s_xor_b32 s34, exec_lo, s34
	s_cbranch_execz .LBB168_28
; %bb.21:                               ;   in Loop: Header=BB168_20 Depth=3
	s_mov_b32 s40, exec_lo
                                        ; implicit-def: $sgpr35
	v_cmpx_ne_u32_e64 s2, v33
	s_xor_b32 s40, exec_lo, s40
; %bb.22:                               ;   in Loop: Header=BB168_20 Depth=3
	v_add_nc_u32_e32 v31, 1, v31
	s_mov_b32 s35, -1
                                        ; implicit-def: $vgpr32
	s_delay_alu instid0(VALU_DEP_1)
	v_and_b32_e32 v31, 15, v31
; %bb.23:                               ;   in Loop: Header=BB168_20 Depth=3
	s_and_not1_saveexec_b32 s40, s40
	s_cbranch_execz .LBB168_27
; %bb.24:                               ;   in Loop: Header=BB168_20 Depth=3
	v_mov_b32_e32 v33, s2
	s_mov_b32 s41, -1
	s_mov_b32 s42, exec_lo
	ds_cmpstore_rtn_b32 v32, v32, v24, v33
	s_waitcnt lgkmcnt(0)
	v_cmpx_eq_u32_e64 s2, v32
	s_cbranch_execz .LBB168_26
; %bb.25:                               ;   in Loop: Header=BB168_20 Depth=3
	v_lshl_add_u32 v32, v31, 4, v14
	s_xor_b32 s41, exec_lo, -1
	ds_add_f32 v32, v30
.LBB168_26:                             ;   in Loop: Header=BB168_20 Depth=3
	s_or_b32 exec_lo, exec_lo, s42
	s_delay_alu instid0(SALU_CYCLE_1) | instskip(SKIP_1) | instid1(SALU_CYCLE_1)
	s_and_not1_b32 s35, s35, exec_lo
	s_and_b32 s41, s41, exec_lo
	s_or_b32 s35, s35, s41
.LBB168_27:                             ;   in Loop: Header=BB168_20 Depth=3
	s_or_b32 exec_lo, exec_lo, s40
	s_delay_alu instid0(SALU_CYCLE_1)
	s_and_b32 s35, s35, exec_lo
.LBB168_28:                             ;   in Loop: Header=BB168_20 Depth=3
	s_and_not1_saveexec_b32 s34, s34
	s_cbranch_execz .LBB168_19
; %bb.29:                               ;   in Loop: Header=BB168_20 Depth=3
	v_lshl_add_u32 v32, v31, 4, v14
	s_and_not1_b32 s35, s35, exec_lo
	ds_add_f32 v32, v30
	s_branch .LBB168_19
.LBB168_30:                             ;   in Loop: Header=BB168_18 Depth=2
	s_or_b32 exec_lo, exec_lo, s33
	s_waitcnt vmcnt(0)
	v_dual_mul_f32 v30, v23, v27 :: v_dual_mov_b32 v31, v25
	s_mov_b32 s33, 0
	s_delay_alu instid0(VALU_DEP_1)
	v_fmac_f32_e32 v30, v22, v26
	s_branch .LBB168_32
.LBB168_31:                             ;   in Loop: Header=BB168_32 Depth=3
	s_or_b32 exec_lo, exec_lo, s34
	s_xor_b32 s34, s35, -1
	s_delay_alu instid0(SALU_CYCLE_1) | instskip(NEXT) | instid1(SALU_CYCLE_1)
	s_and_b32 s34, exec_lo, s34
	s_or_b32 s33, s34, s33
	s_delay_alu instid0(SALU_CYCLE_1)
	s_and_not1_b32 exec_lo, exec_lo, s33
	s_cbranch_execz .LBB168_42
.LBB168_32:                             ;   Parent Loop BB168_15 Depth=1
                                        ;     Parent Loop BB168_18 Depth=2
                                        ; =>    This Inner Loop Header: Depth=3
	s_delay_alu instid0(VALU_DEP_2)
	v_lshl_add_u32 v32, v31, 2, v13
	s_mov_b32 s34, exec_lo
                                        ; implicit-def: $sgpr35
	ds_load_b32 v33, v32
	s_waitcnt lgkmcnt(0)
	v_cmpx_ne_u32_e64 v33, v24
	s_xor_b32 s34, exec_lo, s34
	s_cbranch_execz .LBB168_40
; %bb.33:                               ;   in Loop: Header=BB168_32 Depth=3
	s_mov_b32 s40, exec_lo
                                        ; implicit-def: $sgpr35
	v_cmpx_ne_u32_e64 s2, v33
	s_xor_b32 s40, exec_lo, s40
; %bb.34:                               ;   in Loop: Header=BB168_32 Depth=3
	v_add_nc_u32_e32 v31, 1, v31
	s_mov_b32 s35, -1
                                        ; implicit-def: $vgpr32
	s_delay_alu instid0(VALU_DEP_1)
	v_and_b32_e32 v31, 15, v31
; %bb.35:                               ;   in Loop: Header=BB168_32 Depth=3
	s_and_not1_saveexec_b32 s40, s40
	s_cbranch_execz .LBB168_39
; %bb.36:                               ;   in Loop: Header=BB168_32 Depth=3
	v_mov_b32_e32 v33, s2
	s_mov_b32 s41, -1
	s_mov_b32 s42, exec_lo
	ds_cmpstore_rtn_b32 v32, v32, v24, v33
	s_waitcnt lgkmcnt(0)
	v_cmpx_eq_u32_e64 s2, v32
	s_cbranch_execz .LBB168_38
; %bb.37:                               ;   in Loop: Header=BB168_32 Depth=3
	v_lshl_add_u32 v32, v31, 4, v19
	s_xor_b32 s41, exec_lo, -1
	ds_add_f32 v32, v30
.LBB168_38:                             ;   in Loop: Header=BB168_32 Depth=3
	s_or_b32 exec_lo, exec_lo, s42
	s_delay_alu instid0(SALU_CYCLE_1) | instskip(SKIP_1) | instid1(SALU_CYCLE_1)
	s_and_not1_b32 s35, s35, exec_lo
	s_and_b32 s41, s41, exec_lo
	s_or_b32 s35, s35, s41
.LBB168_39:                             ;   in Loop: Header=BB168_32 Depth=3
	s_or_b32 exec_lo, exec_lo, s40
	s_delay_alu instid0(SALU_CYCLE_1)
	s_and_b32 s35, s35, exec_lo
.LBB168_40:                             ;   in Loop: Header=BB168_32 Depth=3
	s_and_not1_saveexec_b32 s34, s34
	s_cbranch_execz .LBB168_31
; %bb.41:                               ;   in Loop: Header=BB168_32 Depth=3
	v_lshl_add_u32 v32, v31, 4, v19
	s_and_not1_b32 s35, s35, exec_lo
	ds_add_f32 v32, v30
	s_branch .LBB168_31
.LBB168_42:                             ;   in Loop: Header=BB168_18 Depth=2
	s_or_b32 exec_lo, exec_lo, s33
	v_mul_f32_e32 v28, v10, v28
	s_mov_b32 s33, 0
	s_delay_alu instid0(VALU_DEP_1)
	v_dual_fmac_f32 v28, v11, v29 :: v_dual_mov_b32 v29, v25
	s_branch .LBB168_44
.LBB168_43:                             ;   in Loop: Header=BB168_44 Depth=3
	s_or_b32 exec_lo, exec_lo, s34
	s_xor_b32 s34, s35, -1
	s_delay_alu instid0(SALU_CYCLE_1) | instskip(NEXT) | instid1(SALU_CYCLE_1)
	s_and_b32 s34, exec_lo, s34
	s_or_b32 s33, s34, s33
	s_delay_alu instid0(SALU_CYCLE_1)
	s_and_not1_b32 exec_lo, exec_lo, s33
	s_cbranch_execz .LBB168_54
.LBB168_44:                             ;   Parent Loop BB168_15 Depth=1
                                        ;     Parent Loop BB168_18 Depth=2
                                        ; =>    This Inner Loop Header: Depth=3
	s_delay_alu instid0(VALU_DEP_1)
	v_lshl_add_u32 v30, v29, 2, v13
	s_mov_b32 s34, exec_lo
                                        ; implicit-def: $sgpr35
	ds_load_b32 v31, v30
	s_waitcnt lgkmcnt(0)
	v_cmpx_ne_u32_e64 v31, v24
	s_xor_b32 s34, exec_lo, s34
	s_cbranch_execz .LBB168_52
; %bb.45:                               ;   in Loop: Header=BB168_44 Depth=3
	s_mov_b32 s40, exec_lo
                                        ; implicit-def: $sgpr35
	v_cmpx_ne_u32_e64 s2, v31
	s_xor_b32 s40, exec_lo, s40
; %bb.46:                               ;   in Loop: Header=BB168_44 Depth=3
	v_add_nc_u32_e32 v29, 1, v29
	s_mov_b32 s35, -1
                                        ; implicit-def: $vgpr30
	s_delay_alu instid0(VALU_DEP_1)
	v_and_b32_e32 v29, 15, v29
; %bb.47:                               ;   in Loop: Header=BB168_44 Depth=3
	s_and_not1_saveexec_b32 s40, s40
	s_cbranch_execz .LBB168_51
; %bb.48:                               ;   in Loop: Header=BB168_44 Depth=3
	v_mov_b32_e32 v31, s2
	s_mov_b32 s41, -1
	s_mov_b32 s42, exec_lo
	ds_cmpstore_rtn_b32 v30, v30, v24, v31
	s_waitcnt lgkmcnt(0)
	v_cmpx_eq_u32_e64 s2, v30
	s_cbranch_execz .LBB168_50
; %bb.49:                               ;   in Loop: Header=BB168_44 Depth=3
	v_lshl_add_u32 v30, v29, 4, v20
	s_xor_b32 s41, exec_lo, -1
	ds_add_f32 v30, v28
.LBB168_50:                             ;   in Loop: Header=BB168_44 Depth=3
	s_or_b32 exec_lo, exec_lo, s42
	s_delay_alu instid0(SALU_CYCLE_1) | instskip(SKIP_1) | instid1(SALU_CYCLE_1)
	s_and_not1_b32 s35, s35, exec_lo
	s_and_b32 s41, s41, exec_lo
	s_or_b32 s35, s35, s41
.LBB168_51:                             ;   in Loop: Header=BB168_44 Depth=3
	s_or_b32 exec_lo, exec_lo, s40
	s_delay_alu instid0(SALU_CYCLE_1)
	s_and_b32 s35, s35, exec_lo
.LBB168_52:                             ;   in Loop: Header=BB168_44 Depth=3
	s_and_not1_saveexec_b32 s34, s34
	s_cbranch_execz .LBB168_43
; %bb.53:                               ;   in Loop: Header=BB168_44 Depth=3
	v_lshl_add_u32 v30, v29, 4, v20
	s_and_not1_b32 s35, s35, exec_lo
	ds_add_f32 v30, v28
	s_branch .LBB168_43
.LBB168_54:                             ;   in Loop: Header=BB168_18 Depth=2
	s_or_b32 exec_lo, exec_lo, s33
	v_mul_f32_e32 v27, v10, v27
	s_mov_b32 s33, 0
	s_delay_alu instid0(VALU_DEP_1)
	v_fmac_f32_e32 v27, v11, v26
	s_branch .LBB168_56
.LBB168_55:                             ;   in Loop: Header=BB168_56 Depth=3
	s_or_b32 exec_lo, exec_lo, s34
	s_xor_b32 s34, s35, -1
	s_delay_alu instid0(SALU_CYCLE_1) | instskip(NEXT) | instid1(SALU_CYCLE_1)
	s_and_b32 s34, exec_lo, s34
	s_or_b32 s33, s34, s33
	s_delay_alu instid0(SALU_CYCLE_1)
	s_and_not1_b32 exec_lo, exec_lo, s33
	s_cbranch_execz .LBB168_17
.LBB168_56:                             ;   Parent Loop BB168_15 Depth=1
                                        ;     Parent Loop BB168_18 Depth=2
                                        ; =>    This Inner Loop Header: Depth=3
	v_lshl_add_u32 v26, v25, 2, v13
	s_mov_b32 s34, exec_lo
                                        ; implicit-def: $sgpr35
	ds_load_b32 v28, v26
	s_waitcnt lgkmcnt(0)
	v_cmpx_ne_u32_e64 v28, v24
	s_xor_b32 s34, exec_lo, s34
	s_cbranch_execz .LBB168_64
; %bb.57:                               ;   in Loop: Header=BB168_56 Depth=3
	s_mov_b32 s40, exec_lo
                                        ; implicit-def: $sgpr35
	v_cmpx_ne_u32_e64 s2, v28
	s_xor_b32 s40, exec_lo, s40
; %bb.58:                               ;   in Loop: Header=BB168_56 Depth=3
	v_add_nc_u32_e32 v25, 1, v25
	s_mov_b32 s35, -1
                                        ; implicit-def: $vgpr26
	s_delay_alu instid0(VALU_DEP_1)
	v_and_b32_e32 v25, 15, v25
; %bb.59:                               ;   in Loop: Header=BB168_56 Depth=3
	s_and_not1_saveexec_b32 s40, s40
	s_cbranch_execz .LBB168_63
; %bb.60:                               ;   in Loop: Header=BB168_56 Depth=3
	v_mov_b32_e32 v28, s2
	s_mov_b32 s41, -1
	s_mov_b32 s42, exec_lo
	ds_cmpstore_rtn_b32 v26, v26, v24, v28
	s_waitcnt lgkmcnt(0)
	v_cmpx_eq_u32_e64 s2, v26
	s_cbranch_execz .LBB168_62
; %bb.61:                               ;   in Loop: Header=BB168_56 Depth=3
	v_lshl_add_u32 v26, v25, 4, v21
	s_xor_b32 s41, exec_lo, -1
	ds_add_f32 v26, v27
.LBB168_62:                             ;   in Loop: Header=BB168_56 Depth=3
	s_or_b32 exec_lo, exec_lo, s42
	s_delay_alu instid0(SALU_CYCLE_1) | instskip(SKIP_1) | instid1(SALU_CYCLE_1)
	s_and_not1_b32 s35, s35, exec_lo
	s_and_b32 s41, s41, exec_lo
	s_or_b32 s35, s35, s41
.LBB168_63:                             ;   in Loop: Header=BB168_56 Depth=3
	s_or_b32 exec_lo, exec_lo, s40
	s_delay_alu instid0(SALU_CYCLE_1)
	s_and_b32 s35, s35, exec_lo
.LBB168_64:                             ;   in Loop: Header=BB168_56 Depth=3
	s_and_not1_saveexec_b32 s34, s34
	s_cbranch_execz .LBB168_55
; %bb.65:                               ;   in Loop: Header=BB168_56 Depth=3
	v_lshl_add_u32 v26, v25, 4, v21
	s_and_not1_b32 s35, s35, exec_lo
	ds_add_f32 v26, v27
	s_branch .LBB168_55
.LBB168_66:
	s_or_b32 exec_lo, exec_lo, s1
.LBB168_67:
	s_delay_alu instid0(SALU_CYCLE_1)
	s_and_not1_b32 vcc_lo, exec_lo, s12
	s_waitcnt lgkmcnt(0)
	buffer_gl0_inv
	s_cbranch_vccnz .LBB168_120
; %bb.68:
	v_add_co_u32 v0, vcc_lo, s4, v4
	v_add_co_ci_u32_e32 v1, vcc_lo, s5, v5, vcc_lo
	v_sub_co_u32 v2, s1, v18, s27
	s_delay_alu instid0(VALU_DEP_1)
	v_sub_co_ci_u32_e64 v3, null, 0, 0, s1
	global_load_b128 v[6:9], v[0:1], off
	s_mov_b32 s3, 0
	s_mov_b32 s1, exec_lo
	s_waitcnt vmcnt(0)
	v_sub_co_u32 v0, vcc_lo, v8, s27
	v_subrev_co_ci_u32_e32 v1, vcc_lo, 0, v9, vcc_lo
	v_add_co_u32 v2, vcc_lo, v6, v2
	v_add_co_ci_u32_e32 v3, vcc_lo, v7, v3, vcc_lo
	s_delay_alu instid0(VALU_DEP_1)
	v_cmpx_lt_i64_e64 v[2:3], v[0:1]
	s_cbranch_execz .LBB168_119
; %bb.69:
	v_add_nc_u32_e32 v6, 4, v14
	v_add_nc_u32_e32 v7, 8, v14
	;; [unrolled: 1-line block ×3, first 2 shown]
	s_cmp_eq_u32 s0, 0
	s_cselect_b32 s4, 1, 2
	s_cselect_b32 s5, 2, 1
	s_branch .LBB168_71
.LBB168_70:                             ;   in Loop: Header=BB168_71 Depth=1
	s_or_b32 exec_lo, exec_lo, s12
	v_add_co_u32 v2, vcc_lo, v2, 16
	v_add_co_ci_u32_e32 v3, vcc_lo, 0, v3, vcc_lo
	s_delay_alu instid0(VALU_DEP_1) | instskip(SKIP_1) | instid1(SALU_CYCLE_1)
	v_cmp_ge_i64_e32 vcc_lo, v[2:3], v[0:1]
	s_or_b32 s3, vcc_lo, s3
	s_and_not1_b32 exec_lo, exec_lo, s3
	s_cbranch_execz .LBB168_119
.LBB168_71:                             ; =>This Loop Header: Depth=1
                                        ;     Child Loop BB168_73 Depth 2
                                        ;     Child Loop BB168_85 Depth 2
	;; [unrolled: 1-line block ×4, first 2 shown]
	v_lshlrev_b64 v[9:10], 2, v[2:3]
	v_lshlrev_b64 v[17:18], 4, v[2:3]
	s_mov_b32 s12, 0
	s_delay_alu instid0(VALU_DEP_2) | instskip(NEXT) | instid1(VALU_DEP_3)
	v_add_co_u32 v21, vcc_lo, s6, v9
	v_add_co_ci_u32_e32 v22, vcc_lo, s7, v10, vcc_lo
	v_or_b32_e32 v20, 0, v10
	v_or_b32_e32 v19, s5, v9
	v_or_b32_e32 v11, 0, v10
	global_load_b32 v21, v[21:22], off
	v_add_co_u32 v23, vcc_lo, s8, v17
	v_or_b32_e32 v10, s4, v9
	v_add_co_ci_u32_e32 v24, vcc_lo, s9, v18, vcc_lo
	v_lshlrev_b64 v[17:18], 2, v[19:20]
	s_delay_alu instid0(VALU_DEP_3)
	v_lshlrev_b64 v[9:10], 2, v[10:11]
	global_load_b32 v19, v[23:24], off
	v_add_co_u32 v17, vcc_lo, s8, v17
	v_add_co_ci_u32_e32 v18, vcc_lo, s9, v18, vcc_lo
	v_add_co_u32 v9, vcc_lo, s8, v9
	v_add_co_ci_u32_e32 v10, vcc_lo, s9, v10, vcc_lo
	s_clause 0x2
	global_load_b32 v17, v[17:18], off
	global_load_b32 v18, v[9:10], off
	global_load_b32 v11, v[23:24], off offset:12
	s_waitcnt vmcnt(4)
	v_subrev_nc_u32_e32 v9, s27, v21
	s_delay_alu instid0(VALU_DEP_1) | instskip(SKIP_1) | instid1(VALU_DEP_1)
	v_lshl_add_u32 v10, v9, 3, v9
	s_waitcnt vmcnt(3)
	v_dual_mul_f32 v19, v15, v19 :: v_dual_and_b32 v10, 15, v10
	s_delay_alu instid0(VALU_DEP_1)
	v_mov_b32_e32 v20, v10
	s_branch .LBB168_73
.LBB168_72:                             ;   in Loop: Header=BB168_73 Depth=2
	s_or_b32 exec_lo, exec_lo, s13
	s_xor_b32 s13, s14, -1
	s_delay_alu instid0(SALU_CYCLE_1) | instskip(NEXT) | instid1(SALU_CYCLE_1)
	s_and_b32 s13, exec_lo, s13
	s_or_b32 s12, s13, s12
	s_delay_alu instid0(SALU_CYCLE_1)
	s_and_not1_b32 exec_lo, exec_lo, s12
	s_cbranch_execz .LBB168_83
.LBB168_73:                             ;   Parent Loop BB168_71 Depth=1
                                        ; =>  This Inner Loop Header: Depth=2
	s_delay_alu instid0(VALU_DEP_1)
	v_lshl_add_u32 v21, v20, 2, v13
	s_mov_b32 s13, exec_lo
                                        ; implicit-def: $sgpr14
	ds_load_b32 v22, v21
	s_waitcnt lgkmcnt(0)
	v_cmpx_ne_u32_e64 v22, v9
	s_xor_b32 s13, exec_lo, s13
	s_cbranch_execz .LBB168_81
; %bb.74:                               ;   in Loop: Header=BB168_73 Depth=2
	s_mov_b32 s15, exec_lo
                                        ; implicit-def: $sgpr14
	v_cmpx_ne_u32_e64 s2, v22
	s_xor_b32 s15, exec_lo, s15
; %bb.75:                               ;   in Loop: Header=BB168_73 Depth=2
	v_add_nc_u32_e32 v20, 1, v20
	s_mov_b32 s14, -1
                                        ; implicit-def: $vgpr21
	s_delay_alu instid0(VALU_DEP_1)
	v_and_b32_e32 v20, 15, v20
; %bb.76:                               ;   in Loop: Header=BB168_73 Depth=2
	s_and_not1_saveexec_b32 s15, s15
	s_cbranch_execz .LBB168_80
; %bb.77:                               ;   in Loop: Header=BB168_73 Depth=2
	v_mov_b32_e32 v22, s2
	s_mov_b32 s16, -1
	s_mov_b32 s17, exec_lo
	ds_cmpstore_rtn_b32 v21, v21, v9, v22
	s_waitcnt lgkmcnt(0)
	v_cmpx_eq_u32_e64 s2, v21
	s_cbranch_execz .LBB168_79
; %bb.78:                               ;   in Loop: Header=BB168_73 Depth=2
	v_lshl_add_u32 v21, v20, 4, v14
	s_xor_b32 s16, exec_lo, -1
	ds_add_f32 v21, v19
.LBB168_79:                             ;   in Loop: Header=BB168_73 Depth=2
	s_or_b32 exec_lo, exec_lo, s17
	s_delay_alu instid0(SALU_CYCLE_1) | instskip(SKIP_1) | instid1(SALU_CYCLE_1)
	s_and_not1_b32 s14, s14, exec_lo
	s_and_b32 s16, s16, exec_lo
	s_or_b32 s14, s14, s16
.LBB168_80:                             ;   in Loop: Header=BB168_73 Depth=2
	s_or_b32 exec_lo, exec_lo, s15
	s_delay_alu instid0(SALU_CYCLE_1)
	s_and_b32 s14, s14, exec_lo
.LBB168_81:                             ;   in Loop: Header=BB168_73 Depth=2
	s_and_not1_saveexec_b32 s13, s13
	s_cbranch_execz .LBB168_72
; %bb.82:                               ;   in Loop: Header=BB168_73 Depth=2
	v_lshl_add_u32 v21, v20, 4, v14
	s_and_not1_b32 s14, s14, exec_lo
	ds_add_f32 v21, v19
	s_branch .LBB168_72
.LBB168_83:                             ;   in Loop: Header=BB168_71 Depth=1
	s_or_b32 exec_lo, exec_lo, s12
	s_waitcnt vmcnt(1)
	v_dual_mul_f32 v18, v15, v18 :: v_dual_mov_b32 v19, v10
	s_mov_b32 s12, 0
	s_branch .LBB168_85
.LBB168_84:                             ;   in Loop: Header=BB168_85 Depth=2
	s_or_b32 exec_lo, exec_lo, s13
	s_xor_b32 s13, s14, -1
	s_delay_alu instid0(SALU_CYCLE_1) | instskip(NEXT) | instid1(SALU_CYCLE_1)
	s_and_b32 s13, exec_lo, s13
	s_or_b32 s12, s13, s12
	s_delay_alu instid0(SALU_CYCLE_1)
	s_and_not1_b32 exec_lo, exec_lo, s12
	s_cbranch_execz .LBB168_95
.LBB168_85:                             ;   Parent Loop BB168_71 Depth=1
                                        ; =>  This Inner Loop Header: Depth=2
	s_delay_alu instid0(VALU_DEP_1)
	v_lshl_add_u32 v20, v19, 2, v13
	s_mov_b32 s13, exec_lo
                                        ; implicit-def: $sgpr14
	ds_load_b32 v21, v20
	s_waitcnt lgkmcnt(0)
	v_cmpx_ne_u32_e64 v21, v9
	s_xor_b32 s13, exec_lo, s13
	s_cbranch_execz .LBB168_93
; %bb.86:                               ;   in Loop: Header=BB168_85 Depth=2
	s_mov_b32 s15, exec_lo
                                        ; implicit-def: $sgpr14
	v_cmpx_ne_u32_e64 s2, v21
	s_xor_b32 s15, exec_lo, s15
; %bb.87:                               ;   in Loop: Header=BB168_85 Depth=2
	v_add_nc_u32_e32 v19, 1, v19
	s_mov_b32 s14, -1
                                        ; implicit-def: $vgpr20
	s_delay_alu instid0(VALU_DEP_1)
	v_and_b32_e32 v19, 15, v19
; %bb.88:                               ;   in Loop: Header=BB168_85 Depth=2
	s_and_not1_saveexec_b32 s15, s15
	s_cbranch_execz .LBB168_92
; %bb.89:                               ;   in Loop: Header=BB168_85 Depth=2
	v_mov_b32_e32 v21, s2
	s_mov_b32 s16, -1
	s_mov_b32 s17, exec_lo
	ds_cmpstore_rtn_b32 v20, v20, v9, v21
	s_waitcnt lgkmcnt(0)
	v_cmpx_eq_u32_e64 s2, v20
	s_cbranch_execz .LBB168_91
; %bb.90:                               ;   in Loop: Header=BB168_85 Depth=2
	v_lshl_add_u32 v20, v19, 4, v6
	s_xor_b32 s16, exec_lo, -1
	ds_add_f32 v20, v18
.LBB168_91:                             ;   in Loop: Header=BB168_85 Depth=2
	s_or_b32 exec_lo, exec_lo, s17
	s_delay_alu instid0(SALU_CYCLE_1) | instskip(SKIP_1) | instid1(SALU_CYCLE_1)
	s_and_not1_b32 s14, s14, exec_lo
	s_and_b32 s16, s16, exec_lo
	s_or_b32 s14, s14, s16
.LBB168_92:                             ;   in Loop: Header=BB168_85 Depth=2
	s_or_b32 exec_lo, exec_lo, s15
	s_delay_alu instid0(SALU_CYCLE_1)
	s_and_b32 s14, s14, exec_lo
.LBB168_93:                             ;   in Loop: Header=BB168_85 Depth=2
	s_and_not1_saveexec_b32 s13, s13
	s_cbranch_execz .LBB168_84
; %bb.94:                               ;   in Loop: Header=BB168_85 Depth=2
	v_lshl_add_u32 v20, v19, 4, v6
	s_and_not1_b32 s14, s14, exec_lo
	ds_add_f32 v20, v18
	s_branch .LBB168_84
.LBB168_95:                             ;   in Loop: Header=BB168_71 Depth=1
	s_or_b32 exec_lo, exec_lo, s12
	v_dual_mul_f32 v17, v15, v17 :: v_dual_mov_b32 v18, v10
	s_mov_b32 s12, 0
	s_branch .LBB168_97
.LBB168_96:                             ;   in Loop: Header=BB168_97 Depth=2
	s_or_b32 exec_lo, exec_lo, s13
	s_xor_b32 s13, s14, -1
	s_delay_alu instid0(SALU_CYCLE_1) | instskip(NEXT) | instid1(SALU_CYCLE_1)
	s_and_b32 s13, exec_lo, s13
	s_or_b32 s12, s13, s12
	s_delay_alu instid0(SALU_CYCLE_1)
	s_and_not1_b32 exec_lo, exec_lo, s12
	s_cbranch_execz .LBB168_107
.LBB168_97:                             ;   Parent Loop BB168_71 Depth=1
                                        ; =>  This Inner Loop Header: Depth=2
	s_delay_alu instid0(VALU_DEP_1)
	v_lshl_add_u32 v19, v18, 2, v13
	s_mov_b32 s13, exec_lo
                                        ; implicit-def: $sgpr14
	ds_load_b32 v20, v19
	s_waitcnt lgkmcnt(0)
	v_cmpx_ne_u32_e64 v20, v9
	s_xor_b32 s13, exec_lo, s13
	s_cbranch_execz .LBB168_105
; %bb.98:                               ;   in Loop: Header=BB168_97 Depth=2
	s_mov_b32 s15, exec_lo
                                        ; implicit-def: $sgpr14
	v_cmpx_ne_u32_e64 s2, v20
	s_xor_b32 s15, exec_lo, s15
; %bb.99:                               ;   in Loop: Header=BB168_97 Depth=2
	v_add_nc_u32_e32 v18, 1, v18
	s_mov_b32 s14, -1
                                        ; implicit-def: $vgpr19
	s_delay_alu instid0(VALU_DEP_1)
	v_and_b32_e32 v18, 15, v18
; %bb.100:                              ;   in Loop: Header=BB168_97 Depth=2
	s_and_not1_saveexec_b32 s15, s15
	s_cbranch_execz .LBB168_104
; %bb.101:                              ;   in Loop: Header=BB168_97 Depth=2
	v_mov_b32_e32 v20, s2
	s_mov_b32 s16, -1
	s_mov_b32 s17, exec_lo
	ds_cmpstore_rtn_b32 v19, v19, v9, v20
	s_waitcnt lgkmcnt(0)
	v_cmpx_eq_u32_e64 s2, v19
	s_cbranch_execz .LBB168_103
; %bb.102:                              ;   in Loop: Header=BB168_97 Depth=2
	v_lshl_add_u32 v19, v18, 4, v7
	s_xor_b32 s16, exec_lo, -1
	ds_add_f32 v19, v17
.LBB168_103:                            ;   in Loop: Header=BB168_97 Depth=2
	s_or_b32 exec_lo, exec_lo, s17
	s_delay_alu instid0(SALU_CYCLE_1) | instskip(SKIP_1) | instid1(SALU_CYCLE_1)
	s_and_not1_b32 s14, s14, exec_lo
	s_and_b32 s16, s16, exec_lo
	s_or_b32 s14, s14, s16
.LBB168_104:                            ;   in Loop: Header=BB168_97 Depth=2
	s_or_b32 exec_lo, exec_lo, s15
	s_delay_alu instid0(SALU_CYCLE_1)
	s_and_b32 s14, s14, exec_lo
.LBB168_105:                            ;   in Loop: Header=BB168_97 Depth=2
	s_and_not1_saveexec_b32 s13, s13
	s_cbranch_execz .LBB168_96
; %bb.106:                              ;   in Loop: Header=BB168_97 Depth=2
	v_lshl_add_u32 v19, v18, 4, v7
	s_and_not1_b32 s14, s14, exec_lo
	ds_add_f32 v19, v17
	s_branch .LBB168_96
.LBB168_107:                            ;   in Loop: Header=BB168_71 Depth=1
	s_or_b32 exec_lo, exec_lo, s12
	s_waitcnt vmcnt(0)
	v_mul_f32_e32 v11, v15, v11
	s_mov_b32 s12, 0
	s_branch .LBB168_109
.LBB168_108:                            ;   in Loop: Header=BB168_109 Depth=2
	s_or_b32 exec_lo, exec_lo, s13
	s_xor_b32 s13, s14, -1
	s_delay_alu instid0(SALU_CYCLE_1) | instskip(NEXT) | instid1(SALU_CYCLE_1)
	s_and_b32 s13, exec_lo, s13
	s_or_b32 s12, s13, s12
	s_delay_alu instid0(SALU_CYCLE_1)
	s_and_not1_b32 exec_lo, exec_lo, s12
	s_cbranch_execz .LBB168_70
.LBB168_109:                            ;   Parent Loop BB168_71 Depth=1
                                        ; =>  This Inner Loop Header: Depth=2
	v_lshl_add_u32 v17, v10, 2, v13
	s_mov_b32 s13, exec_lo
                                        ; implicit-def: $sgpr14
	ds_load_b32 v18, v17
	s_waitcnt lgkmcnt(0)
	v_cmpx_ne_u32_e64 v18, v9
	s_xor_b32 s13, exec_lo, s13
	s_cbranch_execz .LBB168_117
; %bb.110:                              ;   in Loop: Header=BB168_109 Depth=2
	s_mov_b32 s15, exec_lo
                                        ; implicit-def: $sgpr14
	v_cmpx_ne_u32_e64 s2, v18
	s_xor_b32 s15, exec_lo, s15
; %bb.111:                              ;   in Loop: Header=BB168_109 Depth=2
	v_add_nc_u32_e32 v10, 1, v10
	s_mov_b32 s14, -1
                                        ; implicit-def: $vgpr17
	s_delay_alu instid0(VALU_DEP_1)
	v_and_b32_e32 v10, 15, v10
; %bb.112:                              ;   in Loop: Header=BB168_109 Depth=2
	s_and_not1_saveexec_b32 s15, s15
	s_cbranch_execz .LBB168_116
; %bb.113:                              ;   in Loop: Header=BB168_109 Depth=2
	v_mov_b32_e32 v18, s2
	s_mov_b32 s16, -1
	s_mov_b32 s17, exec_lo
	ds_cmpstore_rtn_b32 v17, v17, v9, v18
	s_waitcnt lgkmcnt(0)
	v_cmpx_eq_u32_e64 s2, v17
	s_cbranch_execz .LBB168_115
; %bb.114:                              ;   in Loop: Header=BB168_109 Depth=2
	v_lshl_add_u32 v17, v10, 4, v8
	s_xor_b32 s16, exec_lo, -1
	ds_add_f32 v17, v11
.LBB168_115:                            ;   in Loop: Header=BB168_109 Depth=2
	s_or_b32 exec_lo, exec_lo, s17
	s_delay_alu instid0(SALU_CYCLE_1) | instskip(SKIP_1) | instid1(SALU_CYCLE_1)
	s_and_not1_b32 s14, s14, exec_lo
	s_and_b32 s16, s16, exec_lo
	s_or_b32 s14, s14, s16
.LBB168_116:                            ;   in Loop: Header=BB168_109 Depth=2
	s_or_b32 exec_lo, exec_lo, s15
	s_delay_alu instid0(SALU_CYCLE_1)
	s_and_b32 s14, s14, exec_lo
.LBB168_117:                            ;   in Loop: Header=BB168_109 Depth=2
	s_and_not1_saveexec_b32 s13, s13
	s_cbranch_execz .LBB168_108
; %bb.118:                              ;   in Loop: Header=BB168_109 Depth=2
	v_lshl_add_u32 v17, v10, 4, v8
	s_and_not1_b32 s14, s14, exec_lo
	ds_add_f32 v17, v11
	s_branch .LBB168_108
.LBB168_119:
	s_or_b32 exec_lo, exec_lo, s1
.LBB168_120:
	s_waitcnt lgkmcnt(0)
	buffer_gl0_inv
	ds_load_b32 v0, v16
	s_waitcnt lgkmcnt(0)
	v_cmp_gt_i32_e32 vcc_lo, s2, v0
	s_and_b32 exec_lo, exec_lo, vcc_lo
	s_cbranch_execz .LBB168_122
; %bb.121:
	v_add_co_u32 v1, vcc_lo, s10, v4
	v_add_co_ci_u32_e32 v2, vcc_lo, s11, v5, vcc_lo
	s_cmp_eq_u32 s0, 0
	v_lshl_add_u32 v11, v12, 2, v14
	s_cselect_b32 s0, 1, 2
	global_load_b64 v[9:10], v[1:2], off
	ds_load_b128 v[1:4], v13
	ds_load_b128 v[5:8], v13 offset:16
	ds_load_b128 v[15:18], v13 offset:32
	;; [unrolled: 1-line block ×3, first 2 shown]
	s_cselect_b32 s1, 2, 1
	v_or_b32_e32 v23, s0, v12
	v_or_b32_e32 v13, s1, v12
	ds_load_2addr_b32 v[11:12], v11 offset1:3
	v_lshl_add_u32 v23, v23, 2, v14
	s_waitcnt lgkmcnt(4)
	v_cmp_gt_i32_e32 vcc_lo, v0, v1
	v_cndmask_b32_e64 v1, 0, 1, vcc_lo
	s_waitcnt vmcnt(0)
	v_sub_co_u32 v9, vcc_lo, v9, s26
	v_subrev_co_ci_u32_e32 v10, vcc_lo, 0, v10, vcc_lo
	v_cmp_gt_i32_e32 vcc_lo, v0, v2
	v_cndmask_b32_e64 v2, 0, 1, vcc_lo
	s_delay_alu instid0(VALU_DEP_4) | instskip(NEXT) | instid1(VALU_DEP_4)
	v_add_co_u32 v1, vcc_lo, v9, v1
	v_add_co_ci_u32_e32 v9, vcc_lo, 0, v10, vcc_lo
	v_cmp_gt_i32_e32 vcc_lo, v0, v3
	v_cndmask_b32_e64 v3, 0, 1, vcc_lo
	s_delay_alu instid0(VALU_DEP_4) | instskip(NEXT) | instid1(VALU_DEP_4)
	v_add_co_u32 v1, vcc_lo, v1, v2
	v_add_co_ci_u32_e32 v2, vcc_lo, 0, v9, vcc_lo
	;; [unrolled: 5-line block ×3, first 2 shown]
	s_waitcnt lgkmcnt(3)
	v_cmp_gt_i32_e32 vcc_lo, v0, v5
	v_cndmask_b32_e64 v3, 0, 1, vcc_lo
	v_add_co_u32 v1, vcc_lo, v1, v4
	v_add_co_ci_u32_e32 v2, vcc_lo, 0, v2, vcc_lo
	v_cmp_gt_i32_e32 vcc_lo, v0, v6
	v_cndmask_b32_e64 v4, 0, 1, vcc_lo
	s_delay_alu instid0(VALU_DEP_4) | instskip(NEXT) | instid1(VALU_DEP_4)
	v_add_co_u32 v1, vcc_lo, v1, v3
	v_add_co_ci_u32_e32 v2, vcc_lo, 0, v2, vcc_lo
	v_cmp_gt_i32_e32 vcc_lo, v0, v7
	v_cndmask_b32_e64 v3, 0, 1, vcc_lo
	s_delay_alu instid0(VALU_DEP_4) | instskip(NEXT) | instid1(VALU_DEP_4)
	v_add_co_u32 v1, vcc_lo, v1, v4
	v_add_co_ci_u32_e32 v2, vcc_lo, 0, v2, vcc_lo
	v_cmp_gt_i32_e32 vcc_lo, v0, v8
	v_add_nc_u32_e32 v8, s26, v0
	v_cndmask_b32_e64 v4, 0, 1, vcc_lo
	v_add_co_u32 v1, vcc_lo, v1, v3
	v_add_co_ci_u32_e32 v2, vcc_lo, 0, v2, vcc_lo
	s_waitcnt lgkmcnt(2)
	v_cmp_gt_i32_e32 vcc_lo, v0, v15
	v_cndmask_b32_e64 v3, 0, 1, vcc_lo
	v_add_co_u32 v1, vcc_lo, v1, v4
	v_add_co_ci_u32_e32 v2, vcc_lo, 0, v2, vcc_lo
	v_cmp_gt_i32_e32 vcc_lo, v0, v16
	v_cndmask_b32_e64 v4, 0, 1, vcc_lo
	s_delay_alu instid0(VALU_DEP_4) | instskip(NEXT) | instid1(VALU_DEP_4)
	v_add_co_u32 v1, vcc_lo, v1, v3
	v_add_co_ci_u32_e32 v2, vcc_lo, 0, v2, vcc_lo
	v_cmp_gt_i32_e32 vcc_lo, v0, v17
	v_cndmask_b32_e64 v3, 0, 1, vcc_lo
	s_delay_alu instid0(VALU_DEP_4) | instskip(NEXT) | instid1(VALU_DEP_4)
	;; [unrolled: 5-line block ×3, first 2 shown]
	v_add_co_u32 v1, vcc_lo, v1, v3
	v_add_co_ci_u32_e32 v2, vcc_lo, 0, v2, vcc_lo
	s_waitcnt lgkmcnt(1)
	v_cmp_gt_i32_e32 vcc_lo, v0, v19
	v_cndmask_b32_e64 v3, 0, 1, vcc_lo
	v_add_co_u32 v1, vcc_lo, v1, v4
	v_add_co_ci_u32_e32 v2, vcc_lo, 0, v2, vcc_lo
	v_cmp_gt_i32_e32 vcc_lo, v0, v20
	v_cndmask_b32_e64 v4, 0, 1, vcc_lo
	s_delay_alu instid0(VALU_DEP_4) | instskip(NEXT) | instid1(VALU_DEP_4)
	v_add_co_u32 v1, vcc_lo, v1, v3
	v_add_co_ci_u32_e32 v2, vcc_lo, 0, v2, vcc_lo
	v_cmp_gt_i32_e32 vcc_lo, v0, v21
	v_cndmask_b32_e64 v3, 0, 1, vcc_lo
	s_delay_alu instid0(VALU_DEP_4) | instskip(NEXT) | instid1(VALU_DEP_4)
	v_add_co_u32 v1, vcc_lo, v1, v4
	v_add_co_ci_u32_e32 v2, vcc_lo, 0, v2, vcc_lo
	v_cmp_gt_i32_e32 vcc_lo, v0, v22
	s_waitcnt lgkmcnt(0)
	v_mov_b32_e32 v0, v11
	v_cndmask_b32_e64 v4, 0, 1, vcc_lo
	v_add_co_u32 v1, vcc_lo, v1, v3
	v_add_co_ci_u32_e32 v2, vcc_lo, 0, v2, vcc_lo
	v_lshl_add_u32 v3, v13, 2, v14
	s_delay_alu instid0(VALU_DEP_3) | instskip(NEXT) | instid1(VALU_DEP_3)
	v_add_co_u32 v4, vcc_lo, v1, v4
	v_add_co_ci_u32_e32 v5, vcc_lo, 0, v2, vcc_lo
	ds_load_b32 v1, v23
	ds_load_b32 v2, v3
	v_mov_b32_e32 v3, v12
	v_lshlrev_b64 v[6:7], 2, v[4:5]
	v_lshlrev_b64 v[4:5], 4, v[4:5]
	s_delay_alu instid0(VALU_DEP_2) | instskip(NEXT) | instid1(VALU_DEP_3)
	v_add_co_u32 v6, vcc_lo, s28, v6
	v_add_co_ci_u32_e32 v7, vcc_lo, s29, v7, vcc_lo
	s_delay_alu instid0(VALU_DEP_3) | instskip(NEXT) | instid1(VALU_DEP_4)
	v_add_co_u32 v4, vcc_lo, s30, v4
	v_add_co_ci_u32_e32 v5, vcc_lo, s31, v5, vcc_lo
	global_store_b32 v[6:7], v8, off
	s_waitcnt lgkmcnt(0)
	global_store_b128 v[4:5], v[0:3], off
.LBB168_122:
	s_nop 0
	s_sendmsg sendmsg(MSG_DEALLOC_VGPRS)
	s_endpgm
	.section	.rodata,"a",@progbits
	.p2align	6, 0x0
	.amdhsa_kernel _ZN9rocsparseL27bsrgemm_fill_wf_per_row_2x2ILj256ELj16ELj16ELj137ElifEEv20rocsparse_direction_T4_S2_PKS2_S4_NS_24const_host_device_scalarIT5_EEPKT3_S4_PKS6_SA_S4_SC_S7_SA_S4_SC_SA_PS2_PS6_21rocsparse_index_base_SF_SF_SF_bbb
		.amdhsa_group_segment_fixed_size 5120
		.amdhsa_private_segment_fixed_size 0
		.amdhsa_kernarg_size 164
		.amdhsa_user_sgpr_count 15
		.amdhsa_user_sgpr_dispatch_ptr 0
		.amdhsa_user_sgpr_queue_ptr 0
		.amdhsa_user_sgpr_kernarg_segment_ptr 1
		.amdhsa_user_sgpr_dispatch_id 0
		.amdhsa_user_sgpr_private_segment_size 0
		.amdhsa_wavefront_size32 1
		.amdhsa_uses_dynamic_stack 0
		.amdhsa_enable_private_segment 0
		.amdhsa_system_sgpr_workgroup_id_x 1
		.amdhsa_system_sgpr_workgroup_id_y 0
		.amdhsa_system_sgpr_workgroup_id_z 0
		.amdhsa_system_sgpr_workgroup_info 0
		.amdhsa_system_vgpr_workitem_id 0
		.amdhsa_next_free_vgpr 34
		.amdhsa_next_free_sgpr 44
		.amdhsa_reserve_vcc 1
		.amdhsa_float_round_mode_32 0
		.amdhsa_float_round_mode_16_64 0
		.amdhsa_float_denorm_mode_32 3
		.amdhsa_float_denorm_mode_16_64 3
		.amdhsa_dx10_clamp 1
		.amdhsa_ieee_mode 1
		.amdhsa_fp16_overflow 0
		.amdhsa_workgroup_processor_mode 1
		.amdhsa_memory_ordered 1
		.amdhsa_forward_progress 0
		.amdhsa_shared_vgpr_count 0
		.amdhsa_exception_fp_ieee_invalid_op 0
		.amdhsa_exception_fp_denorm_src 0
		.amdhsa_exception_fp_ieee_div_zero 0
		.amdhsa_exception_fp_ieee_overflow 0
		.amdhsa_exception_fp_ieee_underflow 0
		.amdhsa_exception_fp_ieee_inexact 0
		.amdhsa_exception_int_div_zero 0
	.end_amdhsa_kernel
	.section	.text._ZN9rocsparseL27bsrgemm_fill_wf_per_row_2x2ILj256ELj16ELj16ELj137ElifEEv20rocsparse_direction_T4_S2_PKS2_S4_NS_24const_host_device_scalarIT5_EEPKT3_S4_PKS6_SA_S4_SC_S7_SA_S4_SC_SA_PS2_PS6_21rocsparse_index_base_SF_SF_SF_bbb,"axG",@progbits,_ZN9rocsparseL27bsrgemm_fill_wf_per_row_2x2ILj256ELj16ELj16ELj137ElifEEv20rocsparse_direction_T4_S2_PKS2_S4_NS_24const_host_device_scalarIT5_EEPKT3_S4_PKS6_SA_S4_SC_S7_SA_S4_SC_SA_PS2_PS6_21rocsparse_index_base_SF_SF_SF_bbb,comdat
.Lfunc_end168:
	.size	_ZN9rocsparseL27bsrgemm_fill_wf_per_row_2x2ILj256ELj16ELj16ELj137ElifEEv20rocsparse_direction_T4_S2_PKS2_S4_NS_24const_host_device_scalarIT5_EEPKT3_S4_PKS6_SA_S4_SC_S7_SA_S4_SC_SA_PS2_PS6_21rocsparse_index_base_SF_SF_SF_bbb, .Lfunc_end168-_ZN9rocsparseL27bsrgemm_fill_wf_per_row_2x2ILj256ELj16ELj16ELj137ElifEEv20rocsparse_direction_T4_S2_PKS2_S4_NS_24const_host_device_scalarIT5_EEPKT3_S4_PKS6_SA_S4_SC_S7_SA_S4_SC_SA_PS2_PS6_21rocsparse_index_base_SF_SF_SF_bbb
                                        ; -- End function
	.section	.AMDGPU.csdata,"",@progbits
; Kernel info:
; codeLenInByte = 4280
; NumSgprs: 46
; NumVgprs: 34
; ScratchSize: 0
; MemoryBound: 0
; FloatMode: 240
; IeeeMode: 1
; LDSByteSize: 5120 bytes/workgroup (compile time only)
; SGPRBlocks: 5
; VGPRBlocks: 4
; NumSGPRsForWavesPerEU: 46
; NumVGPRsForWavesPerEU: 34
; Occupancy: 16
; WaveLimiterHint : 1
; COMPUTE_PGM_RSRC2:SCRATCH_EN: 0
; COMPUTE_PGM_RSRC2:USER_SGPR: 15
; COMPUTE_PGM_RSRC2:TRAP_HANDLER: 0
; COMPUTE_PGM_RSRC2:TGID_X_EN: 1
; COMPUTE_PGM_RSRC2:TGID_Y_EN: 0
; COMPUTE_PGM_RSRC2:TGID_Z_EN: 0
; COMPUTE_PGM_RSRC2:TIDIG_COMP_CNT: 0
	.section	.text._ZN9rocsparseL27bsrgemm_fill_wf_per_row_2x2ILj256ELj16ELj32ELj137ElifEEv20rocsparse_direction_T4_S2_PKS2_S4_NS_24const_host_device_scalarIT5_EEPKT3_S4_PKS6_SA_S4_SC_S7_SA_S4_SC_SA_PS2_PS6_21rocsparse_index_base_SF_SF_SF_bbb,"axG",@progbits,_ZN9rocsparseL27bsrgemm_fill_wf_per_row_2x2ILj256ELj16ELj32ELj137ElifEEv20rocsparse_direction_T4_S2_PKS2_S4_NS_24const_host_device_scalarIT5_EEPKT3_S4_PKS6_SA_S4_SC_S7_SA_S4_SC_SA_PS2_PS6_21rocsparse_index_base_SF_SF_SF_bbb,comdat
	.globl	_ZN9rocsparseL27bsrgemm_fill_wf_per_row_2x2ILj256ELj16ELj32ELj137ElifEEv20rocsparse_direction_T4_S2_PKS2_S4_NS_24const_host_device_scalarIT5_EEPKT3_S4_PKS6_SA_S4_SC_S7_SA_S4_SC_SA_PS2_PS6_21rocsparse_index_base_SF_SF_SF_bbb ; -- Begin function _ZN9rocsparseL27bsrgemm_fill_wf_per_row_2x2ILj256ELj16ELj32ELj137ElifEEv20rocsparse_direction_T4_S2_PKS2_S4_NS_24const_host_device_scalarIT5_EEPKT3_S4_PKS6_SA_S4_SC_S7_SA_S4_SC_SA_PS2_PS6_21rocsparse_index_base_SF_SF_SF_bbb
	.p2align	8
	.type	_ZN9rocsparseL27bsrgemm_fill_wf_per_row_2x2ILj256ELj16ELj32ELj137ElifEEv20rocsparse_direction_T4_S2_PKS2_S4_NS_24const_host_device_scalarIT5_EEPKT3_S4_PKS6_SA_S4_SC_S7_SA_S4_SC_SA_PS2_PS6_21rocsparse_index_base_SF_SF_SF_bbb,@function
_ZN9rocsparseL27bsrgemm_fill_wf_per_row_2x2ILj256ELj16ELj32ELj137ElifEEv20rocsparse_direction_T4_S2_PKS2_S4_NS_24const_host_device_scalarIT5_EEPKT3_S4_PKS6_SA_S4_SC_S7_SA_S4_SC_SA_PS2_PS6_21rocsparse_index_base_SF_SF_SF_bbb: ; @_ZN9rocsparseL27bsrgemm_fill_wf_per_row_2x2ILj256ELj16ELj32ELj137ElifEEv20rocsparse_direction_T4_S2_PKS2_S4_NS_24const_host_device_scalarIT5_EEPKT3_S4_PKS6_SA_S4_SC_S7_SA_S4_SC_SA_PS2_PS6_21rocsparse_index_base_SF_SF_SF_bbb
; %bb.0:
	s_clause 0x3
	s_load_b32 s12, s[0:1], 0xa0
	s_load_b128 s[24:27], s[0:1], 0x90
	s_load_b64 s[4:5], s[0:1], 0x20
	s_load_b64 s[2:3], s[0:1], 0x58
	s_waitcnt lgkmcnt(0)
	s_bitcmp1_b32 s12, 0
	s_cselect_b32 s13, -1, 0
	s_bitcmp1_b32 s12, 16
	s_cselect_b32 s14, -1, 0
	s_xor_b32 s6, s13, -1
	s_delay_alu instid0(SALU_CYCLE_1) | instskip(NEXT) | instid1(SALU_CYCLE_1)
	s_or_b32 s6, s6, s14
	s_and_b32 vcc_lo, exec_lo, s6
	s_cbranch_vccnz .LBB169_2
; %bb.1:
	s_load_b32 s4, s[4:5], 0x0
	s_waitcnt lgkmcnt(0)
	v_mov_b32_e32 v19, s4
	s_branch .LBB169_3
.LBB169_2:
	v_cndmask_b32_e64 v19, 0, s4, s13
.LBB169_3:
	s_clause 0x4
	s_load_b128 s[28:31], s[0:1], 0x80
	s_load_b256 s[4:11], s[0:1], 0x60
	s_load_b128 s[36:39], s[0:1], 0x48
	s_load_b128 s[40:43], s[0:1], 0x10
	s_load_b256 s[16:23], s[0:1], 0x28
	s_bitcmp1_b32 s12, 8
	s_cselect_b32 s12, -1, 0
	s_delay_alu instid0(SALU_CYCLE_1) | instskip(NEXT) | instid1(SALU_CYCLE_1)
	s_xor_b32 s33, s12, -1
	s_or_b32 s14, s33, s14
	s_delay_alu instid0(SALU_CYCLE_1)
	s_and_b32 vcc_lo, exec_lo, s14
	s_cbranch_vccnz .LBB169_5
; %bb.4:
	s_load_b32 s2, s[2:3], 0x0
	s_waitcnt lgkmcnt(0)
	v_mov_b32_e32 v16, s2
	s_branch .LBB169_6
.LBB169_5:
	v_cndmask_b32_e64 v16, 0, s2, s12
.LBB169_6:
	s_load_b128 s[0:3], s[0:1], 0x0
	v_lshrrev_b32_e32 v2, 4, v0
	v_and_b32_e32 v15, 15, v0
	s_waitcnt lgkmcnt(0)
	s_mov_b32 s3, 0
	s_delay_alu instid0(VALU_DEP_2) | instskip(NEXT) | instid1(VALU_DEP_2)
	v_dual_mov_b32 v4, s2 :: v_dual_lshlrev_b32 v3, 7, v2
	v_lshlrev_b32_e32 v0, 2, v15
	v_or_b32_e32 v13, -16, v15
	s_delay_alu instid0(VALU_DEP_2) | instskip(NEXT) | instid1(VALU_DEP_2)
	v_or3_b32 v12, v3, v0, 0x2000
	v_mov_b32_e32 v5, v13
	s_delay_alu instid0(VALU_DEP_2)
	v_mov_b32_e32 v1, v12
.LBB169_7:                              ; =>This Inner Loop Header: Depth=1
	s_delay_alu instid0(VALU_DEP_2) | instskip(NEXT) | instid1(VALU_DEP_1)
	v_add_co_u32 v5, s14, v5, 16
	s_xor_b32 s14, s14, -1
	ds_store_b32 v1, v4
	v_add_nc_u32_e32 v1, 64, v1
	s_and_b32 s14, exec_lo, s14
	s_delay_alu instid0(SALU_CYCLE_1) | instskip(NEXT) | instid1(SALU_CYCLE_1)
	s_or_b32 s3, s14, s3
	s_and_not1_b32 exec_lo, exec_lo, s3
	s_cbranch_execnz .LBB169_7
; %bb.8:
	s_or_b32 exec_lo, exec_lo, s3
	v_dual_mov_b32 v4, v13 :: v_dual_lshlrev_b32 v17, 9, v2
	v_mov_b32_e32 v1, 0
	s_mov_b32 s3, 0
	s_delay_alu instid0(VALU_DEP_2)
	v_or_b32_e32 v0, v17, v0
.LBB169_9:                              ; =>This Inner Loop Header: Depth=1
	s_delay_alu instid0(VALU_DEP_3) | instskip(SKIP_4) | instid1(SALU_CYCLE_1)
	v_add_nc_u32_e32 v4, 16, v4
	ds_store_b32 v0, v1
	v_add_nc_u32_e32 v0, 64, v0
	v_cmp_lt_u32_e32 vcc_lo, 0x6f, v4
	s_or_b32 s3, vcc_lo, s3
	s_and_not1_b32 exec_lo, exec_lo, s3
	s_cbranch_execnz .LBB169_9
; %bb.10:
	s_or_b32 exec_lo, exec_lo, s3
	v_lshl_or_b32 v0, s15, 4, v2
	s_waitcnt lgkmcnt(0)
	s_barrier
	buffer_gl0_inv
	v_cmp_gt_i32_e32 vcc_lo, s1, v0
	s_and_saveexec_b32 s1, vcc_lo
	s_cbranch_execz .LBB169_126
; %bb.11:
	s_cmp_eq_u64 s[42:43], 0
	s_cbranch_scc1 .LBB169_13
; %bb.12:
	s_load_b32 s1, s[40:41], 0x0
	s_waitcnt lgkmcnt(0)
	v_add_nc_u32_e32 v0, s1, v0
	s_delay_alu instid0(VALU_DEP_1) | instskip(NEXT) | instid1(VALU_DEP_1)
	v_ashrrev_i32_e32 v1, 31, v0
	v_lshlrev_b64 v[0:1], 2, v[0:1]
	s_delay_alu instid0(VALU_DEP_1) | instskip(NEXT) | instid1(VALU_DEP_2)
	v_add_co_u32 v0, vcc_lo, s42, v0
	v_add_co_ci_u32_e32 v1, vcc_lo, s43, v1, vcc_lo
	global_load_b32 v0, v[0:1], off
.LBB169_13:
	s_waitcnt vmcnt(0)
	v_ashrrev_i32_e32 v1, 31, v0
	v_lshlrev_b32_e32 v18, 2, v3
	v_lshl_or_b32 v14, v2, 7, 0x2000
	s_and_not1_b32 vcc_lo, exec_lo, s13
	s_delay_alu instid0(VALU_DEP_3)
	v_lshlrev_b64 v[4:5], 3, v[0:1]
	s_cbranch_vccnz .LBB169_69
; %bb.14:
	s_delay_alu instid0(VALU_DEP_1) | instskip(NEXT) | instid1(VALU_DEP_2)
	v_add_co_u32 v0, vcc_lo, s16, v4
	v_add_co_ci_u32_e32 v1, vcc_lo, s17, v5, vcc_lo
	v_sub_co_u32 v8, s1, v15, s24
	s_delay_alu instid0(VALU_DEP_1)
	v_sub_co_ci_u32_e64 v9, null, 0, 0, s1
	global_load_b128 v[0:3], v[0:1], off
	s_mov_b32 s3, 0
	s_mov_b32 s1, exec_lo
	s_waitcnt vmcnt(0)
	v_sub_co_u32 v6, vcc_lo, v2, s24
	v_subrev_co_ci_u32_e32 v7, vcc_lo, 0, v3, vcc_lo
	v_add_co_u32 v8, vcc_lo, v0, v8
	v_add_co_ci_u32_e32 v9, vcc_lo, v1, v9, vcc_lo
	s_delay_alu instid0(VALU_DEP_1)
	v_cmpx_lt_i64_e64 v[8:9], v[6:7]
	s_cbranch_execz .LBB169_68
; %bb.15:
	v_add_nc_u32_e32 v20, 4, v18
	v_add_nc_u32_e32 v21, 8, v18
	;; [unrolled: 1-line block ×3, first 2 shown]
	s_cmp_eq_u32 s0, 0
	s_mov_b32 s13, s25
	s_cselect_b32 s14, 1, 2
	s_cselect_b32 s15, 2, 1
	s_branch .LBB169_17
.LBB169_16:                             ;   in Loop: Header=BB169_17 Depth=1
	s_or_b32 exec_lo, exec_lo, s16
	v_add_co_u32 v8, vcc_lo, v8, 16
	v_add_co_ci_u32_e32 v9, vcc_lo, 0, v9, vcc_lo
	s_delay_alu instid0(VALU_DEP_1) | instskip(SKIP_1) | instid1(SALU_CYCLE_1)
	v_cmp_ge_i64_e32 vcc_lo, v[8:9], v[6:7]
	s_or_b32 s3, vcc_lo, s3
	s_and_not1_b32 exec_lo, exec_lo, s3
	s_cbranch_execz .LBB169_68
.LBB169_17:                             ; =>This Loop Header: Depth=1
                                        ;     Child Loop BB169_20 Depth 2
                                        ;       Child Loop BB169_22 Depth 3
                                        ;       Child Loop BB169_34 Depth 3
	;; [unrolled: 1-line block ×4, first 2 shown]
	v_lshlrev_b64 v[10:11], 2, v[8:9]
	s_mov_b32 s16, exec_lo
	s_delay_alu instid0(VALU_DEP_1) | instskip(NEXT) | instid1(VALU_DEP_2)
	v_add_co_u32 v0, vcc_lo, s18, v10
	v_add_co_ci_u32_e32 v1, vcc_lo, s19, v11, vcc_lo
	global_load_b32 v0, v[0:1], off
	s_waitcnt vmcnt(0)
	v_subrev_nc_u32_e32 v0, s24, v0
	s_delay_alu instid0(VALU_DEP_1) | instskip(NEXT) | instid1(VALU_DEP_1)
	v_ashrrev_i32_e32 v1, 31, v0
	v_lshlrev_b64 v[0:1], 3, v[0:1]
	s_delay_alu instid0(VALU_DEP_1) | instskip(NEXT) | instid1(VALU_DEP_2)
	v_add_co_u32 v0, vcc_lo, s22, v0
	v_add_co_ci_u32_e32 v1, vcc_lo, s23, v1, vcc_lo
	global_load_b128 v[0:3], v[0:1], off
	s_waitcnt vmcnt(0)
	v_cmpx_lt_i64_e64 v[0:1], v[2:3]
	s_cbranch_execz .LBB169_16
; %bb.18:                               ;   in Loop: Header=BB169_17 Depth=1
	v_or_b32_e32 v24, 0, v11
	v_or_b32_e32 v23, s15, v10
	v_lshlrev_b64 v[25:26], 4, v[8:9]
	v_or_b32_e32 v11, 0, v11
	v_or_b32_e32 v10, s14, v10
	s_mov_b32 s17, 0
	v_lshlrev_b64 v[23:24], 2, v[23:24]
	s_delay_alu instid0(VALU_DEP_4) | instskip(NEXT) | instid1(VALU_DEP_3)
	v_add_co_u32 v25, vcc_lo, s20, v25
	v_lshlrev_b64 v[10:11], 2, v[10:11]
	v_add_co_ci_u32_e32 v26, vcc_lo, s21, v26, vcc_lo
	s_delay_alu instid0(VALU_DEP_4) | instskip(SKIP_1) | instid1(VALU_DEP_4)
	v_add_co_u32 v23, vcc_lo, s20, v23
	v_add_co_ci_u32_e32 v24, vcc_lo, s21, v24, vcc_lo
	v_add_co_u32 v10, vcc_lo, s20, v10
	v_add_co_ci_u32_e32 v11, vcc_lo, s21, v11, vcc_lo
	s_clause 0x3
	global_load_b32 v27, v[25:26], off offset:12
	global_load_b32 v23, v[23:24], off
	global_load_b32 v24, v[10:11], off
	;; [unrolled: 1-line block ×3, first 2 shown]
	v_sub_co_u32 v2, vcc_lo, v2, s13
	v_subrev_co_ci_u32_e32 v3, vcc_lo, 0, v3, vcc_lo
	v_sub_co_u32 v0, vcc_lo, v0, s13
	v_subrev_co_ci_u32_e32 v1, vcc_lo, 0, v1, vcc_lo
	s_waitcnt vmcnt(3)
	v_mul_f32_e32 v10, v19, v27
	s_waitcnt vmcnt(2)
	v_mul_f32_e32 v11, v19, v23
	;; [unrolled: 2-line block ×4, first 2 shown]
	s_branch .LBB169_20
.LBB169_19:                             ;   in Loop: Header=BB169_20 Depth=2
	s_or_b32 exec_lo, exec_lo, s33
	v_add_co_u32 v0, vcc_lo, v0, 1
	v_add_co_ci_u32_e32 v1, vcc_lo, 0, v1, vcc_lo
	s_delay_alu instid0(VALU_DEP_1) | instskip(SKIP_1) | instid1(SALU_CYCLE_1)
	v_cmp_ge_i64_e32 vcc_lo, v[0:1], v[2:3]
	s_or_b32 s17, vcc_lo, s17
	s_and_not1_b32 exec_lo, exec_lo, s17
	s_cbranch_execz .LBB169_16
.LBB169_20:                             ;   Parent Loop BB169_17 Depth=1
                                        ; =>  This Loop Header: Depth=2
                                        ;       Child Loop BB169_22 Depth 3
                                        ;       Child Loop BB169_34 Depth 3
	;; [unrolled: 1-line block ×4, first 2 shown]
	v_lshlrev_b64 v[25:26], 2, v[0:1]
	v_lshlrev_b64 v[31:32], 4, v[0:1]
	s_mov_b32 s33, 0
	s_delay_alu instid0(VALU_DEP_2) | instskip(NEXT) | instid1(VALU_DEP_3)
	v_or_b32_e32 v30, 0, v26
	v_or_b32_e32 v29, s15, v25
	;; [unrolled: 1-line block ×3, first 2 shown]
	v_add_co_u32 v25, vcc_lo, s36, v25
	v_or_b32_e32 v28, 0, v26
	v_add_co_ci_u32_e32 v26, vcc_lo, s37, v26, vcc_lo
	v_lshlrev_b64 v[29:30], 2, v[29:30]
	s_delay_alu instid0(VALU_DEP_3)
	v_lshlrev_b64 v[27:28], 2, v[27:28]
	global_load_b32 v33, v[25:26], off
	v_add_co_u32 v25, vcc_lo, s38, v29
	v_add_co_ci_u32_e32 v26, vcc_lo, s39, v30, vcc_lo
	v_add_co_u32 v31, vcc_lo, s38, v31
	v_add_co_ci_u32_e32 v32, vcc_lo, s39, v32, vcc_lo
	global_load_b32 v29, v[25:26], off
	v_add_co_u32 v25, vcc_lo, s38, v27
	v_add_co_ci_u32_e32 v26, vcc_lo, s39, v28, vcc_lo
	s_clause 0x2
	global_load_b32 v30, v[31:32], off
	global_load_b32 v27, v[25:26], off
	global_load_b32 v28, v[31:32], off offset:12
	s_waitcnt vmcnt(4)
	v_subrev_nc_u32_e32 v25, s25, v33
	s_delay_alu instid0(VALU_DEP_1) | instskip(SKIP_1) | instid1(VALU_DEP_1)
	v_lshl_add_u32 v26, v25, 3, v25
	s_waitcnt vmcnt(3)
	v_dual_mul_f32 v31, v24, v29 :: v_dual_and_b32 v26, 31, v26
	s_waitcnt vmcnt(2)
	s_delay_alu instid0(VALU_DEP_1)
	v_dual_mov_b32 v32, v26 :: v_dual_fmac_f32 v31, v23, v30
	s_branch .LBB169_22
.LBB169_21:                             ;   in Loop: Header=BB169_22 Depth=3
	s_or_b32 exec_lo, exec_lo, s34
	s_xor_b32 s34, s35, -1
	s_delay_alu instid0(SALU_CYCLE_1) | instskip(NEXT) | instid1(SALU_CYCLE_1)
	s_and_b32 s34, exec_lo, s34
	s_or_b32 s33, s34, s33
	s_delay_alu instid0(SALU_CYCLE_1)
	s_and_not1_b32 exec_lo, exec_lo, s33
	s_cbranch_execz .LBB169_32
.LBB169_22:                             ;   Parent Loop BB169_17 Depth=1
                                        ;     Parent Loop BB169_20 Depth=2
                                        ; =>    This Inner Loop Header: Depth=3
	s_delay_alu instid0(VALU_DEP_1)
	v_lshl_add_u32 v33, v32, 2, v14
	s_mov_b32 s34, exec_lo
                                        ; implicit-def: $sgpr35
	ds_load_b32 v34, v33
	s_waitcnt lgkmcnt(0)
	v_cmpx_ne_u32_e64 v34, v25
	s_xor_b32 s34, exec_lo, s34
	s_cbranch_execz .LBB169_30
; %bb.23:                               ;   in Loop: Header=BB169_22 Depth=3
	s_mov_b32 s40, exec_lo
                                        ; implicit-def: $sgpr35
	v_cmpx_ne_u32_e64 s2, v34
	s_xor_b32 s40, exec_lo, s40
; %bb.24:                               ;   in Loop: Header=BB169_22 Depth=3
	v_add_nc_u32_e32 v32, 1, v32
	s_mov_b32 s35, -1
                                        ; implicit-def: $vgpr33
	s_delay_alu instid0(VALU_DEP_1)
	v_and_b32_e32 v32, 31, v32
; %bb.25:                               ;   in Loop: Header=BB169_22 Depth=3
	s_and_not1_saveexec_b32 s40, s40
	s_cbranch_execz .LBB169_29
; %bb.26:                               ;   in Loop: Header=BB169_22 Depth=3
	v_mov_b32_e32 v34, s2
	s_mov_b32 s41, -1
	s_mov_b32 s42, exec_lo
	ds_cmpstore_rtn_b32 v33, v33, v25, v34
	s_waitcnt lgkmcnt(0)
	v_cmpx_eq_u32_e64 s2, v33
	s_cbranch_execz .LBB169_28
; %bb.27:                               ;   in Loop: Header=BB169_22 Depth=3
	v_lshl_add_u32 v33, v32, 4, v18
	s_xor_b32 s41, exec_lo, -1
	ds_add_f32 v33, v31
.LBB169_28:                             ;   in Loop: Header=BB169_22 Depth=3
	s_or_b32 exec_lo, exec_lo, s42
	s_delay_alu instid0(SALU_CYCLE_1) | instskip(SKIP_1) | instid1(SALU_CYCLE_1)
	s_and_not1_b32 s35, s35, exec_lo
	s_and_b32 s41, s41, exec_lo
	s_or_b32 s35, s35, s41
.LBB169_29:                             ;   in Loop: Header=BB169_22 Depth=3
	s_or_b32 exec_lo, exec_lo, s40
	s_delay_alu instid0(SALU_CYCLE_1)
	s_and_b32 s35, s35, exec_lo
.LBB169_30:                             ;   in Loop: Header=BB169_22 Depth=3
	s_and_not1_saveexec_b32 s34, s34
	s_cbranch_execz .LBB169_21
; %bb.31:                               ;   in Loop: Header=BB169_22 Depth=3
	v_lshl_add_u32 v33, v32, 4, v18
	s_and_not1_b32 s35, s35, exec_lo
	ds_add_f32 v33, v31
	s_branch .LBB169_21
.LBB169_32:                             ;   in Loop: Header=BB169_20 Depth=2
	s_or_b32 exec_lo, exec_lo, s33
	s_waitcnt vmcnt(0)
	v_dual_mul_f32 v31, v24, v28 :: v_dual_mov_b32 v32, v26
	s_mov_b32 s33, 0
	s_delay_alu instid0(VALU_DEP_1)
	v_fmac_f32_e32 v31, v23, v27
	s_branch .LBB169_34
.LBB169_33:                             ;   in Loop: Header=BB169_34 Depth=3
	s_or_b32 exec_lo, exec_lo, s34
	s_xor_b32 s34, s35, -1
	s_delay_alu instid0(SALU_CYCLE_1) | instskip(NEXT) | instid1(SALU_CYCLE_1)
	s_and_b32 s34, exec_lo, s34
	s_or_b32 s33, s34, s33
	s_delay_alu instid0(SALU_CYCLE_1)
	s_and_not1_b32 exec_lo, exec_lo, s33
	s_cbranch_execz .LBB169_44
.LBB169_34:                             ;   Parent Loop BB169_17 Depth=1
                                        ;     Parent Loop BB169_20 Depth=2
                                        ; =>    This Inner Loop Header: Depth=3
	s_delay_alu instid0(VALU_DEP_2)
	v_lshl_add_u32 v33, v32, 2, v14
	s_mov_b32 s34, exec_lo
                                        ; implicit-def: $sgpr35
	ds_load_b32 v34, v33
	s_waitcnt lgkmcnt(0)
	v_cmpx_ne_u32_e64 v34, v25
	s_xor_b32 s34, exec_lo, s34
	s_cbranch_execz .LBB169_42
; %bb.35:                               ;   in Loop: Header=BB169_34 Depth=3
	s_mov_b32 s40, exec_lo
                                        ; implicit-def: $sgpr35
	v_cmpx_ne_u32_e64 s2, v34
	s_xor_b32 s40, exec_lo, s40
; %bb.36:                               ;   in Loop: Header=BB169_34 Depth=3
	v_add_nc_u32_e32 v32, 1, v32
	s_mov_b32 s35, -1
                                        ; implicit-def: $vgpr33
	s_delay_alu instid0(VALU_DEP_1)
	v_and_b32_e32 v32, 31, v32
; %bb.37:                               ;   in Loop: Header=BB169_34 Depth=3
	s_and_not1_saveexec_b32 s40, s40
	s_cbranch_execz .LBB169_41
; %bb.38:                               ;   in Loop: Header=BB169_34 Depth=3
	v_mov_b32_e32 v34, s2
	s_mov_b32 s41, -1
	s_mov_b32 s42, exec_lo
	ds_cmpstore_rtn_b32 v33, v33, v25, v34
	s_waitcnt lgkmcnt(0)
	v_cmpx_eq_u32_e64 s2, v33
	s_cbranch_execz .LBB169_40
; %bb.39:                               ;   in Loop: Header=BB169_34 Depth=3
	v_lshl_add_u32 v33, v32, 4, v20
	s_xor_b32 s41, exec_lo, -1
	ds_add_f32 v33, v31
.LBB169_40:                             ;   in Loop: Header=BB169_34 Depth=3
	s_or_b32 exec_lo, exec_lo, s42
	s_delay_alu instid0(SALU_CYCLE_1) | instskip(SKIP_1) | instid1(SALU_CYCLE_1)
	s_and_not1_b32 s35, s35, exec_lo
	s_and_b32 s41, s41, exec_lo
	s_or_b32 s35, s35, s41
.LBB169_41:                             ;   in Loop: Header=BB169_34 Depth=3
	s_or_b32 exec_lo, exec_lo, s40
	s_delay_alu instid0(SALU_CYCLE_1)
	s_and_b32 s35, s35, exec_lo
.LBB169_42:                             ;   in Loop: Header=BB169_34 Depth=3
	s_and_not1_saveexec_b32 s34, s34
	s_cbranch_execz .LBB169_33
; %bb.43:                               ;   in Loop: Header=BB169_34 Depth=3
	v_lshl_add_u32 v33, v32, 4, v20
	s_and_not1_b32 s35, s35, exec_lo
	ds_add_f32 v33, v31
	s_branch .LBB169_33
.LBB169_44:                             ;   in Loop: Header=BB169_20 Depth=2
	s_or_b32 exec_lo, exec_lo, s33
	v_mul_f32_e32 v29, v10, v29
	s_mov_b32 s33, 0
	s_delay_alu instid0(VALU_DEP_1)
	v_dual_fmac_f32 v29, v11, v30 :: v_dual_mov_b32 v30, v26
	s_branch .LBB169_46
.LBB169_45:                             ;   in Loop: Header=BB169_46 Depth=3
	s_or_b32 exec_lo, exec_lo, s34
	s_xor_b32 s34, s35, -1
	s_delay_alu instid0(SALU_CYCLE_1) | instskip(NEXT) | instid1(SALU_CYCLE_1)
	s_and_b32 s34, exec_lo, s34
	s_or_b32 s33, s34, s33
	s_delay_alu instid0(SALU_CYCLE_1)
	s_and_not1_b32 exec_lo, exec_lo, s33
	s_cbranch_execz .LBB169_56
.LBB169_46:                             ;   Parent Loop BB169_17 Depth=1
                                        ;     Parent Loop BB169_20 Depth=2
                                        ; =>    This Inner Loop Header: Depth=3
	s_delay_alu instid0(VALU_DEP_1)
	v_lshl_add_u32 v31, v30, 2, v14
	s_mov_b32 s34, exec_lo
                                        ; implicit-def: $sgpr35
	ds_load_b32 v32, v31
	s_waitcnt lgkmcnt(0)
	v_cmpx_ne_u32_e64 v32, v25
	s_xor_b32 s34, exec_lo, s34
	s_cbranch_execz .LBB169_54
; %bb.47:                               ;   in Loop: Header=BB169_46 Depth=3
	s_mov_b32 s40, exec_lo
                                        ; implicit-def: $sgpr35
	v_cmpx_ne_u32_e64 s2, v32
	s_xor_b32 s40, exec_lo, s40
; %bb.48:                               ;   in Loop: Header=BB169_46 Depth=3
	v_add_nc_u32_e32 v30, 1, v30
	s_mov_b32 s35, -1
                                        ; implicit-def: $vgpr31
	s_delay_alu instid0(VALU_DEP_1)
	v_and_b32_e32 v30, 31, v30
; %bb.49:                               ;   in Loop: Header=BB169_46 Depth=3
	s_and_not1_saveexec_b32 s40, s40
	s_cbranch_execz .LBB169_53
; %bb.50:                               ;   in Loop: Header=BB169_46 Depth=3
	v_mov_b32_e32 v32, s2
	s_mov_b32 s41, -1
	s_mov_b32 s42, exec_lo
	ds_cmpstore_rtn_b32 v31, v31, v25, v32
	s_waitcnt lgkmcnt(0)
	v_cmpx_eq_u32_e64 s2, v31
	s_cbranch_execz .LBB169_52
; %bb.51:                               ;   in Loop: Header=BB169_46 Depth=3
	v_lshl_add_u32 v31, v30, 4, v21
	s_xor_b32 s41, exec_lo, -1
	ds_add_f32 v31, v29
.LBB169_52:                             ;   in Loop: Header=BB169_46 Depth=3
	s_or_b32 exec_lo, exec_lo, s42
	s_delay_alu instid0(SALU_CYCLE_1) | instskip(SKIP_1) | instid1(SALU_CYCLE_1)
	s_and_not1_b32 s35, s35, exec_lo
	s_and_b32 s41, s41, exec_lo
	s_or_b32 s35, s35, s41
.LBB169_53:                             ;   in Loop: Header=BB169_46 Depth=3
	s_or_b32 exec_lo, exec_lo, s40
	s_delay_alu instid0(SALU_CYCLE_1)
	s_and_b32 s35, s35, exec_lo
.LBB169_54:                             ;   in Loop: Header=BB169_46 Depth=3
	s_and_not1_saveexec_b32 s34, s34
	s_cbranch_execz .LBB169_45
; %bb.55:                               ;   in Loop: Header=BB169_46 Depth=3
	v_lshl_add_u32 v31, v30, 4, v21
	s_and_not1_b32 s35, s35, exec_lo
	ds_add_f32 v31, v29
	s_branch .LBB169_45
.LBB169_56:                             ;   in Loop: Header=BB169_20 Depth=2
	s_or_b32 exec_lo, exec_lo, s33
	v_mul_f32_e32 v28, v10, v28
	s_mov_b32 s33, 0
	s_delay_alu instid0(VALU_DEP_1)
	v_fmac_f32_e32 v28, v11, v27
	s_branch .LBB169_58
.LBB169_57:                             ;   in Loop: Header=BB169_58 Depth=3
	s_or_b32 exec_lo, exec_lo, s34
	s_xor_b32 s34, s35, -1
	s_delay_alu instid0(SALU_CYCLE_1) | instskip(NEXT) | instid1(SALU_CYCLE_1)
	s_and_b32 s34, exec_lo, s34
	s_or_b32 s33, s34, s33
	s_delay_alu instid0(SALU_CYCLE_1)
	s_and_not1_b32 exec_lo, exec_lo, s33
	s_cbranch_execz .LBB169_19
.LBB169_58:                             ;   Parent Loop BB169_17 Depth=1
                                        ;     Parent Loop BB169_20 Depth=2
                                        ; =>    This Inner Loop Header: Depth=3
	v_lshl_add_u32 v27, v26, 2, v14
	s_mov_b32 s34, exec_lo
                                        ; implicit-def: $sgpr35
	ds_load_b32 v29, v27
	s_waitcnt lgkmcnt(0)
	v_cmpx_ne_u32_e64 v29, v25
	s_xor_b32 s34, exec_lo, s34
	s_cbranch_execz .LBB169_66
; %bb.59:                               ;   in Loop: Header=BB169_58 Depth=3
	s_mov_b32 s40, exec_lo
                                        ; implicit-def: $sgpr35
	v_cmpx_ne_u32_e64 s2, v29
	s_xor_b32 s40, exec_lo, s40
; %bb.60:                               ;   in Loop: Header=BB169_58 Depth=3
	v_add_nc_u32_e32 v26, 1, v26
	s_mov_b32 s35, -1
                                        ; implicit-def: $vgpr27
	s_delay_alu instid0(VALU_DEP_1)
	v_and_b32_e32 v26, 31, v26
; %bb.61:                               ;   in Loop: Header=BB169_58 Depth=3
	s_and_not1_saveexec_b32 s40, s40
	s_cbranch_execz .LBB169_65
; %bb.62:                               ;   in Loop: Header=BB169_58 Depth=3
	v_mov_b32_e32 v29, s2
	s_mov_b32 s41, -1
	s_mov_b32 s42, exec_lo
	ds_cmpstore_rtn_b32 v27, v27, v25, v29
	s_waitcnt lgkmcnt(0)
	v_cmpx_eq_u32_e64 s2, v27
	s_cbranch_execz .LBB169_64
; %bb.63:                               ;   in Loop: Header=BB169_58 Depth=3
	v_lshl_add_u32 v27, v26, 4, v22
	s_xor_b32 s41, exec_lo, -1
	ds_add_f32 v27, v28
.LBB169_64:                             ;   in Loop: Header=BB169_58 Depth=3
	s_or_b32 exec_lo, exec_lo, s42
	s_delay_alu instid0(SALU_CYCLE_1) | instskip(SKIP_1) | instid1(SALU_CYCLE_1)
	s_and_not1_b32 s35, s35, exec_lo
	s_and_b32 s41, s41, exec_lo
	s_or_b32 s35, s35, s41
.LBB169_65:                             ;   in Loop: Header=BB169_58 Depth=3
	s_or_b32 exec_lo, exec_lo, s40
	s_delay_alu instid0(SALU_CYCLE_1)
	s_and_b32 s35, s35, exec_lo
.LBB169_66:                             ;   in Loop: Header=BB169_58 Depth=3
	s_and_not1_saveexec_b32 s34, s34
	s_cbranch_execz .LBB169_57
; %bb.67:                               ;   in Loop: Header=BB169_58 Depth=3
	v_lshl_add_u32 v27, v26, 4, v22
	s_and_not1_b32 s35, s35, exec_lo
	ds_add_f32 v27, v28
	s_branch .LBB169_57
.LBB169_68:
	s_or_b32 exec_lo, exec_lo, s1
.LBB169_69:
	s_delay_alu instid0(SALU_CYCLE_1)
	s_and_not1_b32 vcc_lo, exec_lo, s12
	s_waitcnt lgkmcnt(0)
	buffer_gl0_inv
	s_cbranch_vccnz .LBB169_122
; %bb.70:
	v_add_co_u32 v0, vcc_lo, s4, v4
	v_add_co_ci_u32_e32 v1, vcc_lo, s5, v5, vcc_lo
	v_sub_co_u32 v2, s1, v15, s27
	s_delay_alu instid0(VALU_DEP_1)
	v_sub_co_ci_u32_e64 v3, null, 0, 0, s1
	global_load_b128 v[6:9], v[0:1], off
	s_mov_b32 s3, 0
	s_mov_b32 s1, exec_lo
	s_waitcnt vmcnt(0)
	v_sub_co_u32 v0, vcc_lo, v8, s27
	v_subrev_co_ci_u32_e32 v1, vcc_lo, 0, v9, vcc_lo
	v_add_co_u32 v2, vcc_lo, v6, v2
	v_add_co_ci_u32_e32 v3, vcc_lo, v7, v3, vcc_lo
	s_delay_alu instid0(VALU_DEP_1)
	v_cmpx_lt_i64_e64 v[2:3], v[0:1]
	s_cbranch_execz .LBB169_121
; %bb.71:
	v_add_nc_u32_e32 v6, 4, v18
	v_add_nc_u32_e32 v7, 8, v18
	v_add_nc_u32_e32 v8, 12, v18
	s_cmp_eq_u32 s0, 0
	s_cselect_b32 s4, 1, 2
	s_cselect_b32 s5, 2, 1
	s_branch .LBB169_73
.LBB169_72:                             ;   in Loop: Header=BB169_73 Depth=1
	s_or_b32 exec_lo, exec_lo, s12
	v_add_co_u32 v2, vcc_lo, v2, 16
	v_add_co_ci_u32_e32 v3, vcc_lo, 0, v3, vcc_lo
	s_delay_alu instid0(VALU_DEP_1) | instskip(SKIP_1) | instid1(SALU_CYCLE_1)
	v_cmp_ge_i64_e32 vcc_lo, v[2:3], v[0:1]
	s_or_b32 s3, vcc_lo, s3
	s_and_not1_b32 exec_lo, exec_lo, s3
	s_cbranch_execz .LBB169_121
.LBB169_73:                             ; =>This Loop Header: Depth=1
                                        ;     Child Loop BB169_75 Depth 2
                                        ;     Child Loop BB169_87 Depth 2
	;; [unrolled: 1-line block ×4, first 2 shown]
	v_lshlrev_b64 v[9:10], 2, v[2:3]
	v_lshlrev_b64 v[19:20], 4, v[2:3]
	s_mov_b32 s12, 0
	s_delay_alu instid0(VALU_DEP_2) | instskip(NEXT) | instid1(VALU_DEP_3)
	v_add_co_u32 v23, vcc_lo, s6, v9
	v_add_co_ci_u32_e32 v24, vcc_lo, s7, v10, vcc_lo
	v_or_b32_e32 v22, 0, v10
	v_or_b32_e32 v21, s5, v9
	;; [unrolled: 1-line block ×3, first 2 shown]
	global_load_b32 v23, v[23:24], off
	v_add_co_u32 v25, vcc_lo, s8, v19
	v_or_b32_e32 v10, s4, v9
	v_add_co_ci_u32_e32 v26, vcc_lo, s9, v20, vcc_lo
	v_lshlrev_b64 v[19:20], 2, v[21:22]
	s_delay_alu instid0(VALU_DEP_3)
	v_lshlrev_b64 v[9:10], 2, v[10:11]
	global_load_b32 v21, v[25:26], off
	v_add_co_u32 v19, vcc_lo, s8, v19
	v_add_co_ci_u32_e32 v20, vcc_lo, s9, v20, vcc_lo
	v_add_co_u32 v9, vcc_lo, s8, v9
	v_add_co_ci_u32_e32 v10, vcc_lo, s9, v10, vcc_lo
	s_clause 0x2
	global_load_b32 v19, v[19:20], off
	global_load_b32 v20, v[9:10], off
	global_load_b32 v11, v[25:26], off offset:12
	s_waitcnt vmcnt(4)
	v_subrev_nc_u32_e32 v9, s27, v23
	s_delay_alu instid0(VALU_DEP_1) | instskip(SKIP_1) | instid1(VALU_DEP_1)
	v_lshl_add_u32 v10, v9, 3, v9
	s_waitcnt vmcnt(3)
	v_dual_mul_f32 v21, v16, v21 :: v_dual_and_b32 v10, 31, v10
	s_delay_alu instid0(VALU_DEP_1)
	v_mov_b32_e32 v22, v10
	s_branch .LBB169_75
.LBB169_74:                             ;   in Loop: Header=BB169_75 Depth=2
	s_or_b32 exec_lo, exec_lo, s13
	s_xor_b32 s13, s14, -1
	s_delay_alu instid0(SALU_CYCLE_1) | instskip(NEXT) | instid1(SALU_CYCLE_1)
	s_and_b32 s13, exec_lo, s13
	s_or_b32 s12, s13, s12
	s_delay_alu instid0(SALU_CYCLE_1)
	s_and_not1_b32 exec_lo, exec_lo, s12
	s_cbranch_execz .LBB169_85
.LBB169_75:                             ;   Parent Loop BB169_73 Depth=1
                                        ; =>  This Inner Loop Header: Depth=2
	s_delay_alu instid0(VALU_DEP_1)
	v_lshl_add_u32 v23, v22, 2, v14
	s_mov_b32 s13, exec_lo
                                        ; implicit-def: $sgpr14
	ds_load_b32 v24, v23
	s_waitcnt lgkmcnt(0)
	v_cmpx_ne_u32_e64 v24, v9
	s_xor_b32 s13, exec_lo, s13
	s_cbranch_execz .LBB169_83
; %bb.76:                               ;   in Loop: Header=BB169_75 Depth=2
	s_mov_b32 s15, exec_lo
                                        ; implicit-def: $sgpr14
	v_cmpx_ne_u32_e64 s2, v24
	s_xor_b32 s15, exec_lo, s15
; %bb.77:                               ;   in Loop: Header=BB169_75 Depth=2
	v_add_nc_u32_e32 v22, 1, v22
	s_mov_b32 s14, -1
                                        ; implicit-def: $vgpr23
	s_delay_alu instid0(VALU_DEP_1)
	v_and_b32_e32 v22, 31, v22
; %bb.78:                               ;   in Loop: Header=BB169_75 Depth=2
	s_and_not1_saveexec_b32 s15, s15
	s_cbranch_execz .LBB169_82
; %bb.79:                               ;   in Loop: Header=BB169_75 Depth=2
	v_mov_b32_e32 v24, s2
	s_mov_b32 s16, -1
	s_mov_b32 s17, exec_lo
	ds_cmpstore_rtn_b32 v23, v23, v9, v24
	s_waitcnt lgkmcnt(0)
	v_cmpx_eq_u32_e64 s2, v23
	s_cbranch_execz .LBB169_81
; %bb.80:                               ;   in Loop: Header=BB169_75 Depth=2
	v_lshl_add_u32 v23, v22, 4, v18
	s_xor_b32 s16, exec_lo, -1
	ds_add_f32 v23, v21
.LBB169_81:                             ;   in Loop: Header=BB169_75 Depth=2
	s_or_b32 exec_lo, exec_lo, s17
	s_delay_alu instid0(SALU_CYCLE_1) | instskip(SKIP_1) | instid1(SALU_CYCLE_1)
	s_and_not1_b32 s14, s14, exec_lo
	s_and_b32 s16, s16, exec_lo
	s_or_b32 s14, s14, s16
.LBB169_82:                             ;   in Loop: Header=BB169_75 Depth=2
	s_or_b32 exec_lo, exec_lo, s15
	s_delay_alu instid0(SALU_CYCLE_1)
	s_and_b32 s14, s14, exec_lo
.LBB169_83:                             ;   in Loop: Header=BB169_75 Depth=2
	s_and_not1_saveexec_b32 s13, s13
	s_cbranch_execz .LBB169_74
; %bb.84:                               ;   in Loop: Header=BB169_75 Depth=2
	v_lshl_add_u32 v23, v22, 4, v18
	s_and_not1_b32 s14, s14, exec_lo
	ds_add_f32 v23, v21
	s_branch .LBB169_74
.LBB169_85:                             ;   in Loop: Header=BB169_73 Depth=1
	s_or_b32 exec_lo, exec_lo, s12
	s_waitcnt vmcnt(1)
	v_dual_mul_f32 v20, v16, v20 :: v_dual_mov_b32 v21, v10
	s_mov_b32 s12, 0
	s_branch .LBB169_87
.LBB169_86:                             ;   in Loop: Header=BB169_87 Depth=2
	s_or_b32 exec_lo, exec_lo, s13
	s_xor_b32 s13, s14, -1
	s_delay_alu instid0(SALU_CYCLE_1) | instskip(NEXT) | instid1(SALU_CYCLE_1)
	s_and_b32 s13, exec_lo, s13
	s_or_b32 s12, s13, s12
	s_delay_alu instid0(SALU_CYCLE_1)
	s_and_not1_b32 exec_lo, exec_lo, s12
	s_cbranch_execz .LBB169_97
.LBB169_87:                             ;   Parent Loop BB169_73 Depth=1
                                        ; =>  This Inner Loop Header: Depth=2
	s_delay_alu instid0(VALU_DEP_1)
	v_lshl_add_u32 v22, v21, 2, v14
	s_mov_b32 s13, exec_lo
                                        ; implicit-def: $sgpr14
	ds_load_b32 v23, v22
	s_waitcnt lgkmcnt(0)
	v_cmpx_ne_u32_e64 v23, v9
	s_xor_b32 s13, exec_lo, s13
	s_cbranch_execz .LBB169_95
; %bb.88:                               ;   in Loop: Header=BB169_87 Depth=2
	s_mov_b32 s15, exec_lo
                                        ; implicit-def: $sgpr14
	v_cmpx_ne_u32_e64 s2, v23
	s_xor_b32 s15, exec_lo, s15
; %bb.89:                               ;   in Loop: Header=BB169_87 Depth=2
	v_add_nc_u32_e32 v21, 1, v21
	s_mov_b32 s14, -1
                                        ; implicit-def: $vgpr22
	s_delay_alu instid0(VALU_DEP_1)
	v_and_b32_e32 v21, 31, v21
; %bb.90:                               ;   in Loop: Header=BB169_87 Depth=2
	s_and_not1_saveexec_b32 s15, s15
	s_cbranch_execz .LBB169_94
; %bb.91:                               ;   in Loop: Header=BB169_87 Depth=2
	v_mov_b32_e32 v23, s2
	s_mov_b32 s16, -1
	s_mov_b32 s17, exec_lo
	ds_cmpstore_rtn_b32 v22, v22, v9, v23
	s_waitcnt lgkmcnt(0)
	v_cmpx_eq_u32_e64 s2, v22
	s_cbranch_execz .LBB169_93
; %bb.92:                               ;   in Loop: Header=BB169_87 Depth=2
	v_lshl_add_u32 v22, v21, 4, v6
	s_xor_b32 s16, exec_lo, -1
	ds_add_f32 v22, v20
.LBB169_93:                             ;   in Loop: Header=BB169_87 Depth=2
	s_or_b32 exec_lo, exec_lo, s17
	s_delay_alu instid0(SALU_CYCLE_1) | instskip(SKIP_1) | instid1(SALU_CYCLE_1)
	s_and_not1_b32 s14, s14, exec_lo
	s_and_b32 s16, s16, exec_lo
	s_or_b32 s14, s14, s16
.LBB169_94:                             ;   in Loop: Header=BB169_87 Depth=2
	s_or_b32 exec_lo, exec_lo, s15
	s_delay_alu instid0(SALU_CYCLE_1)
	s_and_b32 s14, s14, exec_lo
.LBB169_95:                             ;   in Loop: Header=BB169_87 Depth=2
	s_and_not1_saveexec_b32 s13, s13
	s_cbranch_execz .LBB169_86
; %bb.96:                               ;   in Loop: Header=BB169_87 Depth=2
	v_lshl_add_u32 v22, v21, 4, v6
	s_and_not1_b32 s14, s14, exec_lo
	ds_add_f32 v22, v20
	s_branch .LBB169_86
.LBB169_97:                             ;   in Loop: Header=BB169_73 Depth=1
	s_or_b32 exec_lo, exec_lo, s12
	v_dual_mul_f32 v19, v16, v19 :: v_dual_mov_b32 v20, v10
	s_mov_b32 s12, 0
	s_branch .LBB169_99
.LBB169_98:                             ;   in Loop: Header=BB169_99 Depth=2
	s_or_b32 exec_lo, exec_lo, s13
	s_xor_b32 s13, s14, -1
	s_delay_alu instid0(SALU_CYCLE_1) | instskip(NEXT) | instid1(SALU_CYCLE_1)
	s_and_b32 s13, exec_lo, s13
	s_or_b32 s12, s13, s12
	s_delay_alu instid0(SALU_CYCLE_1)
	s_and_not1_b32 exec_lo, exec_lo, s12
	s_cbranch_execz .LBB169_109
.LBB169_99:                             ;   Parent Loop BB169_73 Depth=1
                                        ; =>  This Inner Loop Header: Depth=2
	s_delay_alu instid0(VALU_DEP_1)
	v_lshl_add_u32 v21, v20, 2, v14
	s_mov_b32 s13, exec_lo
                                        ; implicit-def: $sgpr14
	ds_load_b32 v22, v21
	s_waitcnt lgkmcnt(0)
	v_cmpx_ne_u32_e64 v22, v9
	s_xor_b32 s13, exec_lo, s13
	s_cbranch_execz .LBB169_107
; %bb.100:                              ;   in Loop: Header=BB169_99 Depth=2
	s_mov_b32 s15, exec_lo
                                        ; implicit-def: $sgpr14
	v_cmpx_ne_u32_e64 s2, v22
	s_xor_b32 s15, exec_lo, s15
; %bb.101:                              ;   in Loop: Header=BB169_99 Depth=2
	v_add_nc_u32_e32 v20, 1, v20
	s_mov_b32 s14, -1
                                        ; implicit-def: $vgpr21
	s_delay_alu instid0(VALU_DEP_1)
	v_and_b32_e32 v20, 31, v20
; %bb.102:                              ;   in Loop: Header=BB169_99 Depth=2
	s_and_not1_saveexec_b32 s15, s15
	s_cbranch_execz .LBB169_106
; %bb.103:                              ;   in Loop: Header=BB169_99 Depth=2
	v_mov_b32_e32 v22, s2
	s_mov_b32 s16, -1
	s_mov_b32 s17, exec_lo
	ds_cmpstore_rtn_b32 v21, v21, v9, v22
	s_waitcnt lgkmcnt(0)
	v_cmpx_eq_u32_e64 s2, v21
	s_cbranch_execz .LBB169_105
; %bb.104:                              ;   in Loop: Header=BB169_99 Depth=2
	v_lshl_add_u32 v21, v20, 4, v7
	s_xor_b32 s16, exec_lo, -1
	ds_add_f32 v21, v19
.LBB169_105:                            ;   in Loop: Header=BB169_99 Depth=2
	s_or_b32 exec_lo, exec_lo, s17
	s_delay_alu instid0(SALU_CYCLE_1) | instskip(SKIP_1) | instid1(SALU_CYCLE_1)
	s_and_not1_b32 s14, s14, exec_lo
	s_and_b32 s16, s16, exec_lo
	s_or_b32 s14, s14, s16
.LBB169_106:                            ;   in Loop: Header=BB169_99 Depth=2
	s_or_b32 exec_lo, exec_lo, s15
	s_delay_alu instid0(SALU_CYCLE_1)
	s_and_b32 s14, s14, exec_lo
.LBB169_107:                            ;   in Loop: Header=BB169_99 Depth=2
	s_and_not1_saveexec_b32 s13, s13
	s_cbranch_execz .LBB169_98
; %bb.108:                              ;   in Loop: Header=BB169_99 Depth=2
	v_lshl_add_u32 v21, v20, 4, v7
	s_and_not1_b32 s14, s14, exec_lo
	ds_add_f32 v21, v19
	s_branch .LBB169_98
.LBB169_109:                            ;   in Loop: Header=BB169_73 Depth=1
	s_or_b32 exec_lo, exec_lo, s12
	s_waitcnt vmcnt(0)
	v_mul_f32_e32 v11, v16, v11
	s_mov_b32 s12, 0
	s_branch .LBB169_111
.LBB169_110:                            ;   in Loop: Header=BB169_111 Depth=2
	s_or_b32 exec_lo, exec_lo, s13
	s_xor_b32 s13, s14, -1
	s_delay_alu instid0(SALU_CYCLE_1) | instskip(NEXT) | instid1(SALU_CYCLE_1)
	s_and_b32 s13, exec_lo, s13
	s_or_b32 s12, s13, s12
	s_delay_alu instid0(SALU_CYCLE_1)
	s_and_not1_b32 exec_lo, exec_lo, s12
	s_cbranch_execz .LBB169_72
.LBB169_111:                            ;   Parent Loop BB169_73 Depth=1
                                        ; =>  This Inner Loop Header: Depth=2
	v_lshl_add_u32 v19, v10, 2, v14
	s_mov_b32 s13, exec_lo
                                        ; implicit-def: $sgpr14
	ds_load_b32 v20, v19
	s_waitcnt lgkmcnt(0)
	v_cmpx_ne_u32_e64 v20, v9
	s_xor_b32 s13, exec_lo, s13
	s_cbranch_execz .LBB169_119
; %bb.112:                              ;   in Loop: Header=BB169_111 Depth=2
	s_mov_b32 s15, exec_lo
                                        ; implicit-def: $sgpr14
	v_cmpx_ne_u32_e64 s2, v20
	s_xor_b32 s15, exec_lo, s15
; %bb.113:                              ;   in Loop: Header=BB169_111 Depth=2
	v_add_nc_u32_e32 v10, 1, v10
	s_mov_b32 s14, -1
                                        ; implicit-def: $vgpr19
	s_delay_alu instid0(VALU_DEP_1)
	v_and_b32_e32 v10, 31, v10
; %bb.114:                              ;   in Loop: Header=BB169_111 Depth=2
	s_and_not1_saveexec_b32 s15, s15
	s_cbranch_execz .LBB169_118
; %bb.115:                              ;   in Loop: Header=BB169_111 Depth=2
	v_mov_b32_e32 v20, s2
	s_mov_b32 s16, -1
	s_mov_b32 s17, exec_lo
	ds_cmpstore_rtn_b32 v19, v19, v9, v20
	s_waitcnt lgkmcnt(0)
	v_cmpx_eq_u32_e64 s2, v19
	s_cbranch_execz .LBB169_117
; %bb.116:                              ;   in Loop: Header=BB169_111 Depth=2
	v_lshl_add_u32 v19, v10, 4, v8
	s_xor_b32 s16, exec_lo, -1
	ds_add_f32 v19, v11
.LBB169_117:                            ;   in Loop: Header=BB169_111 Depth=2
	s_or_b32 exec_lo, exec_lo, s17
	s_delay_alu instid0(SALU_CYCLE_1) | instskip(SKIP_1) | instid1(SALU_CYCLE_1)
	s_and_not1_b32 s14, s14, exec_lo
	s_and_b32 s16, s16, exec_lo
	s_or_b32 s14, s14, s16
.LBB169_118:                            ;   in Loop: Header=BB169_111 Depth=2
	s_or_b32 exec_lo, exec_lo, s15
	s_delay_alu instid0(SALU_CYCLE_1)
	s_and_b32 s14, s14, exec_lo
.LBB169_119:                            ;   in Loop: Header=BB169_111 Depth=2
	s_and_not1_saveexec_b32 s13, s13
	s_cbranch_execz .LBB169_110
; %bb.120:                              ;   in Loop: Header=BB169_111 Depth=2
	v_lshl_add_u32 v19, v10, 4, v8
	s_and_not1_b32 s14, s14, exec_lo
	ds_add_f32 v19, v11
	s_branch .LBB169_110
.LBB169_121:
	s_or_b32 exec_lo, exec_lo, s1
.LBB169_122:
	v_add_co_u32 v0, vcc_lo, s10, v4
	v_add_co_ci_u32_e32 v1, vcc_lo, s11, v5, vcc_lo
	s_waitcnt lgkmcnt(0)
	buffer_gl0_inv
	v_lshl_add_u32 v2, v15, 4, v17
	s_cmp_eq_u32 s0, 0
	global_load_b64 v[0:1], v[0:1], off
	s_mov_b32 s0, 0
	s_cselect_b32 s1, 4, 8
	s_cselect_b32 s3, 8, 4
	s_waitcnt vmcnt(0)
	v_sub_co_u32 v0, vcc_lo, v0, s26
	v_subrev_co_ci_u32_e32 v1, vcc_lo, 0, v1, vcc_lo
	s_branch .LBB169_124
.LBB169_123:                            ;   in Loop: Header=BB169_124 Depth=1
	s_or_b32 exec_lo, exec_lo, s4
	v_add_co_u32 v13, s4, v13, 16
	s_delay_alu instid0(VALU_DEP_1) | instskip(SKIP_3) | instid1(SALU_CYCLE_1)
	s_xor_b32 s4, s4, -1
	v_add_nc_u32_e32 v2, 0x100, v2
	v_add_nc_u32_e32 v12, 64, v12
	s_and_b32 s4, exec_lo, s4
	s_or_b32 s0, s4, s0
	s_delay_alu instid0(SALU_CYCLE_1)
	s_and_not1_b32 exec_lo, exec_lo, s0
	s_cbranch_execz .LBB169_126
.LBB169_124:                            ; =>This Inner Loop Header: Depth=1
	ds_load_b32 v3, v12
	s_mov_b32 s4, exec_lo
	s_waitcnt lgkmcnt(0)
	v_cmpx_gt_i32_e64 s2, v3
	s_cbranch_execz .LBB169_123
; %bb.125:                              ;   in Loop: Header=BB169_124 Depth=1
	ds_load_b128 v[4:7], v14
	ds_load_b128 v[8:11], v14 offset:16
	ds_load_b128 v[15:18], v14 offset:32
	;; [unrolled: 1-line block ×4, first 2 shown]
	s_waitcnt lgkmcnt(4)
	v_cmp_gt_i32_e32 vcc_lo, v3, v4
	v_cndmask_b32_e64 v4, 0, 1, vcc_lo
	v_cmp_gt_i32_e32 vcc_lo, v3, v5
	v_cndmask_b32_e64 v5, 0, 1, vcc_lo
	s_delay_alu instid0(VALU_DEP_3) | instskip(SKIP_3) | instid1(VALU_DEP_4)
	v_add_co_u32 v4, vcc_lo, v0, v4
	v_add_co_ci_u32_e32 v27, vcc_lo, 0, v1, vcc_lo
	v_cmp_gt_i32_e32 vcc_lo, v3, v6
	v_cndmask_b32_e64 v6, 0, 1, vcc_lo
	v_add_co_u32 v4, vcc_lo, v4, v5
	s_delay_alu instid0(VALU_DEP_4) | instskip(SKIP_2) | instid1(VALU_DEP_4)
	v_add_co_ci_u32_e32 v5, vcc_lo, 0, v27, vcc_lo
	v_cmp_gt_i32_e32 vcc_lo, v3, v7
	v_cndmask_b32_e64 v7, 0, 1, vcc_lo
	v_add_co_u32 v4, vcc_lo, v4, v6
	s_delay_alu instid0(VALU_DEP_4)
	v_add_co_ci_u32_e32 v5, vcc_lo, 0, v5, vcc_lo
	s_waitcnt lgkmcnt(3)
	v_cmp_gt_i32_e32 vcc_lo, v3, v8
	v_cndmask_b32_e64 v6, 0, 1, vcc_lo
	v_add_co_u32 v4, vcc_lo, v4, v7
	v_add_co_ci_u32_e32 v5, vcc_lo, 0, v5, vcc_lo
	v_cmp_gt_i32_e32 vcc_lo, v3, v9
	v_cndmask_b32_e64 v7, 0, 1, vcc_lo
	s_delay_alu instid0(VALU_DEP_4) | instskip(NEXT) | instid1(VALU_DEP_4)
	v_add_co_u32 v4, vcc_lo, v4, v6
	v_add_co_ci_u32_e32 v5, vcc_lo, 0, v5, vcc_lo
	v_cmp_gt_i32_e32 vcc_lo, v3, v10
	v_cndmask_b32_e64 v6, 0, 1, vcc_lo
	s_delay_alu instid0(VALU_DEP_4) | instskip(NEXT) | instid1(VALU_DEP_4)
	;; [unrolled: 5-line block ×3, first 2 shown]
	v_add_co_u32 v4, vcc_lo, v4, v6
	v_add_co_ci_u32_e32 v5, vcc_lo, 0, v5, vcc_lo
	s_waitcnt lgkmcnt(2)
	v_cmp_gt_i32_e32 vcc_lo, v3, v15
	v_cndmask_b32_e64 v6, 0, 1, vcc_lo
	v_add_co_u32 v4, vcc_lo, v4, v7
	v_add_co_ci_u32_e32 v5, vcc_lo, 0, v5, vcc_lo
	v_cmp_gt_i32_e32 vcc_lo, v3, v16
	v_cndmask_b32_e64 v7, 0, 1, vcc_lo
	s_delay_alu instid0(VALU_DEP_4) | instskip(NEXT) | instid1(VALU_DEP_4)
	v_add_co_u32 v4, vcc_lo, v4, v6
	v_add_co_ci_u32_e32 v5, vcc_lo, 0, v5, vcc_lo
	v_cmp_gt_i32_e32 vcc_lo, v3, v17
	v_cndmask_b32_e64 v6, 0, 1, vcc_lo
	s_delay_alu instid0(VALU_DEP_4) | instskip(NEXT) | instid1(VALU_DEP_4)
	;; [unrolled: 5-line block ×3, first 2 shown]
	v_add_co_u32 v4, vcc_lo, v4, v6
	v_add_co_ci_u32_e32 v5, vcc_lo, 0, v5, vcc_lo
	s_waitcnt lgkmcnt(1)
	v_cmp_gt_i32_e32 vcc_lo, v3, v19
	v_cndmask_b32_e64 v6, 0, 1, vcc_lo
	v_add_co_u32 v4, vcc_lo, v4, v7
	v_add_co_ci_u32_e32 v5, vcc_lo, 0, v5, vcc_lo
	v_cmp_gt_i32_e32 vcc_lo, v3, v20
	v_cndmask_b32_e64 v7, 0, 1, vcc_lo
	s_delay_alu instid0(VALU_DEP_4) | instskip(NEXT) | instid1(VALU_DEP_4)
	v_add_co_u32 v4, vcc_lo, v4, v6
	v_add_co_ci_u32_e32 v5, vcc_lo, 0, v5, vcc_lo
	v_cmp_gt_i32_e32 vcc_lo, v3, v21
	v_cndmask_b32_e64 v6, 0, 1, vcc_lo
	s_delay_alu instid0(VALU_DEP_4) | instskip(NEXT) | instid1(VALU_DEP_4)
	v_add_co_u32 v4, vcc_lo, v4, v7
	v_add_co_ci_u32_e32 v5, vcc_lo, 0, v5, vcc_lo
	s_delay_alu instid0(VALU_DEP_2) | instskip(NEXT) | instid1(VALU_DEP_2)
	v_add_co_u32 v8, vcc_lo, v4, v6
	v_add_co_ci_u32_e32 v9, vcc_lo, 0, v5, vcc_lo
	ds_load_b128 v[4:7], v14 offset:80
	v_cmp_gt_i32_e32 vcc_lo, v3, v22
	v_cndmask_b32_e64 v10, 0, 1, vcc_lo
	s_waitcnt lgkmcnt(1)
	v_cmp_gt_i32_e32 vcc_lo, v3, v23
	v_cndmask_b32_e64 v11, 0, 1, vcc_lo
	s_delay_alu instid0(VALU_DEP_3) | instskip(SKIP_3) | instid1(VALU_DEP_4)
	v_add_co_u32 v8, vcc_lo, v8, v10
	v_add_co_ci_u32_e32 v9, vcc_lo, 0, v9, vcc_lo
	v_cmp_gt_i32_e32 vcc_lo, v3, v24
	v_cndmask_b32_e64 v10, 0, 1, vcc_lo
	v_add_co_u32 v8, vcc_lo, v8, v11
	s_delay_alu instid0(VALU_DEP_4) | instskip(SKIP_2) | instid1(VALU_DEP_4)
	v_add_co_ci_u32_e32 v9, vcc_lo, 0, v9, vcc_lo
	v_cmp_gt_i32_e32 vcc_lo, v3, v25
	v_cndmask_b32_e64 v11, 0, 1, vcc_lo
	v_add_co_u32 v8, vcc_lo, v8, v10
	s_delay_alu instid0(VALU_DEP_4) | instskip(SKIP_2) | instid1(VALU_DEP_4)
	v_add_co_ci_u32_e32 v9, vcc_lo, 0, v9, vcc_lo
	v_cmp_gt_i32_e32 vcc_lo, v3, v26
	v_cndmask_b32_e64 v10, 0, 1, vcc_lo
	v_add_co_u32 v8, vcc_lo, v8, v11
	s_delay_alu instid0(VALU_DEP_4) | instskip(NEXT) | instid1(VALU_DEP_2)
	v_add_co_ci_u32_e32 v9, vcc_lo, 0, v9, vcc_lo
	v_add_co_u32 v15, vcc_lo, v8, v10
	s_delay_alu instid0(VALU_DEP_2)
	v_add_co_ci_u32_e32 v16, vcc_lo, 0, v9, vcc_lo
	s_waitcnt lgkmcnt(0)
	v_cmp_gt_i32_e32 vcc_lo, v3, v4
	ds_load_b128 v[8:11], v14 offset:96
	v_cndmask_b32_e64 v4, 0, 1, vcc_lo
	v_cmp_gt_i32_e32 vcc_lo, v3, v5
	v_cndmask_b32_e64 v5, 0, 1, vcc_lo
	s_delay_alu instid0(VALU_DEP_3) | instskip(SKIP_3) | instid1(VALU_DEP_4)
	v_add_co_u32 v4, vcc_lo, v15, v4
	v_add_co_ci_u32_e32 v15, vcc_lo, 0, v16, vcc_lo
	v_cmp_gt_i32_e32 vcc_lo, v3, v6
	v_cndmask_b32_e64 v6, 0, 1, vcc_lo
	v_add_co_u32 v4, vcc_lo, v4, v5
	s_delay_alu instid0(VALU_DEP_4) | instskip(NEXT) | instid1(VALU_DEP_2)
	v_add_co_ci_u32_e32 v5, vcc_lo, 0, v15, vcc_lo
	v_add_co_u32 v15, vcc_lo, v4, v6
	s_delay_alu instid0(VALU_DEP_2)
	v_add_co_ci_u32_e32 v16, vcc_lo, 0, v5, vcc_lo
	v_cmp_gt_i32_e32 vcc_lo, v3, v7
	ds_load_b128 v[4:7], v14 offset:112
	v_cndmask_b32_e64 v17, 0, 1, vcc_lo
	s_waitcnt lgkmcnt(1)
	v_cmp_gt_i32_e32 vcc_lo, v3, v8
	v_cndmask_b32_e64 v8, 0, 1, vcc_lo
	s_delay_alu instid0(VALU_DEP_3) | instskip(SKIP_3) | instid1(VALU_DEP_4)
	v_add_co_u32 v15, vcc_lo, v15, v17
	v_add_co_ci_u32_e32 v16, vcc_lo, 0, v16, vcc_lo
	v_cmp_gt_i32_e32 vcc_lo, v3, v9
	v_cndmask_b32_e64 v9, 0, 1, vcc_lo
	v_add_co_u32 v8, vcc_lo, v15, v8
	s_delay_alu instid0(VALU_DEP_4) | instskip(SKIP_2) | instid1(VALU_DEP_4)
	v_add_co_ci_u32_e32 v15, vcc_lo, 0, v16, vcc_lo
	v_cmp_gt_i32_e32 vcc_lo, v3, v10
	v_cndmask_b32_e64 v10, 0, 1, vcc_lo
	v_add_co_u32 v8, vcc_lo, v8, v9
	s_delay_alu instid0(VALU_DEP_4)
	v_add_co_ci_u32_e32 v9, vcc_lo, 0, v15, vcc_lo
	v_cmp_gt_i32_e32 vcc_lo, v3, v11
	v_add_nc_u32_e32 v15, s26, v3
	v_cndmask_b32_e64 v11, 0, 1, vcc_lo
	v_add_co_u32 v8, vcc_lo, v8, v10
	v_add_co_ci_u32_e32 v9, vcc_lo, 0, v9, vcc_lo
	s_waitcnt lgkmcnt(0)
	v_cmp_gt_i32_e32 vcc_lo, v3, v4
	v_cndmask_b32_e64 v4, 0, 1, vcc_lo
	v_add_co_u32 v8, vcc_lo, v8, v11
	v_add_co_ci_u32_e32 v9, vcc_lo, 0, v9, vcc_lo
	v_cmp_gt_i32_e32 vcc_lo, v3, v5
	v_cndmask_b32_e64 v5, 0, 1, vcc_lo
	s_delay_alu instid0(VALU_DEP_4) | instskip(NEXT) | instid1(VALU_DEP_4)
	v_add_co_u32 v4, vcc_lo, v8, v4
	v_add_co_ci_u32_e32 v8, vcc_lo, 0, v9, vcc_lo
	v_cmp_gt_i32_e32 vcc_lo, v3, v6
	v_cndmask_b32_e64 v6, 0, 1, vcc_lo
	s_delay_alu instid0(VALU_DEP_4) | instskip(NEXT) | instid1(VALU_DEP_4)
	v_add_co_u32 v4, vcc_lo, v4, v5
	v_add_co_ci_u32_e32 v5, vcc_lo, 0, v8, vcc_lo
	s_delay_alu instid0(VALU_DEP_2) | instskip(NEXT) | instid1(VALU_DEP_2)
	v_add_co_u32 v4, vcc_lo, v4, v6
	v_add_co_ci_u32_e32 v5, vcc_lo, 0, v5, vcc_lo
	v_cmp_gt_i32_e32 vcc_lo, v3, v7
	ds_load_2addr_b32 v[6:7], v2 offset1:3
	v_add_nc_u32_e32 v10, s1, v2
	v_add_nc_u32_e32 v11, s3, v2
	v_cndmask_b32_e64 v8, 0, 1, vcc_lo
	s_delay_alu instid0(VALU_DEP_1)
	v_add_co_u32 v8, vcc_lo, v4, v8
	v_add_co_ci_u32_e32 v9, vcc_lo, 0, v5, vcc_lo
	s_waitcnt lgkmcnt(0)
	v_dual_mov_b32 v3, v6 :: v_dual_mov_b32 v6, v7
	ds_load_b32 v4, v10
	ds_load_b32 v5, v11
	v_lshlrev_b64 v[10:11], 2, v[8:9]
	v_lshlrev_b64 v[8:9], 4, v[8:9]
	s_delay_alu instid0(VALU_DEP_2) | instskip(NEXT) | instid1(VALU_DEP_3)
	v_add_co_u32 v10, vcc_lo, s28, v10
	v_add_co_ci_u32_e32 v11, vcc_lo, s29, v11, vcc_lo
	s_delay_alu instid0(VALU_DEP_3) | instskip(NEXT) | instid1(VALU_DEP_4)
	v_add_co_u32 v8, vcc_lo, s30, v8
	v_add_co_ci_u32_e32 v9, vcc_lo, s31, v9, vcc_lo
	global_store_b32 v[10:11], v15, off
	s_waitcnt lgkmcnt(0)
	global_store_b128 v[8:9], v[3:6], off
	s_branch .LBB169_123
.LBB169_126:
	s_nop 0
	s_sendmsg sendmsg(MSG_DEALLOC_VGPRS)
	s_endpgm
	.section	.rodata,"a",@progbits
	.p2align	6, 0x0
	.amdhsa_kernel _ZN9rocsparseL27bsrgemm_fill_wf_per_row_2x2ILj256ELj16ELj32ELj137ElifEEv20rocsparse_direction_T4_S2_PKS2_S4_NS_24const_host_device_scalarIT5_EEPKT3_S4_PKS6_SA_S4_SC_S7_SA_S4_SC_SA_PS2_PS6_21rocsparse_index_base_SF_SF_SF_bbb
		.amdhsa_group_segment_fixed_size 10240
		.amdhsa_private_segment_fixed_size 0
		.amdhsa_kernarg_size 164
		.amdhsa_user_sgpr_count 15
		.amdhsa_user_sgpr_dispatch_ptr 0
		.amdhsa_user_sgpr_queue_ptr 0
		.amdhsa_user_sgpr_kernarg_segment_ptr 1
		.amdhsa_user_sgpr_dispatch_id 0
		.amdhsa_user_sgpr_private_segment_size 0
		.amdhsa_wavefront_size32 1
		.amdhsa_uses_dynamic_stack 0
		.amdhsa_enable_private_segment 0
		.amdhsa_system_sgpr_workgroup_id_x 1
		.amdhsa_system_sgpr_workgroup_id_y 0
		.amdhsa_system_sgpr_workgroup_id_z 0
		.amdhsa_system_sgpr_workgroup_info 0
		.amdhsa_system_vgpr_workitem_id 0
		.amdhsa_next_free_vgpr 35
		.amdhsa_next_free_sgpr 44
		.amdhsa_reserve_vcc 1
		.amdhsa_float_round_mode_32 0
		.amdhsa_float_round_mode_16_64 0
		.amdhsa_float_denorm_mode_32 3
		.amdhsa_float_denorm_mode_16_64 3
		.amdhsa_dx10_clamp 1
		.amdhsa_ieee_mode 1
		.amdhsa_fp16_overflow 0
		.amdhsa_workgroup_processor_mode 1
		.amdhsa_memory_ordered 1
		.amdhsa_forward_progress 0
		.amdhsa_shared_vgpr_count 0
		.amdhsa_exception_fp_ieee_invalid_op 0
		.amdhsa_exception_fp_denorm_src 0
		.amdhsa_exception_fp_ieee_div_zero 0
		.amdhsa_exception_fp_ieee_overflow 0
		.amdhsa_exception_fp_ieee_underflow 0
		.amdhsa_exception_fp_ieee_inexact 0
		.amdhsa_exception_int_div_zero 0
	.end_amdhsa_kernel
	.section	.text._ZN9rocsparseL27bsrgemm_fill_wf_per_row_2x2ILj256ELj16ELj32ELj137ElifEEv20rocsparse_direction_T4_S2_PKS2_S4_NS_24const_host_device_scalarIT5_EEPKT3_S4_PKS6_SA_S4_SC_S7_SA_S4_SC_SA_PS2_PS6_21rocsparse_index_base_SF_SF_SF_bbb,"axG",@progbits,_ZN9rocsparseL27bsrgemm_fill_wf_per_row_2x2ILj256ELj16ELj32ELj137ElifEEv20rocsparse_direction_T4_S2_PKS2_S4_NS_24const_host_device_scalarIT5_EEPKT3_S4_PKS6_SA_S4_SC_S7_SA_S4_SC_SA_PS2_PS6_21rocsparse_index_base_SF_SF_SF_bbb,comdat
.Lfunc_end169:
	.size	_ZN9rocsparseL27bsrgemm_fill_wf_per_row_2x2ILj256ELj16ELj32ELj137ElifEEv20rocsparse_direction_T4_S2_PKS2_S4_NS_24const_host_device_scalarIT5_EEPKT3_S4_PKS6_SA_S4_SC_S7_SA_S4_SC_SA_PS2_PS6_21rocsparse_index_base_SF_SF_SF_bbb, .Lfunc_end169-_ZN9rocsparseL27bsrgemm_fill_wf_per_row_2x2ILj256ELj16ELj32ELj137ElifEEv20rocsparse_direction_T4_S2_PKS2_S4_NS_24const_host_device_scalarIT5_EEPKT3_S4_PKS6_SA_S4_SC_S7_SA_S4_SC_SA_PS2_PS6_21rocsparse_index_base_SF_SF_SF_bbb
                                        ; -- End function
	.section	.AMDGPU.csdata,"",@progbits
; Kernel info:
; codeLenInByte = 4904
; NumSgprs: 46
; NumVgprs: 35
; ScratchSize: 0
; MemoryBound: 0
; FloatMode: 240
; IeeeMode: 1
; LDSByteSize: 10240 bytes/workgroup (compile time only)
; SGPRBlocks: 5
; VGPRBlocks: 4
; NumSGPRsForWavesPerEU: 46
; NumVGPRsForWavesPerEU: 35
; Occupancy: 16
; WaveLimiterHint : 1
; COMPUTE_PGM_RSRC2:SCRATCH_EN: 0
; COMPUTE_PGM_RSRC2:USER_SGPR: 15
; COMPUTE_PGM_RSRC2:TRAP_HANDLER: 0
; COMPUTE_PGM_RSRC2:TGID_X_EN: 1
; COMPUTE_PGM_RSRC2:TGID_Y_EN: 0
; COMPUTE_PGM_RSRC2:TGID_Z_EN: 0
; COMPUTE_PGM_RSRC2:TIDIG_COMP_CNT: 0
	.section	.text._ZN9rocsparseL30bsrgemm_fill_block_per_row_2x2ILj256ELj16ELj64ELj137ElifEEv20rocsparse_direction_T4_S2_PKS2_S4_NS_24const_host_device_scalarIT5_EEPKT3_S4_PKS6_SA_S4_SC_S7_SA_S4_SC_SA_PS2_PS6_21rocsparse_index_base_SF_SF_SF_bbb,"axG",@progbits,_ZN9rocsparseL30bsrgemm_fill_block_per_row_2x2ILj256ELj16ELj64ELj137ElifEEv20rocsparse_direction_T4_S2_PKS2_S4_NS_24const_host_device_scalarIT5_EEPKT3_S4_PKS6_SA_S4_SC_S7_SA_S4_SC_SA_PS2_PS6_21rocsparse_index_base_SF_SF_SF_bbb,comdat
	.globl	_ZN9rocsparseL30bsrgemm_fill_block_per_row_2x2ILj256ELj16ELj64ELj137ElifEEv20rocsparse_direction_T4_S2_PKS2_S4_NS_24const_host_device_scalarIT5_EEPKT3_S4_PKS6_SA_S4_SC_S7_SA_S4_SC_SA_PS2_PS6_21rocsparse_index_base_SF_SF_SF_bbb ; -- Begin function _ZN9rocsparseL30bsrgemm_fill_block_per_row_2x2ILj256ELj16ELj64ELj137ElifEEv20rocsparse_direction_T4_S2_PKS2_S4_NS_24const_host_device_scalarIT5_EEPKT3_S4_PKS6_SA_S4_SC_S7_SA_S4_SC_SA_PS2_PS6_21rocsparse_index_base_SF_SF_SF_bbb
	.p2align	8
	.type	_ZN9rocsparseL30bsrgemm_fill_block_per_row_2x2ILj256ELj16ELj64ELj137ElifEEv20rocsparse_direction_T4_S2_PKS2_S4_NS_24const_host_device_scalarIT5_EEPKT3_S4_PKS6_SA_S4_SC_S7_SA_S4_SC_SA_PS2_PS6_21rocsparse_index_base_SF_SF_SF_bbb,@function
_ZN9rocsparseL30bsrgemm_fill_block_per_row_2x2ILj256ELj16ELj64ELj137ElifEEv20rocsparse_direction_T4_S2_PKS2_S4_NS_24const_host_device_scalarIT5_EEPKT3_S4_PKS6_SA_S4_SC_S7_SA_S4_SC_SA_PS2_PS6_21rocsparse_index_base_SF_SF_SF_bbb: ; @_ZN9rocsparseL30bsrgemm_fill_block_per_row_2x2ILj256ELj16ELj64ELj137ElifEEv20rocsparse_direction_T4_S2_PKS2_S4_NS_24const_host_device_scalarIT5_EEPKT3_S4_PKS6_SA_S4_SC_S7_SA_S4_SC_SA_PS2_PS6_21rocsparse_index_base_SF_SF_SF_bbb
; %bb.0:
	s_clause 0x2
	s_load_b32 s7, s[0:1], 0xa0
	s_load_b64 s[4:5], s[0:1], 0x20
	s_load_b64 s[2:3], s[0:1], 0x58
	s_mov_b32 s16, s15
	s_waitcnt lgkmcnt(0)
	s_bitcmp1_b32 s7, 0
	s_cselect_b32 s6, -1, 0
	s_bitcmp1_b32 s7, 16
	s_cselect_b32 s8, -1, 0
	s_xor_b32 s9, s6, -1
	s_delay_alu instid0(SALU_CYCLE_1) | instskip(NEXT) | instid1(SALU_CYCLE_1)
	s_or_b32 s9, s9, s8
	s_and_b32 vcc_lo, exec_lo, s9
	s_cbranch_vccnz .LBB170_2
; %bb.1:
	s_load_b32 s4, s[4:5], 0x0
	s_waitcnt lgkmcnt(0)
	v_mov_b32_e32 v11, s4
	s_branch .LBB170_3
.LBB170_2:
	v_cndmask_b32_e64 v11, 0, s4, s6
.LBB170_3:
	s_bitcmp1_b32 s7, 8
	s_cselect_b32 s23, -1, 0
	s_delay_alu instid0(SALU_CYCLE_1) | instskip(NEXT) | instid1(SALU_CYCLE_1)
	s_xor_b32 s4, s23, -1
	s_or_b32 s4, s4, s8
	s_delay_alu instid0(SALU_CYCLE_1)
	s_and_b32 vcc_lo, exec_lo, s4
	s_cbranch_vccnz .LBB170_5
; %bb.4:
	s_load_b32 s2, s[2:3], 0x0
	s_waitcnt lgkmcnt(0)
	v_mov_b32_e32 v10, s2
	s_branch .LBB170_6
.LBB170_5:
	v_cndmask_b32_e64 v10, 0, s2, s23
.LBB170_6:
	s_load_b32 s3, s[0:1], 0x8
	v_cmp_gt_u32_e64 s2, 64, v0
	v_lshl_add_u32 v9, v0, 2, 0
	s_delay_alu instid0(VALU_DEP_2)
	s_and_saveexec_b32 s4, s2
	s_cbranch_execz .LBB170_8
; %bb.7:
	s_waitcnt lgkmcnt(0)
	v_mov_b32_e32 v1, s3
	ds_store_b32 v9, v1
.LBB170_8:
	s_or_b32 exec_lo, exec_lo, s4
	s_clause 0x1
	s_load_b128 s[12:15], s[0:1], 0x90
	s_load_b64 s[4:5], s[0:1], 0x18
	s_mov_b32 s7, exec_lo
	v_cmpx_gt_u32_e32 0x100, v0
	s_cbranch_execz .LBB170_10
; %bb.9:
	v_mov_b32_e32 v1, 0
	ds_store_b32 v9, v1 offset:256
.LBB170_10:
	s_or_b32 exec_lo, exec_lo, s7
	s_waitcnt lgkmcnt(0)
	s_cmp_eq_u64 s[4:5], 0
	s_barrier
	buffer_gl0_inv
	s_cbranch_scc1 .LBB170_12
; %bb.11:
	s_load_b64 s[8:9], s[0:1], 0x10
	s_waitcnt lgkmcnt(0)
	s_load_b32 s7, s[8:9], 0x0
	s_mov_b32 s9, 0
	s_waitcnt lgkmcnt(0)
	s_add_i32 s8, s7, s16
	s_delay_alu instid0(SALU_CYCLE_1) | instskip(NEXT) | instid1(SALU_CYCLE_1)
	s_lshl_b64 s[8:9], s[8:9], 2
	s_add_u32 s4, s4, s8
	s_addc_u32 s5, s5, s9
	s_load_b32 s16, s[4:5], 0x0
.LBB170_12:
	s_load_b32 s22, s[0:1], 0x0
	s_and_not1_b32 vcc_lo, exec_lo, s6
	s_waitcnt lgkmcnt(0)
	s_ashr_i32 s17, s16, 31
	s_cbranch_vccnz .LBB170_68
; %bb.13:
	s_load_b64 s[4:5], s[0:1], 0x28
	s_lshl_b64 s[6:7], s[16:17], 3
	v_lshrrev_b32_e32 v1, 4, v0
	s_mov_b32 s25, 0
	s_mov_b32 s24, exec_lo
	s_delay_alu instid0(VALU_DEP_1) | instskip(NEXT) | instid1(VALU_DEP_1)
	v_sub_co_u32 v1, s8, v1, s12
	v_sub_co_ci_u32_e64 v2, null, 0, 0, s8
	s_waitcnt lgkmcnt(0)
	s_add_u32 s4, s4, s6
	s_addc_u32 s5, s5, s7
	s_load_b128 s[4:7], s[4:5], 0x0
	s_waitcnt lgkmcnt(0)
	v_add_co_u32 v1, vcc_lo, s4, v1
	v_add_co_ci_u32_e32 v2, vcc_lo, s5, v2, vcc_lo
	s_sub_u32 s18, s6, s12
	s_subb_u32 s19, s7, 0
	s_delay_alu instid0(VALU_DEP_1) | instid1(SALU_CYCLE_1)
	v_cmpx_gt_i64_e64 s[18:19], v[1:2]
	s_cbranch_execz .LBB170_67
; %bb.14:
	s_clause 0x1
	s_load_b64 s[20:21], s[0:1], 0x50
	s_load_b256 s[4:11], s[0:1], 0x30
	v_and_b32_e32 v3, 15, v0
	s_cmp_eq_u32 s22, 0
	s_cselect_b32 s27, 1, 2
	s_cselect_b32 s28, 2, 1
	s_delay_alu instid0(VALU_DEP_1) | instskip(NEXT) | instid1(VALU_DEP_1)
	v_sub_co_u32 v12, s26, v3, s13
	v_sub_co_ci_u32_e64 v13, null, 0, 0, s26
	s_mov_b32 s26, s13
	s_branch .LBB170_16
.LBB170_15:                             ;   in Loop: Header=BB170_16 Depth=1
	s_or_b32 exec_lo, exec_lo, s29
	v_add_co_u32 v1, vcc_lo, v1, 16
	v_add_co_ci_u32_e32 v2, vcc_lo, 0, v2, vcc_lo
	s_delay_alu instid0(VALU_DEP_1) | instskip(SKIP_1) | instid1(SALU_CYCLE_1)
	v_cmp_le_i64_e32 vcc_lo, s[18:19], v[1:2]
	s_or_b32 s25, vcc_lo, s25
	s_and_not1_b32 exec_lo, exec_lo, s25
	s_cbranch_execz .LBB170_67
.LBB170_16:                             ; =>This Loop Header: Depth=1
                                        ;     Child Loop BB170_19 Depth 2
                                        ;       Child Loop BB170_21 Depth 3
                                        ;       Child Loop BB170_33 Depth 3
	;; [unrolled: 1-line block ×4, first 2 shown]
	v_lshlrev_b64 v[7:8], 2, v[1:2]
	s_mov_b32 s29, exec_lo
	s_waitcnt lgkmcnt(0)
	s_delay_alu instid0(VALU_DEP_1) | instskip(NEXT) | instid1(VALU_DEP_2)
	v_add_co_u32 v3, vcc_lo, s4, v7
	v_add_co_ci_u32_e32 v4, vcc_lo, s5, v8, vcc_lo
	global_load_b32 v3, v[3:4], off
	s_waitcnt vmcnt(0)
	v_subrev_nc_u32_e32 v3, s12, v3
	s_delay_alu instid0(VALU_DEP_1) | instskip(NEXT) | instid1(VALU_DEP_1)
	v_ashrrev_i32_e32 v4, 31, v3
	v_lshlrev_b64 v[3:4], 3, v[3:4]
	s_delay_alu instid0(VALU_DEP_1) | instskip(NEXT) | instid1(VALU_DEP_2)
	v_add_co_u32 v3, vcc_lo, s8, v3
	v_add_co_ci_u32_e32 v4, vcc_lo, s9, v4, vcc_lo
	global_load_b128 v[14:17], v[3:4], off
	s_waitcnt vmcnt(0)
	v_sub_co_u32 v3, vcc_lo, v16, s26
	v_subrev_co_ci_u32_e32 v4, vcc_lo, 0, v17, vcc_lo
	v_add_co_u32 v5, vcc_lo, v14, v12
	v_add_co_ci_u32_e32 v6, vcc_lo, v15, v13, vcc_lo
	s_delay_alu instid0(VALU_DEP_1)
	v_cmpx_lt_i64_e64 v[5:6], v[3:4]
	s_cbranch_execz .LBB170_15
; %bb.17:                               ;   in Loop: Header=BB170_16 Depth=1
	v_or_b32_e32 v15, 0, v8
	v_or_b32_e32 v14, s28, v7
	v_lshlrev_b64 v[16:17], 4, v[1:2]
	v_or_b32_e32 v8, 0, v8
	v_or_b32_e32 v7, s27, v7
	s_mov_b32 s30, 0
	v_lshlrev_b64 v[14:15], 2, v[14:15]
	s_delay_alu instid0(VALU_DEP_4) | instskip(NEXT) | instid1(VALU_DEP_3)
	v_add_co_u32 v16, vcc_lo, s6, v16
	v_lshlrev_b64 v[7:8], 2, v[7:8]
	v_add_co_ci_u32_e32 v17, vcc_lo, s7, v17, vcc_lo
	s_delay_alu instid0(VALU_DEP_4) | instskip(SKIP_1) | instid1(VALU_DEP_4)
	v_add_co_u32 v14, vcc_lo, s6, v14
	v_add_co_ci_u32_e32 v15, vcc_lo, s7, v15, vcc_lo
	v_add_co_u32 v7, vcc_lo, s6, v7
	v_add_co_ci_u32_e32 v8, vcc_lo, s7, v8, vcc_lo
	s_clause 0x3
	global_load_b32 v18, v[16:17], off offset:12
	global_load_b32 v14, v[14:15], off
	global_load_b32 v7, v[7:8], off
	;; [unrolled: 1-line block ×3, first 2 shown]
	s_waitcnt vmcnt(3)
	v_mul_f32_e32 v8, v11, v18
	s_waitcnt vmcnt(2)
	v_mul_f32_e32 v14, v11, v14
	;; [unrolled: 2-line block ×4, first 2 shown]
	s_branch .LBB170_19
.LBB170_18:                             ;   in Loop: Header=BB170_19 Depth=2
	s_or_b32 exec_lo, exec_lo, s31
	v_add_co_u32 v5, vcc_lo, v5, 16
	v_add_co_ci_u32_e32 v6, vcc_lo, 0, v6, vcc_lo
	s_delay_alu instid0(VALU_DEP_1) | instskip(SKIP_1) | instid1(SALU_CYCLE_1)
	v_cmp_ge_i64_e32 vcc_lo, v[5:6], v[3:4]
	s_or_b32 s30, vcc_lo, s30
	s_and_not1_b32 exec_lo, exec_lo, s30
	s_cbranch_execz .LBB170_15
.LBB170_19:                             ;   Parent Loop BB170_16 Depth=1
                                        ; =>  This Loop Header: Depth=2
                                        ;       Child Loop BB170_21 Depth 3
                                        ;       Child Loop BB170_33 Depth 3
	;; [unrolled: 1-line block ×4, first 2 shown]
	v_lshlrev_b64 v[17:18], 2, v[5:6]
	v_lshlrev_b64 v[23:24], 4, v[5:6]
	s_mov_b32 s31, 0
	s_delay_alu instid0(VALU_DEP_2) | instskip(NEXT) | instid1(VALU_DEP_3)
	v_or_b32_e32 v22, 0, v18
	v_or_b32_e32 v21, s28, v17
	;; [unrolled: 1-line block ×3, first 2 shown]
	v_add_co_u32 v17, vcc_lo, s10, v17
	v_or_b32_e32 v20, 0, v18
	v_add_co_ci_u32_e32 v18, vcc_lo, s11, v18, vcc_lo
	v_lshlrev_b64 v[21:22], 2, v[21:22]
	s_delay_alu instid0(VALU_DEP_3)
	v_lshlrev_b64 v[19:20], 2, v[19:20]
	global_load_b32 v7, v[17:18], off
	v_add_co_u32 v17, vcc_lo, s20, v21
	v_add_co_ci_u32_e32 v18, vcc_lo, s21, v22, vcc_lo
	v_add_co_u32 v23, vcc_lo, s20, v23
	v_add_co_ci_u32_e32 v24, vcc_lo, s21, v24, vcc_lo
	global_load_b32 v21, v[17:18], off
	v_add_co_u32 v17, vcc_lo, s20, v19
	v_add_co_ci_u32_e32 v18, vcc_lo, s21, v20, vcc_lo
	s_clause 0x2
	global_load_b32 v22, v[23:24], off
	global_load_b32 v19, v[17:18], off
	global_load_b32 v20, v[23:24], off offset:12
	s_waitcnt vmcnt(4)
	v_subrev_nc_u32_e32 v17, s13, v7
	s_delay_alu instid0(VALU_DEP_1) | instskip(SKIP_1) | instid1(VALU_DEP_1)
	v_lshl_add_u32 v7, v17, 3, v17
	s_waitcnt vmcnt(3)
	v_dual_mul_f32 v23, v15, v21 :: v_dual_and_b32 v18, 63, v7
	s_waitcnt vmcnt(2)
	s_delay_alu instid0(VALU_DEP_1)
	v_dual_mov_b32 v24, v18 :: v_dual_fmac_f32 v23, v16, v22
	s_branch .LBB170_21
.LBB170_20:                             ;   in Loop: Header=BB170_21 Depth=3
	s_or_b32 exec_lo, exec_lo, s33
	s_xor_b32 s33, s34, -1
	s_delay_alu instid0(SALU_CYCLE_1) | instskip(NEXT) | instid1(SALU_CYCLE_1)
	s_and_b32 s33, exec_lo, s33
	s_or_b32 s31, s33, s31
	s_delay_alu instid0(SALU_CYCLE_1)
	s_and_not1_b32 exec_lo, exec_lo, s31
	s_cbranch_execz .LBB170_31
.LBB170_21:                             ;   Parent Loop BB170_16 Depth=1
                                        ;     Parent Loop BB170_19 Depth=2
                                        ; =>    This Inner Loop Header: Depth=3
	s_delay_alu instid0(VALU_DEP_1)
	v_lshl_add_u32 v7, v24, 2, 0
	s_mov_b32 s33, exec_lo
                                        ; implicit-def: $sgpr34
	ds_load_b32 v25, v7
	s_waitcnt lgkmcnt(0)
	v_cmpx_ne_u32_e64 v25, v17
	s_xor_b32 s33, exec_lo, s33
	s_cbranch_execz .LBB170_29
; %bb.22:                               ;   in Loop: Header=BB170_21 Depth=3
	s_mov_b32 s35, exec_lo
                                        ; implicit-def: $sgpr34
	v_cmpx_ne_u32_e64 s3, v25
	s_xor_b32 s35, exec_lo, s35
; %bb.23:                               ;   in Loop: Header=BB170_21 Depth=3
	v_add_nc_u32_e32 v7, 1, v24
	s_mov_b32 s34, -1
	s_delay_alu instid0(VALU_DEP_1)
	v_and_b32_e32 v24, 63, v7
                                        ; implicit-def: $vgpr7
; %bb.24:                               ;   in Loop: Header=BB170_21 Depth=3
	s_and_not1_saveexec_b32 s35, s35
	s_cbranch_execz .LBB170_28
; %bb.25:                               ;   in Loop: Header=BB170_21 Depth=3
	v_mov_b32_e32 v25, s3
	s_mov_b32 s36, -1
	s_mov_b32 s37, exec_lo
	ds_cmpstore_rtn_b32 v25, v7, v17, v25
	s_waitcnt lgkmcnt(0)
	v_cmpx_eq_u32_e64 s3, v25
	s_cbranch_execz .LBB170_27
; %bb.26:                               ;   in Loop: Header=BB170_21 Depth=3
	v_mad_u64_u32 v[25:26], null, v24, 12, v[7:8]
	s_xor_b32 s36, exec_lo, -1
	ds_add_f32 v25, v23 offset:256
.LBB170_27:                             ;   in Loop: Header=BB170_21 Depth=3
	s_or_b32 exec_lo, exec_lo, s37
	s_delay_alu instid0(SALU_CYCLE_1) | instskip(SKIP_1) | instid1(SALU_CYCLE_1)
	s_and_not1_b32 s34, s34, exec_lo
	s_and_b32 s36, s36, exec_lo
	s_or_b32 s34, s34, s36
.LBB170_28:                             ;   in Loop: Header=BB170_21 Depth=3
	s_or_b32 exec_lo, exec_lo, s35
	s_delay_alu instid0(SALU_CYCLE_1)
	s_and_b32 s34, s34, exec_lo
                                        ; implicit-def: $vgpr7
.LBB170_29:                             ;   in Loop: Header=BB170_21 Depth=3
	s_and_not1_saveexec_b32 s33, s33
	s_cbranch_execz .LBB170_20
; %bb.30:                               ;   in Loop: Header=BB170_21 Depth=3
	v_mad_u64_u32 v[25:26], null, v24, 12, v[7:8]
	s_and_not1_b32 s34, s34, exec_lo
	ds_add_f32 v25, v23 offset:256
	s_branch .LBB170_20
.LBB170_31:                             ;   in Loop: Header=BB170_19 Depth=2
	s_or_b32 exec_lo, exec_lo, s31
	s_waitcnt vmcnt(0)
	v_dual_mul_f32 v23, v15, v20 :: v_dual_mov_b32 v24, v18
	s_mov_b32 s31, 0
	s_delay_alu instid0(VALU_DEP_1)
	v_fmac_f32_e32 v23, v16, v19
	s_branch .LBB170_33
.LBB170_32:                             ;   in Loop: Header=BB170_33 Depth=3
	s_or_b32 exec_lo, exec_lo, s33
	s_xor_b32 s33, s34, -1
	s_delay_alu instid0(SALU_CYCLE_1) | instskip(NEXT) | instid1(SALU_CYCLE_1)
	s_and_b32 s33, exec_lo, s33
	s_or_b32 s31, s33, s31
	s_delay_alu instid0(SALU_CYCLE_1)
	s_and_not1_b32 exec_lo, exec_lo, s31
	s_cbranch_execz .LBB170_43
.LBB170_33:                             ;   Parent Loop BB170_16 Depth=1
                                        ;     Parent Loop BB170_19 Depth=2
                                        ; =>    This Inner Loop Header: Depth=3
	s_delay_alu instid0(VALU_DEP_2)
	v_lshl_add_u32 v7, v24, 2, 0
	s_mov_b32 s33, exec_lo
                                        ; implicit-def: $sgpr34
	ds_load_b32 v25, v7
	s_waitcnt lgkmcnt(0)
	v_cmpx_ne_u32_e64 v25, v17
	s_xor_b32 s33, exec_lo, s33
	s_cbranch_execz .LBB170_41
; %bb.34:                               ;   in Loop: Header=BB170_33 Depth=3
	s_mov_b32 s35, exec_lo
                                        ; implicit-def: $sgpr34
	v_cmpx_ne_u32_e64 s3, v25
	s_xor_b32 s35, exec_lo, s35
; %bb.35:                               ;   in Loop: Header=BB170_33 Depth=3
	v_add_nc_u32_e32 v7, 1, v24
	s_mov_b32 s34, -1
	s_delay_alu instid0(VALU_DEP_1)
	v_and_b32_e32 v24, 63, v7
                                        ; implicit-def: $vgpr7
; %bb.36:                               ;   in Loop: Header=BB170_33 Depth=3
	s_and_not1_saveexec_b32 s35, s35
	s_cbranch_execz .LBB170_40
; %bb.37:                               ;   in Loop: Header=BB170_33 Depth=3
	v_mov_b32_e32 v25, s3
	s_mov_b32 s36, -1
	s_mov_b32 s37, exec_lo
	ds_cmpstore_rtn_b32 v25, v7, v17, v25
	s_waitcnt lgkmcnt(0)
	v_cmpx_eq_u32_e64 s3, v25
	s_cbranch_execz .LBB170_39
; %bb.38:                               ;   in Loop: Header=BB170_33 Depth=3
	v_mad_u64_u32 v[25:26], null, v24, 12, v[7:8]
	s_xor_b32 s36, exec_lo, -1
	ds_add_f32 v25, v23 offset:260
.LBB170_39:                             ;   in Loop: Header=BB170_33 Depth=3
	s_or_b32 exec_lo, exec_lo, s37
	s_delay_alu instid0(SALU_CYCLE_1) | instskip(SKIP_1) | instid1(SALU_CYCLE_1)
	s_and_not1_b32 s34, s34, exec_lo
	s_and_b32 s36, s36, exec_lo
	s_or_b32 s34, s34, s36
.LBB170_40:                             ;   in Loop: Header=BB170_33 Depth=3
	s_or_b32 exec_lo, exec_lo, s35
	s_delay_alu instid0(SALU_CYCLE_1)
	s_and_b32 s34, s34, exec_lo
                                        ; implicit-def: $vgpr7
.LBB170_41:                             ;   in Loop: Header=BB170_33 Depth=3
	s_and_not1_saveexec_b32 s33, s33
	s_cbranch_execz .LBB170_32
; %bb.42:                               ;   in Loop: Header=BB170_33 Depth=3
	v_mad_u64_u32 v[25:26], null, v24, 12, v[7:8]
	s_and_not1_b32 s34, s34, exec_lo
	ds_add_f32 v25, v23 offset:260
	s_branch .LBB170_32
.LBB170_43:                             ;   in Loop: Header=BB170_19 Depth=2
	s_or_b32 exec_lo, exec_lo, s31
	v_mul_f32_e32 v21, v8, v21
	s_mov_b32 s31, 0
	s_delay_alu instid0(VALU_DEP_1)
	v_fmac_f32_e32 v21, v14, v22
	v_mov_b32_e32 v22, v18
	s_branch .LBB170_45
.LBB170_44:                             ;   in Loop: Header=BB170_45 Depth=3
	s_or_b32 exec_lo, exec_lo, s33
	s_xor_b32 s33, s34, -1
	s_delay_alu instid0(SALU_CYCLE_1) | instskip(NEXT) | instid1(SALU_CYCLE_1)
	s_and_b32 s33, exec_lo, s33
	s_or_b32 s31, s33, s31
	s_delay_alu instid0(SALU_CYCLE_1)
	s_and_not1_b32 exec_lo, exec_lo, s31
	s_cbranch_execz .LBB170_55
.LBB170_45:                             ;   Parent Loop BB170_16 Depth=1
                                        ;     Parent Loop BB170_19 Depth=2
                                        ; =>    This Inner Loop Header: Depth=3
	s_delay_alu instid0(VALU_DEP_1)
	v_lshl_add_u32 v7, v22, 2, 0
	s_mov_b32 s33, exec_lo
                                        ; implicit-def: $sgpr34
	ds_load_b32 v23, v7
	s_waitcnt lgkmcnt(0)
	v_cmpx_ne_u32_e64 v23, v17
	s_xor_b32 s33, exec_lo, s33
	s_cbranch_execz .LBB170_53
; %bb.46:                               ;   in Loop: Header=BB170_45 Depth=3
	s_mov_b32 s35, exec_lo
                                        ; implicit-def: $sgpr34
	v_cmpx_ne_u32_e64 s3, v23
	s_xor_b32 s35, exec_lo, s35
; %bb.47:                               ;   in Loop: Header=BB170_45 Depth=3
	v_add_nc_u32_e32 v7, 1, v22
	s_mov_b32 s34, -1
	s_delay_alu instid0(VALU_DEP_1)
	v_and_b32_e32 v22, 63, v7
                                        ; implicit-def: $vgpr7
; %bb.48:                               ;   in Loop: Header=BB170_45 Depth=3
	s_and_not1_saveexec_b32 s35, s35
	s_cbranch_execz .LBB170_52
; %bb.49:                               ;   in Loop: Header=BB170_45 Depth=3
	v_mov_b32_e32 v23, s3
	s_mov_b32 s36, -1
	s_mov_b32 s37, exec_lo
	ds_cmpstore_rtn_b32 v23, v7, v17, v23
	s_waitcnt lgkmcnt(0)
	v_cmpx_eq_u32_e64 s3, v23
	s_cbranch_execz .LBB170_51
; %bb.50:                               ;   in Loop: Header=BB170_45 Depth=3
	v_mad_u64_u32 v[23:24], null, v22, 12, v[7:8]
	s_xor_b32 s36, exec_lo, -1
	ds_add_f32 v23, v21 offset:264
.LBB170_51:                             ;   in Loop: Header=BB170_45 Depth=3
	s_or_b32 exec_lo, exec_lo, s37
	s_delay_alu instid0(SALU_CYCLE_1) | instskip(SKIP_1) | instid1(SALU_CYCLE_1)
	s_and_not1_b32 s34, s34, exec_lo
	s_and_b32 s36, s36, exec_lo
	s_or_b32 s34, s34, s36
.LBB170_52:                             ;   in Loop: Header=BB170_45 Depth=3
	s_or_b32 exec_lo, exec_lo, s35
	s_delay_alu instid0(SALU_CYCLE_1)
	s_and_b32 s34, s34, exec_lo
                                        ; implicit-def: $vgpr7
.LBB170_53:                             ;   in Loop: Header=BB170_45 Depth=3
	s_and_not1_saveexec_b32 s33, s33
	s_cbranch_execz .LBB170_44
; %bb.54:                               ;   in Loop: Header=BB170_45 Depth=3
	v_mad_u64_u32 v[23:24], null, v22, 12, v[7:8]
	s_and_not1_b32 s34, s34, exec_lo
	ds_add_f32 v23, v21 offset:264
	s_branch .LBB170_44
.LBB170_55:                             ;   in Loop: Header=BB170_19 Depth=2
	s_or_b32 exec_lo, exec_lo, s31
	v_mul_f32_e32 v20, v8, v20
	s_mov_b32 s31, 0
	s_delay_alu instid0(VALU_DEP_1)
	v_fmac_f32_e32 v20, v14, v19
	s_branch .LBB170_57
.LBB170_56:                             ;   in Loop: Header=BB170_57 Depth=3
	s_or_b32 exec_lo, exec_lo, s33
	s_xor_b32 s33, s34, -1
	s_delay_alu instid0(SALU_CYCLE_1) | instskip(NEXT) | instid1(SALU_CYCLE_1)
	s_and_b32 s33, exec_lo, s33
	s_or_b32 s31, s33, s31
	s_delay_alu instid0(SALU_CYCLE_1)
	s_and_not1_b32 exec_lo, exec_lo, s31
	s_cbranch_execz .LBB170_18
.LBB170_57:                             ;   Parent Loop BB170_16 Depth=1
                                        ;     Parent Loop BB170_19 Depth=2
                                        ; =>    This Inner Loop Header: Depth=3
	v_lshl_add_u32 v7, v18, 2, 0
	s_mov_b32 s33, exec_lo
                                        ; implicit-def: $sgpr34
	ds_load_b32 v19, v7
	s_waitcnt lgkmcnt(0)
	v_cmpx_ne_u32_e64 v19, v17
	s_xor_b32 s33, exec_lo, s33
	s_cbranch_execz .LBB170_65
; %bb.58:                               ;   in Loop: Header=BB170_57 Depth=3
	s_mov_b32 s35, exec_lo
                                        ; implicit-def: $sgpr34
	v_cmpx_ne_u32_e64 s3, v19
	s_xor_b32 s35, exec_lo, s35
; %bb.59:                               ;   in Loop: Header=BB170_57 Depth=3
	v_add_nc_u32_e32 v7, 1, v18
	s_mov_b32 s34, -1
	s_delay_alu instid0(VALU_DEP_1)
	v_and_b32_e32 v18, 63, v7
                                        ; implicit-def: $vgpr7
; %bb.60:                               ;   in Loop: Header=BB170_57 Depth=3
	s_and_not1_saveexec_b32 s35, s35
	s_cbranch_execz .LBB170_64
; %bb.61:                               ;   in Loop: Header=BB170_57 Depth=3
	v_mov_b32_e32 v19, s3
	s_mov_b32 s36, -1
	s_mov_b32 s37, exec_lo
	ds_cmpstore_rtn_b32 v19, v7, v17, v19
	s_waitcnt lgkmcnt(0)
	v_cmpx_eq_u32_e64 s3, v19
	s_cbranch_execz .LBB170_63
; %bb.62:                               ;   in Loop: Header=BB170_57 Depth=3
	v_mad_u64_u32 v[21:22], null, v18, 12, v[7:8]
	s_xor_b32 s36, exec_lo, -1
	ds_add_f32 v21, v20 offset:268
.LBB170_63:                             ;   in Loop: Header=BB170_57 Depth=3
	s_or_b32 exec_lo, exec_lo, s37
	s_delay_alu instid0(SALU_CYCLE_1) | instskip(SKIP_1) | instid1(SALU_CYCLE_1)
	s_and_not1_b32 s34, s34, exec_lo
	s_and_b32 s36, s36, exec_lo
	s_or_b32 s34, s34, s36
.LBB170_64:                             ;   in Loop: Header=BB170_57 Depth=3
	s_or_b32 exec_lo, exec_lo, s35
	s_delay_alu instid0(SALU_CYCLE_1)
	s_and_b32 s34, s34, exec_lo
                                        ; implicit-def: $vgpr7
.LBB170_65:                             ;   in Loop: Header=BB170_57 Depth=3
	s_and_not1_saveexec_b32 s33, s33
	s_cbranch_execz .LBB170_56
; %bb.66:                               ;   in Loop: Header=BB170_57 Depth=3
	v_mad_u64_u32 v[21:22], null, v18, 12, v[7:8]
	s_and_not1_b32 s34, s34, exec_lo
	ds_add_f32 v21, v20 offset:268
	s_branch .LBB170_56
.LBB170_67:
	s_or_b32 exec_lo, exec_lo, s24
.LBB170_68:
	s_delay_alu instid0(SALU_CYCLE_1)
	s_and_not1_b32 vcc_lo, exec_lo, s23
	s_waitcnt lgkmcnt(0)
	s_barrier
	buffer_gl0_inv
	s_cbranch_vccnz .LBB170_121
; %bb.69:
	s_load_b64 s[4:5], s[0:1], 0x60
	s_lshl_b64 s[6:7], s[16:17], 3
	v_sub_co_u32 v1, s8, v0, s15
	s_delay_alu instid0(VALU_DEP_1)
	v_sub_co_ci_u32_e64 v2, null, 0, 0, s8
	s_mov_b32 s11, 0
	s_mov_b32 s10, exec_lo
	s_waitcnt lgkmcnt(0)
	s_add_u32 s4, s4, s6
	s_addc_u32 s5, s5, s7
	s_load_b128 s[4:7], s[4:5], 0x0
	s_waitcnt lgkmcnt(0)
	v_add_co_u32 v1, vcc_lo, s4, v1
	v_add_co_ci_u32_e32 v2, vcc_lo, s5, v2, vcc_lo
	s_sub_u32 s8, s6, s15
	s_subb_u32 s9, s7, 0
	s_delay_alu instid0(VALU_DEP_1) | instid1(SALU_CYCLE_1)
	v_cmpx_gt_i64_e64 s[8:9], v[1:2]
	s_cbranch_execz .LBB170_120
; %bb.70:
	s_load_b128 s[4:7], s[0:1], 0x68
	s_cmp_eq_u32 s22, 0
	s_cselect_b32 s12, 1, 2
	s_cselect_b32 s13, 2, 1
	s_branch .LBB170_72
.LBB170_71:                             ;   in Loop: Header=BB170_72 Depth=1
	s_or_b32 exec_lo, exec_lo, s18
	v_add_co_u32 v1, vcc_lo, 0x100, v1
	v_add_co_ci_u32_e32 v2, vcc_lo, 0, v2, vcc_lo
	s_delay_alu instid0(VALU_DEP_1) | instskip(SKIP_1) | instid1(SALU_CYCLE_1)
	v_cmp_le_i64_e32 vcc_lo, s[8:9], v[1:2]
	s_or_b32 s11, vcc_lo, s11
	s_and_not1_b32 exec_lo, exec_lo, s11
	s_cbranch_execz .LBB170_120
.LBB170_72:                             ; =>This Loop Header: Depth=1
                                        ;     Child Loop BB170_74 Depth 2
                                        ;     Child Loop BB170_86 Depth 2
                                        ;     Child Loop BB170_98 Depth 2
                                        ;     Child Loop BB170_110 Depth 2
	v_lshlrev_b64 v[3:4], 2, v[1:2]
	v_lshlrev_b64 v[5:6], 4, v[1:2]
	s_mov_b32 s18, 0
	s_waitcnt lgkmcnt(0)
	s_delay_alu instid0(VALU_DEP_2) | instskip(NEXT) | instid1(VALU_DEP_3)
	v_add_co_u32 v13, vcc_lo, s4, v3
	v_add_co_ci_u32_e32 v14, vcc_lo, s5, v4, vcc_lo
	v_or_b32_e32 v12, 0, v4
	v_or_b32_e32 v11, s13, v3
	;; [unrolled: 1-line block ×3, first 2 shown]
	v_add_co_u32 v4, vcc_lo, s6, v5
	global_load_b32 v15, v[13:14], off
	v_add_co_ci_u32_e32 v5, vcc_lo, s7, v6, vcc_lo
	v_or_b32_e32 v6, s12, v3
	v_lshlrev_b64 v[11:12], 2, v[11:12]
	global_load_b32 v3, v[4:5], off
	v_lshlrev_b64 v[6:7], 2, v[6:7]
	v_add_co_u32 v11, vcc_lo, s6, v11
	v_add_co_ci_u32_e32 v12, vcc_lo, s7, v12, vcc_lo
	s_delay_alu instid0(VALU_DEP_3) | instskip(NEXT) | instid1(VALU_DEP_4)
	v_add_co_u32 v13, vcc_lo, s6, v6
	v_add_co_ci_u32_e32 v14, vcc_lo, s7, v7, vcc_lo
	s_clause 0x2
	global_load_b32 v7, v[11:12], off
	global_load_b32 v8, v[13:14], off
	global_load_b32 v6, v[4:5], off offset:12
	s_waitcnt vmcnt(4)
	v_subrev_nc_u32_e32 v4, s15, v15
	s_delay_alu instid0(VALU_DEP_1) | instskip(NEXT) | instid1(VALU_DEP_1)
	v_lshl_add_u32 v5, v4, 3, v4
	v_and_b32_e32 v5, 63, v5
	s_waitcnt vmcnt(3)
	s_delay_alu instid0(VALU_DEP_1)
	v_dual_mul_f32 v11, v10, v3 :: v_dual_mov_b32 v12, v5
	s_branch .LBB170_74
.LBB170_73:                             ;   in Loop: Header=BB170_74 Depth=2
	s_or_b32 exec_lo, exec_lo, s19
	s_xor_b32 s19, s20, -1
	s_delay_alu instid0(SALU_CYCLE_1) | instskip(NEXT) | instid1(SALU_CYCLE_1)
	s_and_b32 s19, exec_lo, s19
	s_or_b32 s18, s19, s18
	s_delay_alu instid0(SALU_CYCLE_1)
	s_and_not1_b32 exec_lo, exec_lo, s18
	s_cbranch_execz .LBB170_84
.LBB170_74:                             ;   Parent Loop BB170_72 Depth=1
                                        ; =>  This Inner Loop Header: Depth=2
	s_delay_alu instid0(VALU_DEP_1)
	v_lshl_add_u32 v3, v12, 2, 0
	s_mov_b32 s19, exec_lo
                                        ; implicit-def: $sgpr20
	ds_load_b32 v13, v3
	s_waitcnt lgkmcnt(0)
	v_cmpx_ne_u32_e64 v13, v4
	s_xor_b32 s19, exec_lo, s19
	s_cbranch_execz .LBB170_82
; %bb.75:                               ;   in Loop: Header=BB170_74 Depth=2
	s_mov_b32 s21, exec_lo
                                        ; implicit-def: $sgpr20
	v_cmpx_ne_u32_e64 s3, v13
	s_xor_b32 s21, exec_lo, s21
; %bb.76:                               ;   in Loop: Header=BB170_74 Depth=2
	v_add_nc_u32_e32 v3, 1, v12
	s_mov_b32 s20, -1
	s_delay_alu instid0(VALU_DEP_1)
	v_and_b32_e32 v12, 63, v3
                                        ; implicit-def: $vgpr3
; %bb.77:                               ;   in Loop: Header=BB170_74 Depth=2
	s_and_not1_saveexec_b32 s21, s21
	s_cbranch_execz .LBB170_81
; %bb.78:                               ;   in Loop: Header=BB170_74 Depth=2
	v_mov_b32_e32 v13, s3
	s_mov_b32 s23, -1
	s_mov_b32 s24, exec_lo
	ds_cmpstore_rtn_b32 v13, v3, v4, v13
	s_waitcnt lgkmcnt(0)
	v_cmpx_eq_u32_e64 s3, v13
	s_cbranch_execz .LBB170_80
; %bb.79:                               ;   in Loop: Header=BB170_74 Depth=2
	v_mad_u64_u32 v[13:14], null, v12, 12, v[3:4]
	s_xor_b32 s23, exec_lo, -1
	ds_add_f32 v13, v11 offset:256
.LBB170_80:                             ;   in Loop: Header=BB170_74 Depth=2
	s_or_b32 exec_lo, exec_lo, s24
	s_delay_alu instid0(SALU_CYCLE_1) | instskip(SKIP_1) | instid1(SALU_CYCLE_1)
	s_and_not1_b32 s20, s20, exec_lo
	s_and_b32 s23, s23, exec_lo
	s_or_b32 s20, s20, s23
.LBB170_81:                             ;   in Loop: Header=BB170_74 Depth=2
	s_or_b32 exec_lo, exec_lo, s21
	s_delay_alu instid0(SALU_CYCLE_1)
	s_and_b32 s20, s20, exec_lo
                                        ; implicit-def: $vgpr3
.LBB170_82:                             ;   in Loop: Header=BB170_74 Depth=2
	s_and_not1_saveexec_b32 s19, s19
	s_cbranch_execz .LBB170_73
; %bb.83:                               ;   in Loop: Header=BB170_74 Depth=2
	v_mad_u64_u32 v[13:14], null, v12, 12, v[3:4]
	s_and_not1_b32 s20, s20, exec_lo
	ds_add_f32 v13, v11 offset:256
	s_branch .LBB170_73
.LBB170_84:                             ;   in Loop: Header=BB170_72 Depth=1
	s_or_b32 exec_lo, exec_lo, s18
	s_waitcnt vmcnt(1)
	v_dual_mul_f32 v8, v10, v8 :: v_dual_mov_b32 v11, v5
	s_mov_b32 s18, 0
	s_branch .LBB170_86
.LBB170_85:                             ;   in Loop: Header=BB170_86 Depth=2
	s_or_b32 exec_lo, exec_lo, s19
	s_xor_b32 s19, s20, -1
	s_delay_alu instid0(SALU_CYCLE_1) | instskip(NEXT) | instid1(SALU_CYCLE_1)
	s_and_b32 s19, exec_lo, s19
	s_or_b32 s18, s19, s18
	s_delay_alu instid0(SALU_CYCLE_1)
	s_and_not1_b32 exec_lo, exec_lo, s18
	s_cbranch_execz .LBB170_96
.LBB170_86:                             ;   Parent Loop BB170_72 Depth=1
                                        ; =>  This Inner Loop Header: Depth=2
	s_delay_alu instid0(VALU_DEP_1)
	v_lshl_add_u32 v3, v11, 2, 0
	s_mov_b32 s19, exec_lo
                                        ; implicit-def: $sgpr20
	ds_load_b32 v12, v3
	s_waitcnt lgkmcnt(0)
	v_cmpx_ne_u32_e64 v12, v4
	s_xor_b32 s19, exec_lo, s19
	s_cbranch_execz .LBB170_94
; %bb.87:                               ;   in Loop: Header=BB170_86 Depth=2
	s_mov_b32 s21, exec_lo
                                        ; implicit-def: $sgpr20
	v_cmpx_ne_u32_e64 s3, v12
	s_xor_b32 s21, exec_lo, s21
; %bb.88:                               ;   in Loop: Header=BB170_86 Depth=2
	v_add_nc_u32_e32 v3, 1, v11
	s_mov_b32 s20, -1
	s_delay_alu instid0(VALU_DEP_1)
	v_and_b32_e32 v11, 63, v3
                                        ; implicit-def: $vgpr3
; %bb.89:                               ;   in Loop: Header=BB170_86 Depth=2
	s_and_not1_saveexec_b32 s21, s21
	s_cbranch_execz .LBB170_93
; %bb.90:                               ;   in Loop: Header=BB170_86 Depth=2
	v_mov_b32_e32 v12, s3
	s_mov_b32 s23, -1
	s_mov_b32 s24, exec_lo
	ds_cmpstore_rtn_b32 v12, v3, v4, v12
	s_waitcnt lgkmcnt(0)
	v_cmpx_eq_u32_e64 s3, v12
	s_cbranch_execz .LBB170_92
; %bb.91:                               ;   in Loop: Header=BB170_86 Depth=2
	v_mad_u64_u32 v[12:13], null, v11, 12, v[3:4]
	s_xor_b32 s23, exec_lo, -1
	ds_add_f32 v12, v8 offset:260
.LBB170_92:                             ;   in Loop: Header=BB170_86 Depth=2
	s_or_b32 exec_lo, exec_lo, s24
	s_delay_alu instid0(SALU_CYCLE_1) | instskip(SKIP_1) | instid1(SALU_CYCLE_1)
	s_and_not1_b32 s20, s20, exec_lo
	s_and_b32 s23, s23, exec_lo
	s_or_b32 s20, s20, s23
.LBB170_93:                             ;   in Loop: Header=BB170_86 Depth=2
	s_or_b32 exec_lo, exec_lo, s21
	s_delay_alu instid0(SALU_CYCLE_1)
	s_and_b32 s20, s20, exec_lo
                                        ; implicit-def: $vgpr3
.LBB170_94:                             ;   in Loop: Header=BB170_86 Depth=2
	s_and_not1_saveexec_b32 s19, s19
	s_cbranch_execz .LBB170_85
; %bb.95:                               ;   in Loop: Header=BB170_86 Depth=2
	v_mad_u64_u32 v[12:13], null, v11, 12, v[3:4]
	s_and_not1_b32 s20, s20, exec_lo
	ds_add_f32 v12, v8 offset:260
	s_branch .LBB170_85
.LBB170_96:                             ;   in Loop: Header=BB170_72 Depth=1
	s_or_b32 exec_lo, exec_lo, s18
	v_dual_mul_f32 v7, v10, v7 :: v_dual_mov_b32 v8, v5
	s_mov_b32 s18, 0
	s_branch .LBB170_98
.LBB170_97:                             ;   in Loop: Header=BB170_98 Depth=2
	s_or_b32 exec_lo, exec_lo, s19
	s_xor_b32 s19, s20, -1
	s_delay_alu instid0(SALU_CYCLE_1) | instskip(NEXT) | instid1(SALU_CYCLE_1)
	s_and_b32 s19, exec_lo, s19
	s_or_b32 s18, s19, s18
	s_delay_alu instid0(SALU_CYCLE_1)
	s_and_not1_b32 exec_lo, exec_lo, s18
	s_cbranch_execz .LBB170_108
.LBB170_98:                             ;   Parent Loop BB170_72 Depth=1
                                        ; =>  This Inner Loop Header: Depth=2
	s_delay_alu instid0(VALU_DEP_1)
	v_lshl_add_u32 v3, v8, 2, 0
	s_mov_b32 s19, exec_lo
                                        ; implicit-def: $sgpr20
	ds_load_b32 v11, v3
	s_waitcnt lgkmcnt(0)
	v_cmpx_ne_u32_e64 v11, v4
	s_xor_b32 s19, exec_lo, s19
	s_cbranch_execz .LBB170_106
; %bb.99:                               ;   in Loop: Header=BB170_98 Depth=2
	s_mov_b32 s21, exec_lo
                                        ; implicit-def: $sgpr20
	v_cmpx_ne_u32_e64 s3, v11
	s_xor_b32 s21, exec_lo, s21
; %bb.100:                              ;   in Loop: Header=BB170_98 Depth=2
	v_add_nc_u32_e32 v3, 1, v8
	s_mov_b32 s20, -1
	s_delay_alu instid0(VALU_DEP_1)
	v_and_b32_e32 v8, 63, v3
                                        ; implicit-def: $vgpr3
; %bb.101:                              ;   in Loop: Header=BB170_98 Depth=2
	s_and_not1_saveexec_b32 s21, s21
	s_cbranch_execz .LBB170_105
; %bb.102:                              ;   in Loop: Header=BB170_98 Depth=2
	v_mov_b32_e32 v11, s3
	s_mov_b32 s23, -1
	s_mov_b32 s24, exec_lo
	ds_cmpstore_rtn_b32 v11, v3, v4, v11
	s_waitcnt lgkmcnt(0)
	v_cmpx_eq_u32_e64 s3, v11
	s_cbranch_execz .LBB170_104
; %bb.103:                              ;   in Loop: Header=BB170_98 Depth=2
	v_mad_u64_u32 v[11:12], null, v8, 12, v[3:4]
	s_xor_b32 s23, exec_lo, -1
	ds_add_f32 v11, v7 offset:264
.LBB170_104:                            ;   in Loop: Header=BB170_98 Depth=2
	s_or_b32 exec_lo, exec_lo, s24
	s_delay_alu instid0(SALU_CYCLE_1) | instskip(SKIP_1) | instid1(SALU_CYCLE_1)
	s_and_not1_b32 s20, s20, exec_lo
	s_and_b32 s23, s23, exec_lo
	s_or_b32 s20, s20, s23
.LBB170_105:                            ;   in Loop: Header=BB170_98 Depth=2
	s_or_b32 exec_lo, exec_lo, s21
	s_delay_alu instid0(SALU_CYCLE_1)
	s_and_b32 s20, s20, exec_lo
                                        ; implicit-def: $vgpr3
.LBB170_106:                            ;   in Loop: Header=BB170_98 Depth=2
	s_and_not1_saveexec_b32 s19, s19
	s_cbranch_execz .LBB170_97
; %bb.107:                              ;   in Loop: Header=BB170_98 Depth=2
	v_mad_u64_u32 v[11:12], null, v8, 12, v[3:4]
	s_and_not1_b32 s20, s20, exec_lo
	ds_add_f32 v11, v7 offset:264
	s_branch .LBB170_97
.LBB170_108:                            ;   in Loop: Header=BB170_72 Depth=1
	s_or_b32 exec_lo, exec_lo, s18
	s_waitcnt vmcnt(0)
	v_mul_f32_e32 v6, v10, v6
	s_mov_b32 s18, 0
	s_branch .LBB170_110
.LBB170_109:                            ;   in Loop: Header=BB170_110 Depth=2
	s_or_b32 exec_lo, exec_lo, s19
	s_xor_b32 s19, s20, -1
	s_delay_alu instid0(SALU_CYCLE_1) | instskip(NEXT) | instid1(SALU_CYCLE_1)
	s_and_b32 s19, exec_lo, s19
	s_or_b32 s18, s19, s18
	s_delay_alu instid0(SALU_CYCLE_1)
	s_and_not1_b32 exec_lo, exec_lo, s18
	s_cbranch_execz .LBB170_71
.LBB170_110:                            ;   Parent Loop BB170_72 Depth=1
                                        ; =>  This Inner Loop Header: Depth=2
	v_lshl_add_u32 v3, v5, 2, 0
	s_mov_b32 s19, exec_lo
                                        ; implicit-def: $sgpr20
	ds_load_b32 v7, v3
	s_waitcnt lgkmcnt(0)
	v_cmpx_ne_u32_e64 v7, v4
	s_xor_b32 s19, exec_lo, s19
	s_cbranch_execz .LBB170_118
; %bb.111:                              ;   in Loop: Header=BB170_110 Depth=2
	s_mov_b32 s21, exec_lo
                                        ; implicit-def: $sgpr20
	v_cmpx_ne_u32_e64 s3, v7
	s_xor_b32 s21, exec_lo, s21
; %bb.112:                              ;   in Loop: Header=BB170_110 Depth=2
	v_add_nc_u32_e32 v3, 1, v5
	s_mov_b32 s20, -1
	s_delay_alu instid0(VALU_DEP_1)
	v_and_b32_e32 v5, 63, v3
                                        ; implicit-def: $vgpr3
; %bb.113:                              ;   in Loop: Header=BB170_110 Depth=2
	s_and_not1_saveexec_b32 s21, s21
	s_cbranch_execz .LBB170_117
; %bb.114:                              ;   in Loop: Header=BB170_110 Depth=2
	v_mov_b32_e32 v7, s3
	s_mov_b32 s23, -1
	s_mov_b32 s24, exec_lo
	ds_cmpstore_rtn_b32 v7, v3, v4, v7
	s_waitcnt lgkmcnt(0)
	v_cmpx_eq_u32_e64 s3, v7
	s_cbranch_execz .LBB170_116
; %bb.115:                              ;   in Loop: Header=BB170_110 Depth=2
	v_mad_u64_u32 v[7:8], null, v5, 12, v[3:4]
	s_xor_b32 s23, exec_lo, -1
	ds_add_f32 v7, v6 offset:268
.LBB170_116:                            ;   in Loop: Header=BB170_110 Depth=2
	s_or_b32 exec_lo, exec_lo, s24
	s_delay_alu instid0(SALU_CYCLE_1) | instskip(SKIP_1) | instid1(SALU_CYCLE_1)
	s_and_not1_b32 s20, s20, exec_lo
	s_and_b32 s23, s23, exec_lo
	s_or_b32 s20, s20, s23
.LBB170_117:                            ;   in Loop: Header=BB170_110 Depth=2
	s_or_b32 exec_lo, exec_lo, s21
	s_delay_alu instid0(SALU_CYCLE_1)
	s_and_b32 s20, s20, exec_lo
                                        ; implicit-def: $vgpr3
.LBB170_118:                            ;   in Loop: Header=BB170_110 Depth=2
	s_and_not1_saveexec_b32 s19, s19
	s_cbranch_execz .LBB170_109
; %bb.119:                              ;   in Loop: Header=BB170_110 Depth=2
	v_mad_u64_u32 v[7:8], null, v5, 12, v[3:4]
	s_and_not1_b32 s20, s20, exec_lo
	ds_add_f32 v7, v6 offset:268
	s_branch .LBB170_109
.LBB170_120:
	s_or_b32 exec_lo, exec_lo, s10
.LBB170_121:
	s_waitcnt lgkmcnt(0)
	s_barrier
	buffer_gl0_inv
	s_and_saveexec_b32 s4, s2
	s_cbranch_execz .LBB170_124
; %bb.122:
	ds_load_b32 v1, v9
	s_waitcnt lgkmcnt(0)
	v_cmp_gt_i32_e32 vcc_lo, s3, v1
	s_and_b32 exec_lo, exec_lo, vcc_lo
	s_cbranch_execz .LBB170_124
; %bb.123:
	s_load_b128 s[4:7], s[0:1], 0x78
	v_mov_b32_e32 v26, 0
	s_lshl_b64 s[2:3], s[16:17], 3
	s_load_b64 s[0:1], s[0:1], 0x88
	ds_load_2addr_b32 v[2:3], v26 offset1:1
	s_waitcnt lgkmcnt(0)
	s_add_u32 s2, s4, s2
	s_addc_u32 s3, s5, s3
	s_load_b64 s[2:3], s[2:3], 0x0
	ds_load_2addr_b32 v[4:5], v26 offset0:2 offset1:3
	ds_load_2addr_b32 v[6:7], v26 offset0:4 offset1:5
	;; [unrolled: 1-line block ×11, first 2 shown]
	v_cmp_gt_i32_e32 vcc_lo, v1, v2
	v_cndmask_b32_e64 v2, 0, 1, vcc_lo
	v_cmp_gt_i32_e32 vcc_lo, v1, v3
	v_cndmask_b32_e64 v3, 0, 1, vcc_lo
	s_waitcnt lgkmcnt(0)
	v_cmp_gt_i32_e32 vcc_lo, v1, v4
	v_cndmask_b32_e64 v4, 0, 1, vcc_lo
	s_sub_u32 s2, s2, s14
	s_subb_u32 s3, s3, 0
	v_add_co_u32 v2, s2, s2, v2
	s_delay_alu instid0(VALU_DEP_1) | instskip(SKIP_1) | instid1(VALU_DEP_2)
	v_add_co_ci_u32_e64 v27, null, s3, 0, s2
	s_cmp_eq_u32 s22, 0
	v_add_co_u32 v2, vcc_lo, v2, v3
	s_delay_alu instid0(VALU_DEP_2)
	v_add_co_ci_u32_e32 v3, vcc_lo, 0, v27, vcc_lo
	v_cmp_gt_i32_e32 vcc_lo, v1, v5
	s_cselect_b32 s2, 1, 2
	s_cselect_b32 s3, 2, 1
	v_cndmask_b32_e64 v5, 0, 1, vcc_lo
	v_add_co_u32 v2, vcc_lo, v2, v4
	v_add_co_ci_u32_e32 v3, vcc_lo, 0, v3, vcc_lo
	v_cmp_gt_i32_e32 vcc_lo, v1, v6
	v_cndmask_b32_e64 v4, 0, 1, vcc_lo
	s_delay_alu instid0(VALU_DEP_4) | instskip(NEXT) | instid1(VALU_DEP_4)
	v_add_co_u32 v2, vcc_lo, v2, v5
	v_add_co_ci_u32_e32 v3, vcc_lo, 0, v3, vcc_lo
	v_cmp_gt_i32_e32 vcc_lo, v1, v7
	v_cndmask_b32_e64 v5, 0, 1, vcc_lo
	s_delay_alu instid0(VALU_DEP_4) | instskip(NEXT) | instid1(VALU_DEP_4)
	v_add_co_u32 v2, vcc_lo, v2, v4
	v_add_co_ci_u32_e32 v3, vcc_lo, 0, v3, vcc_lo
	v_cmp_gt_i32_e32 vcc_lo, v1, v8
	v_cndmask_b32_e64 v4, 0, 1, vcc_lo
	s_delay_alu instid0(VALU_DEP_4) | instskip(NEXT) | instid1(VALU_DEP_4)
	v_add_co_u32 v2, vcc_lo, v2, v5
	v_add_co_ci_u32_e32 v3, vcc_lo, 0, v3, vcc_lo
	v_cmp_gt_i32_e32 vcc_lo, v1, v9
	v_cndmask_b32_e64 v5, 0, 1, vcc_lo
	s_delay_alu instid0(VALU_DEP_4) | instskip(NEXT) | instid1(VALU_DEP_4)
	v_add_co_u32 v2, vcc_lo, v2, v4
	v_add_co_ci_u32_e32 v3, vcc_lo, 0, v3, vcc_lo
	v_cmp_gt_i32_e32 vcc_lo, v1, v10
	v_cndmask_b32_e64 v4, 0, 1, vcc_lo
	s_delay_alu instid0(VALU_DEP_4) | instskip(NEXT) | instid1(VALU_DEP_4)
	v_add_co_u32 v2, vcc_lo, v2, v5
	v_add_co_ci_u32_e32 v3, vcc_lo, 0, v3, vcc_lo
	v_cmp_gt_i32_e32 vcc_lo, v1, v11
	v_cndmask_b32_e64 v5, 0, 1, vcc_lo
	s_delay_alu instid0(VALU_DEP_4) | instskip(NEXT) | instid1(VALU_DEP_4)
	v_add_co_u32 v2, vcc_lo, v2, v4
	v_add_co_ci_u32_e32 v3, vcc_lo, 0, v3, vcc_lo
	v_cmp_gt_i32_e32 vcc_lo, v1, v12
	v_cndmask_b32_e64 v4, 0, 1, vcc_lo
	s_delay_alu instid0(VALU_DEP_4) | instskip(NEXT) | instid1(VALU_DEP_4)
	v_add_co_u32 v2, vcc_lo, v2, v5
	v_add_co_ci_u32_e32 v3, vcc_lo, 0, v3, vcc_lo
	v_cmp_gt_i32_e32 vcc_lo, v1, v13
	v_cndmask_b32_e64 v5, 0, 1, vcc_lo
	s_delay_alu instid0(VALU_DEP_4) | instskip(NEXT) | instid1(VALU_DEP_4)
	v_add_co_u32 v2, vcc_lo, v2, v4
	v_add_co_ci_u32_e32 v3, vcc_lo, 0, v3, vcc_lo
	v_cmp_gt_i32_e32 vcc_lo, v1, v14
	v_cndmask_b32_e64 v4, 0, 1, vcc_lo
	s_delay_alu instid0(VALU_DEP_4) | instskip(NEXT) | instid1(VALU_DEP_4)
	v_add_co_u32 v2, vcc_lo, v2, v5
	v_add_co_ci_u32_e32 v3, vcc_lo, 0, v3, vcc_lo
	v_cmp_gt_i32_e32 vcc_lo, v1, v15
	v_cndmask_b32_e64 v5, 0, 1, vcc_lo
	s_delay_alu instid0(VALU_DEP_4) | instskip(NEXT) | instid1(VALU_DEP_4)
	v_add_co_u32 v2, vcc_lo, v2, v4
	v_add_co_ci_u32_e32 v3, vcc_lo, 0, v3, vcc_lo
	v_cmp_gt_i32_e32 vcc_lo, v1, v16
	v_cndmask_b32_e64 v4, 0, 1, vcc_lo
	s_delay_alu instid0(VALU_DEP_4) | instskip(NEXT) | instid1(VALU_DEP_4)
	v_add_co_u32 v2, vcc_lo, v2, v5
	v_add_co_ci_u32_e32 v3, vcc_lo, 0, v3, vcc_lo
	v_cmp_gt_i32_e32 vcc_lo, v1, v17
	v_cndmask_b32_e64 v5, 0, 1, vcc_lo
	s_delay_alu instid0(VALU_DEP_4) | instskip(NEXT) | instid1(VALU_DEP_4)
	v_add_co_u32 v2, vcc_lo, v2, v4
	v_add_co_ci_u32_e32 v3, vcc_lo, 0, v3, vcc_lo
	v_cmp_gt_i32_e32 vcc_lo, v1, v18
	v_cndmask_b32_e64 v4, 0, 1, vcc_lo
	s_delay_alu instid0(VALU_DEP_4) | instskip(NEXT) | instid1(VALU_DEP_4)
	v_add_co_u32 v2, vcc_lo, v2, v5
	v_add_co_ci_u32_e32 v3, vcc_lo, 0, v3, vcc_lo
	v_cmp_gt_i32_e32 vcc_lo, v1, v19
	v_cndmask_b32_e64 v5, 0, 1, vcc_lo
	s_delay_alu instid0(VALU_DEP_4) | instskip(NEXT) | instid1(VALU_DEP_4)
	v_add_co_u32 v2, vcc_lo, v2, v4
	v_add_co_ci_u32_e32 v3, vcc_lo, 0, v3, vcc_lo
	v_cmp_gt_i32_e32 vcc_lo, v1, v20
	v_cndmask_b32_e64 v4, 0, 1, vcc_lo
	s_delay_alu instid0(VALU_DEP_4) | instskip(NEXT) | instid1(VALU_DEP_4)
	v_add_co_u32 v2, vcc_lo, v2, v5
	v_add_co_ci_u32_e32 v3, vcc_lo, 0, v3, vcc_lo
	v_cmp_gt_i32_e32 vcc_lo, v1, v21
	v_cndmask_b32_e64 v5, 0, 1, vcc_lo
	s_delay_alu instid0(VALU_DEP_4) | instskip(NEXT) | instid1(VALU_DEP_4)
	v_add_co_u32 v2, vcc_lo, v2, v4
	v_add_co_ci_u32_e32 v3, vcc_lo, 0, v3, vcc_lo
	v_cmp_gt_i32_e32 vcc_lo, v1, v22
	v_cndmask_b32_e64 v4, 0, 1, vcc_lo
	s_delay_alu instid0(VALU_DEP_4) | instskip(NEXT) | instid1(VALU_DEP_4)
	v_add_co_u32 v5, vcc_lo, v2, v5
	v_add_co_ci_u32_e32 v6, vcc_lo, 0, v3, vcc_lo
	v_cmp_gt_i32_e32 vcc_lo, v1, v23
	ds_load_2addr_b32 v[2:3], v26 offset0:24 offset1:25
	v_cndmask_b32_e64 v7, 0, 1, vcc_lo
	v_add_co_u32 v4, vcc_lo, v5, v4
	v_add_co_ci_u32_e32 v5, vcc_lo, 0, v6, vcc_lo
	v_cmp_gt_i32_e32 vcc_lo, v1, v24
	v_cndmask_b32_e64 v6, 0, 1, vcc_lo
	s_delay_alu instid0(VALU_DEP_4) | instskip(NEXT) | instid1(VALU_DEP_4)
	v_add_co_u32 v7, vcc_lo, v4, v7
	v_add_co_ci_u32_e32 v8, vcc_lo, 0, v5, vcc_lo
	ds_load_2addr_b32 v[4:5], v26 offset0:26 offset1:27
	v_add_co_u32 v10, vcc_lo, v7, v6
	v_add_co_ci_u32_e32 v11, vcc_lo, 0, v8, vcc_lo
	v_cmp_gt_i32_e32 vcc_lo, v1, v25
	ds_load_2addr_b32 v[6:7], v26 offset0:28 offset1:29
	ds_load_2addr_b32 v[8:9], v26 offset0:30 offset1:31
	v_cndmask_b32_e64 v12, 0, 1, vcc_lo
	s_waitcnt lgkmcnt(3)
	v_cmp_gt_i32_e32 vcc_lo, v1, v2
	v_cndmask_b32_e64 v2, 0, 1, vcc_lo
	s_delay_alu instid0(VALU_DEP_3) | instskip(SKIP_3) | instid1(VALU_DEP_4)
	v_add_co_u32 v10, vcc_lo, v10, v12
	v_add_co_ci_u32_e32 v11, vcc_lo, 0, v11, vcc_lo
	v_cmp_gt_i32_e32 vcc_lo, v1, v3
	v_cndmask_b32_e64 v3, 0, 1, vcc_lo
	v_add_co_u32 v2, vcc_lo, v10, v2
	s_delay_alu instid0(VALU_DEP_4)
	v_add_co_ci_u32_e32 v10, vcc_lo, 0, v11, vcc_lo
	s_waitcnt lgkmcnt(2)
	v_cmp_gt_i32_e32 vcc_lo, v1, v4
	v_cndmask_b32_e64 v4, 0, 1, vcc_lo
	v_add_co_u32 v2, vcc_lo, v2, v3
	v_add_co_ci_u32_e32 v3, vcc_lo, 0, v10, vcc_lo
	v_cmp_gt_i32_e32 vcc_lo, v1, v5
	v_cndmask_b32_e64 v5, 0, 1, vcc_lo
	s_delay_alu instid0(VALU_DEP_4) | instskip(NEXT) | instid1(VALU_DEP_4)
	v_add_co_u32 v2, vcc_lo, v2, v4
	v_add_co_ci_u32_e32 v3, vcc_lo, 0, v3, vcc_lo
	s_delay_alu instid0(VALU_DEP_2) | instskip(NEXT) | instid1(VALU_DEP_2)
	v_add_co_u32 v4, vcc_lo, v2, v5
	v_add_co_ci_u32_e32 v5, vcc_lo, 0, v3, vcc_lo
	s_waitcnt lgkmcnt(1)
	v_cmp_gt_i32_e32 vcc_lo, v1, v6
	ds_load_2addr_b32 v[2:3], v26 offset0:32 offset1:33
	v_cndmask_b32_e64 v6, 0, 1, vcc_lo
	v_cmp_gt_i32_e32 vcc_lo, v1, v7
	v_cndmask_b32_e64 v7, 0, 1, vcc_lo
	s_delay_alu instid0(VALU_DEP_3)
	v_add_co_u32 v4, vcc_lo, v4, v6
	v_add_co_ci_u32_e32 v5, vcc_lo, 0, v5, vcc_lo
	s_waitcnt lgkmcnt(1)
	v_cmp_gt_i32_e32 vcc_lo, v1, v8
	v_cndmask_b32_e64 v6, 0, 1, vcc_lo
	v_add_co_u32 v7, vcc_lo, v4, v7
	v_add_co_ci_u32_e32 v8, vcc_lo, 0, v5, vcc_lo
	ds_load_2addr_b32 v[4:5], v26 offset0:34 offset1:35
	v_add_co_u32 v10, vcc_lo, v7, v6
	v_add_co_ci_u32_e32 v11, vcc_lo, 0, v8, vcc_lo
	v_cmp_gt_i32_e32 vcc_lo, v1, v9
	ds_load_2addr_b32 v[6:7], v26 offset0:36 offset1:37
	ds_load_2addr_b32 v[8:9], v26 offset0:38 offset1:39
	v_cndmask_b32_e64 v12, 0, 1, vcc_lo
	s_waitcnt lgkmcnt(3)
	v_cmp_gt_i32_e32 vcc_lo, v1, v2
	v_cndmask_b32_e64 v2, 0, 1, vcc_lo
	s_delay_alu instid0(VALU_DEP_3) | instskip(SKIP_3) | instid1(VALU_DEP_4)
	v_add_co_u32 v10, vcc_lo, v10, v12
	v_add_co_ci_u32_e32 v11, vcc_lo, 0, v11, vcc_lo
	v_cmp_gt_i32_e32 vcc_lo, v1, v3
	v_cndmask_b32_e64 v3, 0, 1, vcc_lo
	v_add_co_u32 v2, vcc_lo, v10, v2
	s_delay_alu instid0(VALU_DEP_4)
	v_add_co_ci_u32_e32 v10, vcc_lo, 0, v11, vcc_lo
	s_waitcnt lgkmcnt(2)
	v_cmp_gt_i32_e32 vcc_lo, v1, v4
	v_cndmask_b32_e64 v4, 0, 1, vcc_lo
	v_add_co_u32 v2, vcc_lo, v2, v3
	v_add_co_ci_u32_e32 v3, vcc_lo, 0, v10, vcc_lo
	v_cmp_gt_i32_e32 vcc_lo, v1, v5
	v_cndmask_b32_e64 v5, 0, 1, vcc_lo
	s_delay_alu instid0(VALU_DEP_4) | instskip(NEXT) | instid1(VALU_DEP_4)
	v_add_co_u32 v2, vcc_lo, v2, v4
	v_add_co_ci_u32_e32 v3, vcc_lo, 0, v3, vcc_lo
	s_delay_alu instid0(VALU_DEP_2) | instskip(NEXT) | instid1(VALU_DEP_2)
	v_add_co_u32 v4, vcc_lo, v2, v5
	v_add_co_ci_u32_e32 v5, vcc_lo, 0, v3, vcc_lo
	s_waitcnt lgkmcnt(1)
	v_cmp_gt_i32_e32 vcc_lo, v1, v6
	ds_load_2addr_b32 v[2:3], v26 offset0:40 offset1:41
	v_cndmask_b32_e64 v6, 0, 1, vcc_lo
	v_cmp_gt_i32_e32 vcc_lo, v1, v7
	v_cndmask_b32_e64 v7, 0, 1, vcc_lo
	s_delay_alu instid0(VALU_DEP_3)
	v_add_co_u32 v4, vcc_lo, v4, v6
	v_add_co_ci_u32_e32 v5, vcc_lo, 0, v5, vcc_lo
	s_waitcnt lgkmcnt(1)
	v_cmp_gt_i32_e32 vcc_lo, v1, v8
	v_cndmask_b32_e64 v6, 0, 1, vcc_lo
	;; [unrolled: 45-line block ×4, first 2 shown]
	v_add_co_u32 v7, vcc_lo, v4, v7
	v_add_co_ci_u32_e32 v8, vcc_lo, 0, v5, vcc_lo
	ds_load_2addr_b32 v[4:5], v26 offset0:58 offset1:59
	v_add_co_u32 v10, vcc_lo, v7, v6
	v_add_co_ci_u32_e32 v11, vcc_lo, 0, v8, vcc_lo
	v_cmp_gt_i32_e32 vcc_lo, v1, v9
	ds_load_2addr_b32 v[6:7], v26 offset0:60 offset1:61
	ds_load_2addr_b32 v[8:9], v26 offset0:62 offset1:63
	v_cndmask_b32_e64 v12, 0, 1, vcc_lo
	s_waitcnt lgkmcnt(3)
	v_cmp_gt_i32_e32 vcc_lo, v1, v2
	v_cndmask_b32_e64 v2, 0, 1, vcc_lo
	s_delay_alu instid0(VALU_DEP_3) | instskip(SKIP_3) | instid1(VALU_DEP_4)
	v_add_co_u32 v10, vcc_lo, v10, v12
	v_add_co_ci_u32_e32 v11, vcc_lo, 0, v11, vcc_lo
	v_cmp_gt_i32_e32 vcc_lo, v1, v3
	v_cndmask_b32_e64 v3, 0, 1, vcc_lo
	v_add_co_u32 v2, vcc_lo, v10, v2
	s_delay_alu instid0(VALU_DEP_4)
	v_add_co_ci_u32_e32 v10, vcc_lo, 0, v11, vcc_lo
	s_waitcnt lgkmcnt(2)
	v_cmp_gt_i32_e32 vcc_lo, v1, v4
	v_cndmask_b32_e64 v4, 0, 1, vcc_lo
	v_add_co_u32 v2, vcc_lo, v2, v3
	v_add_co_ci_u32_e32 v3, vcc_lo, 0, v10, vcc_lo
	v_cmp_gt_i32_e32 vcc_lo, v1, v5
	v_add_nc_u32_e32 v10, s14, v1
	v_cndmask_b32_e64 v5, 0, 1, vcc_lo
	v_add_co_u32 v2, vcc_lo, v2, v4
	v_add_co_ci_u32_e32 v3, vcc_lo, 0, v3, vcc_lo
	s_waitcnt lgkmcnt(1)
	v_cmp_gt_i32_e32 vcc_lo, v1, v6
	v_cndmask_b32_e64 v4, 0, 1, vcc_lo
	v_add_co_u32 v2, vcc_lo, v2, v5
	v_add_co_ci_u32_e32 v3, vcc_lo, 0, v3, vcc_lo
	v_cmp_gt_i32_e32 vcc_lo, v1, v7
	v_cndmask_b32_e64 v5, 0, 1, vcc_lo
	s_delay_alu instid0(VALU_DEP_4) | instskip(NEXT) | instid1(VALU_DEP_4)
	v_add_co_u32 v2, vcc_lo, v2, v4
	v_add_co_ci_u32_e32 v3, vcc_lo, 0, v3, vcc_lo
	s_waitcnt lgkmcnt(0)
	v_cmp_gt_i32_e32 vcc_lo, v1, v8
	v_cndmask_b32_e64 v4, 0, 1, vcc_lo
	v_add_co_u32 v2, vcc_lo, v2, v5
	v_add_co_ci_u32_e32 v3, vcc_lo, 0, v3, vcc_lo
	v_lshlrev_b32_e32 v5, 2, v0
	s_delay_alu instid0(VALU_DEP_3) | instskip(NEXT) | instid1(VALU_DEP_3)
	v_add_co_u32 v2, vcc_lo, v2, v4
	v_add_co_ci_u32_e32 v3, vcc_lo, 0, v3, vcc_lo
	v_cmp_gt_i32_e32 vcc_lo, v1, v9
	v_lshlrev_b32_e32 v0, 4, v0
	v_or_b32_e32 v4, s2, v5
	v_or_b32_e32 v5, s3, v5
	v_cndmask_b32_e64 v6, 0, 1, vcc_lo
	s_delay_alu instid0(VALU_DEP_4) | instskip(NEXT) | instid1(VALU_DEP_4)
	v_add_nc_u32_e32 v8, 0, v0
	v_lshl_add_u32 v9, v4, 2, 0
	s_delay_alu instid0(VALU_DEP_4)
	v_lshl_add_u32 v4, v5, 2, 0
	v_add3_u32 v0, 0, 0x100, v0
	v_add_co_u32 v6, vcc_lo, v2, v6
	v_add_co_ci_u32_e32 v7, vcc_lo, 0, v3, vcc_lo
	ds_load_b32 v2, v8 offset:256
	ds_load_b32 v4, v4 offset:256
	;; [unrolled: 1-line block ×4, first 2 shown]
	v_lshlrev_b64 v[8:9], 2, v[6:7]
	v_lshlrev_b64 v[0:1], 4, v[6:7]
	s_delay_alu instid0(VALU_DEP_2) | instskip(NEXT) | instid1(VALU_DEP_3)
	v_add_co_u32 v6, vcc_lo, s6, v8
	v_add_co_ci_u32_e32 v7, vcc_lo, s7, v9, vcc_lo
	s_delay_alu instid0(VALU_DEP_3) | instskip(NEXT) | instid1(VALU_DEP_4)
	v_add_co_u32 v0, vcc_lo, s0, v0
	v_add_co_ci_u32_e32 v1, vcc_lo, s1, v1, vcc_lo
	global_store_b32 v[6:7], v10, off
	s_waitcnt lgkmcnt(0)
	global_store_b128 v[0:1], v[2:5], off
.LBB170_124:
	s_nop 0
	s_sendmsg sendmsg(MSG_DEALLOC_VGPRS)
	s_endpgm
	.section	.rodata,"a",@progbits
	.p2align	6, 0x0
	.amdhsa_kernel _ZN9rocsparseL30bsrgemm_fill_block_per_row_2x2ILj256ELj16ELj64ELj137ElifEEv20rocsparse_direction_T4_S2_PKS2_S4_NS_24const_host_device_scalarIT5_EEPKT3_S4_PKS6_SA_S4_SC_S7_SA_S4_SC_SA_PS2_PS6_21rocsparse_index_base_SF_SF_SF_bbb
		.amdhsa_group_segment_fixed_size 0
		.amdhsa_private_segment_fixed_size 0
		.amdhsa_kernarg_size 164
		.amdhsa_user_sgpr_count 15
		.amdhsa_user_sgpr_dispatch_ptr 0
		.amdhsa_user_sgpr_queue_ptr 0
		.amdhsa_user_sgpr_kernarg_segment_ptr 1
		.amdhsa_user_sgpr_dispatch_id 0
		.amdhsa_user_sgpr_private_segment_size 0
		.amdhsa_wavefront_size32 1
		.amdhsa_uses_dynamic_stack 0
		.amdhsa_enable_private_segment 0
		.amdhsa_system_sgpr_workgroup_id_x 1
		.amdhsa_system_sgpr_workgroup_id_y 0
		.amdhsa_system_sgpr_workgroup_id_z 0
		.amdhsa_system_sgpr_workgroup_info 0
		.amdhsa_system_vgpr_workitem_id 0
		.amdhsa_next_free_vgpr 28
		.amdhsa_next_free_sgpr 38
		.amdhsa_reserve_vcc 1
		.amdhsa_float_round_mode_32 0
		.amdhsa_float_round_mode_16_64 0
		.amdhsa_float_denorm_mode_32 3
		.amdhsa_float_denorm_mode_16_64 3
		.amdhsa_dx10_clamp 1
		.amdhsa_ieee_mode 1
		.amdhsa_fp16_overflow 0
		.amdhsa_workgroup_processor_mode 1
		.amdhsa_memory_ordered 1
		.amdhsa_forward_progress 0
		.amdhsa_shared_vgpr_count 0
		.amdhsa_exception_fp_ieee_invalid_op 0
		.amdhsa_exception_fp_denorm_src 0
		.amdhsa_exception_fp_ieee_div_zero 0
		.amdhsa_exception_fp_ieee_overflow 0
		.amdhsa_exception_fp_ieee_underflow 0
		.amdhsa_exception_fp_ieee_inexact 0
		.amdhsa_exception_int_div_zero 0
	.end_amdhsa_kernel
	.section	.text._ZN9rocsparseL30bsrgemm_fill_block_per_row_2x2ILj256ELj16ELj64ELj137ElifEEv20rocsparse_direction_T4_S2_PKS2_S4_NS_24const_host_device_scalarIT5_EEPKT3_S4_PKS6_SA_S4_SC_S7_SA_S4_SC_SA_PS2_PS6_21rocsparse_index_base_SF_SF_SF_bbb,"axG",@progbits,_ZN9rocsparseL30bsrgemm_fill_block_per_row_2x2ILj256ELj16ELj64ELj137ElifEEv20rocsparse_direction_T4_S2_PKS2_S4_NS_24const_host_device_scalarIT5_EEPKT3_S4_PKS6_SA_S4_SC_S7_SA_S4_SC_SA_PS2_PS6_21rocsparse_index_base_SF_SF_SF_bbb,comdat
.Lfunc_end170:
	.size	_ZN9rocsparseL30bsrgemm_fill_block_per_row_2x2ILj256ELj16ELj64ELj137ElifEEv20rocsparse_direction_T4_S2_PKS2_S4_NS_24const_host_device_scalarIT5_EEPKT3_S4_PKS6_SA_S4_SC_S7_SA_S4_SC_SA_PS2_PS6_21rocsparse_index_base_SF_SF_SF_bbb, .Lfunc_end170-_ZN9rocsparseL30bsrgemm_fill_block_per_row_2x2ILj256ELj16ELj64ELj137ElifEEv20rocsparse_direction_T4_S2_PKS2_S4_NS_24const_host_device_scalarIT5_EEPKT3_S4_PKS6_SA_S4_SC_S7_SA_S4_SC_SA_PS2_PS6_21rocsparse_index_base_SF_SF_SF_bbb
                                        ; -- End function
	.section	.AMDGPU.csdata,"",@progbits
; Kernel info:
; codeLenInByte = 5876
; NumSgprs: 40
; NumVgprs: 28
; ScratchSize: 0
; MemoryBound: 0
; FloatMode: 240
; IeeeMode: 1
; LDSByteSize: 0 bytes/workgroup (compile time only)
; SGPRBlocks: 4
; VGPRBlocks: 3
; NumSGPRsForWavesPerEU: 40
; NumVGPRsForWavesPerEU: 28
; Occupancy: 16
; WaveLimiterHint : 1
; COMPUTE_PGM_RSRC2:SCRATCH_EN: 0
; COMPUTE_PGM_RSRC2:USER_SGPR: 15
; COMPUTE_PGM_RSRC2:TRAP_HANDLER: 0
; COMPUTE_PGM_RSRC2:TGID_X_EN: 1
; COMPUTE_PGM_RSRC2:TGID_Y_EN: 0
; COMPUTE_PGM_RSRC2:TGID_Z_EN: 0
; COMPUTE_PGM_RSRC2:TIDIG_COMP_CNT: 0
	.section	.text._ZN9rocsparseL30bsrgemm_fill_block_per_row_2x2ILj256ELj16ELj128ELj137ElifEEv20rocsparse_direction_T4_S2_PKS2_S4_NS_24const_host_device_scalarIT5_EEPKT3_S4_PKS6_SA_S4_SC_S7_SA_S4_SC_SA_PS2_PS6_21rocsparse_index_base_SF_SF_SF_bbb,"axG",@progbits,_ZN9rocsparseL30bsrgemm_fill_block_per_row_2x2ILj256ELj16ELj128ELj137ElifEEv20rocsparse_direction_T4_S2_PKS2_S4_NS_24const_host_device_scalarIT5_EEPKT3_S4_PKS6_SA_S4_SC_S7_SA_S4_SC_SA_PS2_PS6_21rocsparse_index_base_SF_SF_SF_bbb,comdat
	.globl	_ZN9rocsparseL30bsrgemm_fill_block_per_row_2x2ILj256ELj16ELj128ELj137ElifEEv20rocsparse_direction_T4_S2_PKS2_S4_NS_24const_host_device_scalarIT5_EEPKT3_S4_PKS6_SA_S4_SC_S7_SA_S4_SC_SA_PS2_PS6_21rocsparse_index_base_SF_SF_SF_bbb ; -- Begin function _ZN9rocsparseL30bsrgemm_fill_block_per_row_2x2ILj256ELj16ELj128ELj137ElifEEv20rocsparse_direction_T4_S2_PKS2_S4_NS_24const_host_device_scalarIT5_EEPKT3_S4_PKS6_SA_S4_SC_S7_SA_S4_SC_SA_PS2_PS6_21rocsparse_index_base_SF_SF_SF_bbb
	.p2align	8
	.type	_ZN9rocsparseL30bsrgemm_fill_block_per_row_2x2ILj256ELj16ELj128ELj137ElifEEv20rocsparse_direction_T4_S2_PKS2_S4_NS_24const_host_device_scalarIT5_EEPKT3_S4_PKS6_SA_S4_SC_S7_SA_S4_SC_SA_PS2_PS6_21rocsparse_index_base_SF_SF_SF_bbb,@function
_ZN9rocsparseL30bsrgemm_fill_block_per_row_2x2ILj256ELj16ELj128ELj137ElifEEv20rocsparse_direction_T4_S2_PKS2_S4_NS_24const_host_device_scalarIT5_EEPKT3_S4_PKS6_SA_S4_SC_S7_SA_S4_SC_SA_PS2_PS6_21rocsparse_index_base_SF_SF_SF_bbb: ; @_ZN9rocsparseL30bsrgemm_fill_block_per_row_2x2ILj256ELj16ELj128ELj137ElifEEv20rocsparse_direction_T4_S2_PKS2_S4_NS_24const_host_device_scalarIT5_EEPKT3_S4_PKS6_SA_S4_SC_S7_SA_S4_SC_SA_PS2_PS6_21rocsparse_index_base_SF_SF_SF_bbb
; %bb.0:
	s_clause 0x2
	s_load_b32 s6, s[0:1], 0xa0
	s_load_b64 s[4:5], s[0:1], 0x20
	s_load_b64 s[2:3], s[0:1], 0x58
	s_mov_b32 s34, s15
	s_waitcnt lgkmcnt(0)
	s_bitcmp1_b32 s6, 0
	s_cselect_b32 s35, -1, 0
	s_bitcmp1_b32 s6, 16
	s_cselect_b32 s7, -1, 0
	s_xor_b32 s8, s35, -1
	s_delay_alu instid0(SALU_CYCLE_1) | instskip(NEXT) | instid1(SALU_CYCLE_1)
	s_or_b32 s8, s8, s7
	s_and_b32 vcc_lo, exec_lo, s8
	s_cbranch_vccnz .LBB171_2
; %bb.1:
	s_load_b32 s4, s[4:5], 0x0
	s_waitcnt lgkmcnt(0)
	v_mov_b32_e32 v11, s4
	s_branch .LBB171_3
.LBB171_2:
	v_cndmask_b32_e64 v11, 0, s4, s35
.LBB171_3:
	s_bitcmp1_b32 s6, 8
	s_cselect_b32 s40, -1, 0
	s_delay_alu instid0(SALU_CYCLE_1) | instskip(NEXT) | instid1(SALU_CYCLE_1)
	s_xor_b32 s4, s40, -1
	s_or_b32 s4, s4, s7
	s_delay_alu instid0(SALU_CYCLE_1)
	s_and_b32 vcc_lo, exec_lo, s4
	s_cbranch_vccnz .LBB171_5
; %bb.4:
	s_load_b32 s2, s[2:3], 0x0
	s_waitcnt lgkmcnt(0)
	v_mov_b32_e32 v10, s2
	s_branch .LBB171_6
.LBB171_5:
	v_cndmask_b32_e64 v10, 0, s2, s40
.LBB171_6:
	s_clause 0x1
	s_load_b128 s[20:23], s[0:1], 0x90
	s_load_b32 s33, s[0:1], 0x8
	v_cmp_gt_u32_e64 s2, 0x80, v0
	v_lshl_add_u32 v9, v0, 2, 0
	s_delay_alu instid0(VALU_DEP_2)
	s_and_saveexec_b32 s3, s2
	s_cbranch_execz .LBB171_8
; %bb.7:
	s_waitcnt lgkmcnt(0)
	v_mov_b32_e32 v1, s33
	ds_store_b32 v9, v1
.LBB171_8:
	s_or_b32 exec_lo, exec_lo, s3
	s_clause 0x4
	s_load_b128 s[24:27], s[0:1], 0x80
	s_load_b256 s[4:11], s[0:1], 0x60
	s_load_b128 s[28:31], s[0:1], 0x48
	s_load_b128 s[36:39], s[0:1], 0x10
	s_load_b256 s[12:19], s[0:1], 0x28
	s_mov_b32 s3, exec_lo
	v_cmpx_gt_u32_e32 0x200, v0
	s_cbranch_execz .LBB171_11
; %bb.9:
	v_dual_mov_b32 v3, 0 :: v_dual_lshlrev_b32 v2, 2, v0
	v_or_b32_e32 v1, 0xffffff00, v0
	s_mov_b32 s41, 0
	s_delay_alu instid0(VALU_DEP_2)
	v_add3_u32 v2, v2, 0, 0x200
.LBB171_10:                             ; =>This Inner Loop Header: Depth=1
	s_delay_alu instid0(VALU_DEP_2) | instskip(NEXT) | instid1(VALU_DEP_1)
	v_add_co_u32 v1, s42, 0x100, v1
	s_xor_b32 s42, s42, -1
	ds_store_b32 v2, v3
	v_add_nc_u32_e32 v2, 0x400, v2
	s_and_b32 s42, exec_lo, s42
	s_delay_alu instid0(SALU_CYCLE_1) | instskip(NEXT) | instid1(SALU_CYCLE_1)
	s_or_b32 s41, s42, s41
	s_and_not1_b32 exec_lo, exec_lo, s41
	s_cbranch_execnz .LBB171_10
.LBB171_11:
	s_or_b32 exec_lo, exec_lo, s3
	s_waitcnt lgkmcnt(0)
	s_cmp_lg_u64 s[38:39], 0
	s_barrier
	buffer_gl0_inv
	s_cbranch_scc0 .LBB171_13
; %bb.12:
	s_load_b32 s3, s[36:37], 0x0
	s_mov_b32 s37, 0
	s_waitcnt lgkmcnt(0)
	s_add_i32 s36, s3, s34
	s_delay_alu instid0(SALU_CYCLE_1) | instskip(NEXT) | instid1(SALU_CYCLE_1)
	s_lshl_b64 s[36:37], s[36:37], 2
	s_add_u32 s36, s38, s36
	s_addc_u32 s37, s39, s37
	s_load_b32 s34, s[36:37], 0x0
.LBB171_13:
	s_load_b32 s3, s[0:1], 0x0
	s_and_not1_b32 vcc_lo, exec_lo, s35
	s_waitcnt lgkmcnt(0)
	s_ashr_i32 s35, s34, 31
	s_cbranch_vccnz .LBB171_69
; %bb.14:
	s_lshl_b64 s[0:1], s[34:35], 3
	v_lshrrev_b32_e32 v1, 4, v0
	s_add_u32 s0, s12, s0
	s_addc_u32 s1, s13, s1
	s_mov_b32 s13, 0
	s_load_b128 s[36:39], s[0:1], 0x0
	v_sub_co_u32 v1, s0, v1, s20
	s_delay_alu instid0(VALU_DEP_1) | instskip(SKIP_2) | instid1(VALU_DEP_2)
	v_sub_co_ci_u32_e64 v2, null, 0, 0, s0
	s_mov_b32 s12, exec_lo
	s_waitcnt lgkmcnt(0)
	v_add_co_u32 v1, vcc_lo, s36, v1
	s_delay_alu instid0(VALU_DEP_2)
	v_add_co_ci_u32_e32 v2, vcc_lo, s37, v2, vcc_lo
	s_sub_u32 s0, s38, s20
	s_subb_u32 s1, s39, 0
	s_delay_alu instid0(VALU_DEP_1) | instid1(SALU_CYCLE_1)
	v_cmpx_gt_i64_e64 s[0:1], v[1:2]
	s_cbranch_execz .LBB171_68
; %bb.15:
	v_and_b32_e32 v3, 15, v0
	s_cmp_eq_u32 s3, 0
	s_cselect_b32 s37, 1, 2
	s_cselect_b32 s38, 2, 1
	s_delay_alu instid0(VALU_DEP_1) | instskip(NEXT) | instid1(VALU_DEP_1)
	v_sub_co_u32 v12, s36, v3, s21
	v_sub_co_ci_u32_e64 v13, null, 0, 0, s36
	s_mov_b32 s36, s21
	s_branch .LBB171_17
.LBB171_16:                             ;   in Loop: Header=BB171_17 Depth=1
	s_or_b32 exec_lo, exec_lo, s39
	v_add_co_u32 v1, vcc_lo, v1, 16
	v_add_co_ci_u32_e32 v2, vcc_lo, 0, v2, vcc_lo
	s_delay_alu instid0(VALU_DEP_1) | instskip(SKIP_1) | instid1(SALU_CYCLE_1)
	v_cmp_le_i64_e32 vcc_lo, s[0:1], v[1:2]
	s_or_b32 s13, vcc_lo, s13
	s_and_not1_b32 exec_lo, exec_lo, s13
	s_cbranch_execz .LBB171_68
.LBB171_17:                             ; =>This Loop Header: Depth=1
                                        ;     Child Loop BB171_20 Depth 2
                                        ;       Child Loop BB171_22 Depth 3
                                        ;       Child Loop BB171_34 Depth 3
	;; [unrolled: 1-line block ×4, first 2 shown]
	v_lshlrev_b64 v[7:8], 2, v[1:2]
	s_mov_b32 s39, exec_lo
	s_delay_alu instid0(VALU_DEP_1) | instskip(NEXT) | instid1(VALU_DEP_2)
	v_add_co_u32 v3, vcc_lo, s14, v7
	v_add_co_ci_u32_e32 v4, vcc_lo, s15, v8, vcc_lo
	global_load_b32 v3, v[3:4], off
	s_waitcnt vmcnt(0)
	v_subrev_nc_u32_e32 v3, s20, v3
	s_delay_alu instid0(VALU_DEP_1) | instskip(NEXT) | instid1(VALU_DEP_1)
	v_ashrrev_i32_e32 v4, 31, v3
	v_lshlrev_b64 v[3:4], 3, v[3:4]
	s_delay_alu instid0(VALU_DEP_1) | instskip(NEXT) | instid1(VALU_DEP_2)
	v_add_co_u32 v3, vcc_lo, s18, v3
	v_add_co_ci_u32_e32 v4, vcc_lo, s19, v4, vcc_lo
	global_load_b128 v[14:17], v[3:4], off
	s_waitcnt vmcnt(0)
	v_sub_co_u32 v3, vcc_lo, v16, s36
	v_subrev_co_ci_u32_e32 v4, vcc_lo, 0, v17, vcc_lo
	v_add_co_u32 v5, vcc_lo, v14, v12
	v_add_co_ci_u32_e32 v6, vcc_lo, v15, v13, vcc_lo
	s_delay_alu instid0(VALU_DEP_1)
	v_cmpx_lt_i64_e64 v[5:6], v[3:4]
	s_cbranch_execz .LBB171_16
; %bb.18:                               ;   in Loop: Header=BB171_17 Depth=1
	v_or_b32_e32 v15, 0, v8
	v_or_b32_e32 v14, s38, v7
	v_lshlrev_b64 v[16:17], 4, v[1:2]
	v_or_b32_e32 v8, 0, v8
	v_or_b32_e32 v7, s37, v7
	s_mov_b32 s41, 0
	v_lshlrev_b64 v[14:15], 2, v[14:15]
	s_delay_alu instid0(VALU_DEP_4) | instskip(NEXT) | instid1(VALU_DEP_3)
	v_add_co_u32 v16, vcc_lo, s16, v16
	v_lshlrev_b64 v[7:8], 2, v[7:8]
	v_add_co_ci_u32_e32 v17, vcc_lo, s17, v17, vcc_lo
	s_delay_alu instid0(VALU_DEP_4) | instskip(SKIP_1) | instid1(VALU_DEP_4)
	v_add_co_u32 v14, vcc_lo, s16, v14
	v_add_co_ci_u32_e32 v15, vcc_lo, s17, v15, vcc_lo
	v_add_co_u32 v7, vcc_lo, s16, v7
	v_add_co_ci_u32_e32 v8, vcc_lo, s17, v8, vcc_lo
	s_clause 0x3
	global_load_b32 v18, v[16:17], off offset:12
	global_load_b32 v14, v[14:15], off
	global_load_b32 v7, v[7:8], off
	;; [unrolled: 1-line block ×3, first 2 shown]
	s_waitcnt vmcnt(3)
	v_mul_f32_e32 v8, v11, v18
	s_waitcnt vmcnt(2)
	v_mul_f32_e32 v14, v11, v14
	;; [unrolled: 2-line block ×4, first 2 shown]
	s_branch .LBB171_20
.LBB171_19:                             ;   in Loop: Header=BB171_20 Depth=2
	s_or_b32 exec_lo, exec_lo, s42
	v_add_co_u32 v5, vcc_lo, v5, 16
	v_add_co_ci_u32_e32 v6, vcc_lo, 0, v6, vcc_lo
	s_delay_alu instid0(VALU_DEP_1) | instskip(SKIP_1) | instid1(SALU_CYCLE_1)
	v_cmp_ge_i64_e32 vcc_lo, v[5:6], v[3:4]
	s_or_b32 s41, vcc_lo, s41
	s_and_not1_b32 exec_lo, exec_lo, s41
	s_cbranch_execz .LBB171_16
.LBB171_20:                             ;   Parent Loop BB171_17 Depth=1
                                        ; =>  This Loop Header: Depth=2
                                        ;       Child Loop BB171_22 Depth 3
                                        ;       Child Loop BB171_34 Depth 3
	;; [unrolled: 1-line block ×4, first 2 shown]
	v_lshlrev_b64 v[17:18], 2, v[5:6]
	v_lshlrev_b64 v[23:24], 4, v[5:6]
	s_mov_b32 s42, 0
	s_delay_alu instid0(VALU_DEP_2) | instskip(NEXT) | instid1(VALU_DEP_3)
	v_or_b32_e32 v22, 0, v18
	v_or_b32_e32 v21, s38, v17
	;; [unrolled: 1-line block ×3, first 2 shown]
	v_add_co_u32 v17, vcc_lo, s28, v17
	v_or_b32_e32 v20, 0, v18
	v_add_co_ci_u32_e32 v18, vcc_lo, s29, v18, vcc_lo
	v_lshlrev_b64 v[21:22], 2, v[21:22]
	s_delay_alu instid0(VALU_DEP_3)
	v_lshlrev_b64 v[19:20], 2, v[19:20]
	global_load_b32 v7, v[17:18], off
	v_add_co_u32 v17, vcc_lo, s30, v21
	v_add_co_ci_u32_e32 v18, vcc_lo, s31, v22, vcc_lo
	v_add_co_u32 v23, vcc_lo, s30, v23
	v_add_co_ci_u32_e32 v24, vcc_lo, s31, v24, vcc_lo
	global_load_b32 v21, v[17:18], off
	v_add_co_u32 v17, vcc_lo, s30, v19
	v_add_co_ci_u32_e32 v18, vcc_lo, s31, v20, vcc_lo
	s_clause 0x2
	global_load_b32 v22, v[23:24], off
	global_load_b32 v19, v[17:18], off
	global_load_b32 v20, v[23:24], off offset:12
	s_waitcnt vmcnt(4)
	v_subrev_nc_u32_e32 v17, s21, v7
	s_delay_alu instid0(VALU_DEP_1) | instskip(SKIP_1) | instid1(VALU_DEP_1)
	v_lshl_add_u32 v7, v17, 3, v17
	s_waitcnt vmcnt(3)
	v_dual_mul_f32 v23, v15, v21 :: v_dual_and_b32 v18, 0x7f, v7
	s_waitcnt vmcnt(2)
	s_delay_alu instid0(VALU_DEP_1)
	v_dual_mov_b32 v24, v18 :: v_dual_fmac_f32 v23, v16, v22
	s_branch .LBB171_22
.LBB171_21:                             ;   in Loop: Header=BB171_22 Depth=3
	s_or_b32 exec_lo, exec_lo, s43
	s_xor_b32 s43, s44, -1
	s_delay_alu instid0(SALU_CYCLE_1) | instskip(NEXT) | instid1(SALU_CYCLE_1)
	s_and_b32 s43, exec_lo, s43
	s_or_b32 s42, s43, s42
	s_delay_alu instid0(SALU_CYCLE_1)
	s_and_not1_b32 exec_lo, exec_lo, s42
	s_cbranch_execz .LBB171_32
.LBB171_22:                             ;   Parent Loop BB171_17 Depth=1
                                        ;     Parent Loop BB171_20 Depth=2
                                        ; =>    This Inner Loop Header: Depth=3
	s_delay_alu instid0(VALU_DEP_1)
	v_lshl_add_u32 v7, v24, 2, 0
	s_mov_b32 s43, exec_lo
                                        ; implicit-def: $sgpr44
	ds_load_b32 v25, v7
	s_waitcnt lgkmcnt(0)
	v_cmpx_ne_u32_e64 v25, v17
	s_xor_b32 s43, exec_lo, s43
	s_cbranch_execz .LBB171_30
; %bb.23:                               ;   in Loop: Header=BB171_22 Depth=3
	s_mov_b32 s45, exec_lo
                                        ; implicit-def: $sgpr44
	v_cmpx_ne_u32_e64 s33, v25
	s_xor_b32 s45, exec_lo, s45
; %bb.24:                               ;   in Loop: Header=BB171_22 Depth=3
	v_add_nc_u32_e32 v7, 1, v24
	s_mov_b32 s44, -1
	s_delay_alu instid0(VALU_DEP_1)
	v_and_b32_e32 v24, 0x7f, v7
                                        ; implicit-def: $vgpr7
; %bb.25:                               ;   in Loop: Header=BB171_22 Depth=3
	s_and_not1_saveexec_b32 s45, s45
	s_cbranch_execz .LBB171_29
; %bb.26:                               ;   in Loop: Header=BB171_22 Depth=3
	v_mov_b32_e32 v25, s33
	s_mov_b32 s46, -1
	s_mov_b32 s47, exec_lo
	ds_cmpstore_rtn_b32 v25, v7, v17, v25
	s_waitcnt lgkmcnt(0)
	v_cmpx_eq_u32_e64 s33, v25
	s_cbranch_execz .LBB171_28
; %bb.27:                               ;   in Loop: Header=BB171_22 Depth=3
	v_mad_u64_u32 v[25:26], null, v24, 12, v[7:8]
	s_xor_b32 s46, exec_lo, -1
	ds_add_f32 v25, v23 offset:512
.LBB171_28:                             ;   in Loop: Header=BB171_22 Depth=3
	s_or_b32 exec_lo, exec_lo, s47
	s_delay_alu instid0(SALU_CYCLE_1) | instskip(SKIP_1) | instid1(SALU_CYCLE_1)
	s_and_not1_b32 s44, s44, exec_lo
	s_and_b32 s46, s46, exec_lo
	s_or_b32 s44, s44, s46
.LBB171_29:                             ;   in Loop: Header=BB171_22 Depth=3
	s_or_b32 exec_lo, exec_lo, s45
	s_delay_alu instid0(SALU_CYCLE_1)
	s_and_b32 s44, s44, exec_lo
                                        ; implicit-def: $vgpr7
.LBB171_30:                             ;   in Loop: Header=BB171_22 Depth=3
	s_and_not1_saveexec_b32 s43, s43
	s_cbranch_execz .LBB171_21
; %bb.31:                               ;   in Loop: Header=BB171_22 Depth=3
	v_mad_u64_u32 v[25:26], null, v24, 12, v[7:8]
	s_and_not1_b32 s44, s44, exec_lo
	ds_add_f32 v25, v23 offset:512
	s_branch .LBB171_21
.LBB171_32:                             ;   in Loop: Header=BB171_20 Depth=2
	s_or_b32 exec_lo, exec_lo, s42
	s_waitcnt vmcnt(0)
	v_dual_mul_f32 v23, v15, v20 :: v_dual_mov_b32 v24, v18
	s_mov_b32 s42, 0
	s_delay_alu instid0(VALU_DEP_1)
	v_fmac_f32_e32 v23, v16, v19
	s_branch .LBB171_34
.LBB171_33:                             ;   in Loop: Header=BB171_34 Depth=3
	s_or_b32 exec_lo, exec_lo, s43
	s_xor_b32 s43, s44, -1
	s_delay_alu instid0(SALU_CYCLE_1) | instskip(NEXT) | instid1(SALU_CYCLE_1)
	s_and_b32 s43, exec_lo, s43
	s_or_b32 s42, s43, s42
	s_delay_alu instid0(SALU_CYCLE_1)
	s_and_not1_b32 exec_lo, exec_lo, s42
	s_cbranch_execz .LBB171_44
.LBB171_34:                             ;   Parent Loop BB171_17 Depth=1
                                        ;     Parent Loop BB171_20 Depth=2
                                        ; =>    This Inner Loop Header: Depth=3
	s_delay_alu instid0(VALU_DEP_2)
	v_lshl_add_u32 v7, v24, 2, 0
	s_mov_b32 s43, exec_lo
                                        ; implicit-def: $sgpr44
	ds_load_b32 v25, v7
	s_waitcnt lgkmcnt(0)
	v_cmpx_ne_u32_e64 v25, v17
	s_xor_b32 s43, exec_lo, s43
	s_cbranch_execz .LBB171_42
; %bb.35:                               ;   in Loop: Header=BB171_34 Depth=3
	s_mov_b32 s45, exec_lo
                                        ; implicit-def: $sgpr44
	v_cmpx_ne_u32_e64 s33, v25
	s_xor_b32 s45, exec_lo, s45
; %bb.36:                               ;   in Loop: Header=BB171_34 Depth=3
	v_add_nc_u32_e32 v7, 1, v24
	s_mov_b32 s44, -1
	s_delay_alu instid0(VALU_DEP_1)
	v_and_b32_e32 v24, 0x7f, v7
                                        ; implicit-def: $vgpr7
; %bb.37:                               ;   in Loop: Header=BB171_34 Depth=3
	s_and_not1_saveexec_b32 s45, s45
	s_cbranch_execz .LBB171_41
; %bb.38:                               ;   in Loop: Header=BB171_34 Depth=3
	v_mov_b32_e32 v25, s33
	s_mov_b32 s46, -1
	s_mov_b32 s47, exec_lo
	ds_cmpstore_rtn_b32 v25, v7, v17, v25
	s_waitcnt lgkmcnt(0)
	v_cmpx_eq_u32_e64 s33, v25
	s_cbranch_execz .LBB171_40
; %bb.39:                               ;   in Loop: Header=BB171_34 Depth=3
	v_mad_u64_u32 v[25:26], null, v24, 12, v[7:8]
	s_xor_b32 s46, exec_lo, -1
	ds_add_f32 v25, v23 offset:516
.LBB171_40:                             ;   in Loop: Header=BB171_34 Depth=3
	s_or_b32 exec_lo, exec_lo, s47
	s_delay_alu instid0(SALU_CYCLE_1) | instskip(SKIP_1) | instid1(SALU_CYCLE_1)
	s_and_not1_b32 s44, s44, exec_lo
	s_and_b32 s46, s46, exec_lo
	s_or_b32 s44, s44, s46
.LBB171_41:                             ;   in Loop: Header=BB171_34 Depth=3
	s_or_b32 exec_lo, exec_lo, s45
	s_delay_alu instid0(SALU_CYCLE_1)
	s_and_b32 s44, s44, exec_lo
                                        ; implicit-def: $vgpr7
.LBB171_42:                             ;   in Loop: Header=BB171_34 Depth=3
	s_and_not1_saveexec_b32 s43, s43
	s_cbranch_execz .LBB171_33
; %bb.43:                               ;   in Loop: Header=BB171_34 Depth=3
	v_mad_u64_u32 v[25:26], null, v24, 12, v[7:8]
	s_and_not1_b32 s44, s44, exec_lo
	ds_add_f32 v25, v23 offset:516
	s_branch .LBB171_33
.LBB171_44:                             ;   in Loop: Header=BB171_20 Depth=2
	s_or_b32 exec_lo, exec_lo, s42
	v_mul_f32_e32 v21, v8, v21
	s_mov_b32 s42, 0
	s_delay_alu instid0(VALU_DEP_1)
	v_fmac_f32_e32 v21, v14, v22
	v_mov_b32_e32 v22, v18
	s_branch .LBB171_46
.LBB171_45:                             ;   in Loop: Header=BB171_46 Depth=3
	s_or_b32 exec_lo, exec_lo, s43
	s_xor_b32 s43, s44, -1
	s_delay_alu instid0(SALU_CYCLE_1) | instskip(NEXT) | instid1(SALU_CYCLE_1)
	s_and_b32 s43, exec_lo, s43
	s_or_b32 s42, s43, s42
	s_delay_alu instid0(SALU_CYCLE_1)
	s_and_not1_b32 exec_lo, exec_lo, s42
	s_cbranch_execz .LBB171_56
.LBB171_46:                             ;   Parent Loop BB171_17 Depth=1
                                        ;     Parent Loop BB171_20 Depth=2
                                        ; =>    This Inner Loop Header: Depth=3
	s_delay_alu instid0(VALU_DEP_1)
	v_lshl_add_u32 v7, v22, 2, 0
	s_mov_b32 s43, exec_lo
                                        ; implicit-def: $sgpr44
	ds_load_b32 v23, v7
	s_waitcnt lgkmcnt(0)
	v_cmpx_ne_u32_e64 v23, v17
	s_xor_b32 s43, exec_lo, s43
	s_cbranch_execz .LBB171_54
; %bb.47:                               ;   in Loop: Header=BB171_46 Depth=3
	s_mov_b32 s45, exec_lo
                                        ; implicit-def: $sgpr44
	v_cmpx_ne_u32_e64 s33, v23
	s_xor_b32 s45, exec_lo, s45
; %bb.48:                               ;   in Loop: Header=BB171_46 Depth=3
	v_add_nc_u32_e32 v7, 1, v22
	s_mov_b32 s44, -1
	s_delay_alu instid0(VALU_DEP_1)
	v_and_b32_e32 v22, 0x7f, v7
                                        ; implicit-def: $vgpr7
; %bb.49:                               ;   in Loop: Header=BB171_46 Depth=3
	s_and_not1_saveexec_b32 s45, s45
	s_cbranch_execz .LBB171_53
; %bb.50:                               ;   in Loop: Header=BB171_46 Depth=3
	v_mov_b32_e32 v23, s33
	s_mov_b32 s46, -1
	s_mov_b32 s47, exec_lo
	ds_cmpstore_rtn_b32 v23, v7, v17, v23
	s_waitcnt lgkmcnt(0)
	v_cmpx_eq_u32_e64 s33, v23
	s_cbranch_execz .LBB171_52
; %bb.51:                               ;   in Loop: Header=BB171_46 Depth=3
	v_mad_u64_u32 v[23:24], null, v22, 12, v[7:8]
	s_xor_b32 s46, exec_lo, -1
	ds_add_f32 v23, v21 offset:520
.LBB171_52:                             ;   in Loop: Header=BB171_46 Depth=3
	s_or_b32 exec_lo, exec_lo, s47
	s_delay_alu instid0(SALU_CYCLE_1) | instskip(SKIP_1) | instid1(SALU_CYCLE_1)
	s_and_not1_b32 s44, s44, exec_lo
	s_and_b32 s46, s46, exec_lo
	s_or_b32 s44, s44, s46
.LBB171_53:                             ;   in Loop: Header=BB171_46 Depth=3
	s_or_b32 exec_lo, exec_lo, s45
	s_delay_alu instid0(SALU_CYCLE_1)
	s_and_b32 s44, s44, exec_lo
                                        ; implicit-def: $vgpr7
.LBB171_54:                             ;   in Loop: Header=BB171_46 Depth=3
	s_and_not1_saveexec_b32 s43, s43
	s_cbranch_execz .LBB171_45
; %bb.55:                               ;   in Loop: Header=BB171_46 Depth=3
	v_mad_u64_u32 v[23:24], null, v22, 12, v[7:8]
	s_and_not1_b32 s44, s44, exec_lo
	ds_add_f32 v23, v21 offset:520
	s_branch .LBB171_45
.LBB171_56:                             ;   in Loop: Header=BB171_20 Depth=2
	s_or_b32 exec_lo, exec_lo, s42
	v_mul_f32_e32 v20, v8, v20
	s_mov_b32 s42, 0
	s_delay_alu instid0(VALU_DEP_1)
	v_fmac_f32_e32 v20, v14, v19
	s_branch .LBB171_58
.LBB171_57:                             ;   in Loop: Header=BB171_58 Depth=3
	s_or_b32 exec_lo, exec_lo, s43
	s_xor_b32 s43, s44, -1
	s_delay_alu instid0(SALU_CYCLE_1) | instskip(NEXT) | instid1(SALU_CYCLE_1)
	s_and_b32 s43, exec_lo, s43
	s_or_b32 s42, s43, s42
	s_delay_alu instid0(SALU_CYCLE_1)
	s_and_not1_b32 exec_lo, exec_lo, s42
	s_cbranch_execz .LBB171_19
.LBB171_58:                             ;   Parent Loop BB171_17 Depth=1
                                        ;     Parent Loop BB171_20 Depth=2
                                        ; =>    This Inner Loop Header: Depth=3
	v_lshl_add_u32 v7, v18, 2, 0
	s_mov_b32 s43, exec_lo
                                        ; implicit-def: $sgpr44
	ds_load_b32 v19, v7
	s_waitcnt lgkmcnt(0)
	v_cmpx_ne_u32_e64 v19, v17
	s_xor_b32 s43, exec_lo, s43
	s_cbranch_execz .LBB171_66
; %bb.59:                               ;   in Loop: Header=BB171_58 Depth=3
	s_mov_b32 s45, exec_lo
                                        ; implicit-def: $sgpr44
	v_cmpx_ne_u32_e64 s33, v19
	s_xor_b32 s45, exec_lo, s45
; %bb.60:                               ;   in Loop: Header=BB171_58 Depth=3
	v_add_nc_u32_e32 v7, 1, v18
	s_mov_b32 s44, -1
	s_delay_alu instid0(VALU_DEP_1)
	v_and_b32_e32 v18, 0x7f, v7
                                        ; implicit-def: $vgpr7
; %bb.61:                               ;   in Loop: Header=BB171_58 Depth=3
	s_and_not1_saveexec_b32 s45, s45
	s_cbranch_execz .LBB171_65
; %bb.62:                               ;   in Loop: Header=BB171_58 Depth=3
	v_mov_b32_e32 v19, s33
	s_mov_b32 s46, -1
	s_mov_b32 s47, exec_lo
	ds_cmpstore_rtn_b32 v19, v7, v17, v19
	s_waitcnt lgkmcnt(0)
	v_cmpx_eq_u32_e64 s33, v19
	s_cbranch_execz .LBB171_64
; %bb.63:                               ;   in Loop: Header=BB171_58 Depth=3
	v_mad_u64_u32 v[21:22], null, v18, 12, v[7:8]
	s_xor_b32 s46, exec_lo, -1
	ds_add_f32 v21, v20 offset:524
.LBB171_64:                             ;   in Loop: Header=BB171_58 Depth=3
	s_or_b32 exec_lo, exec_lo, s47
	s_delay_alu instid0(SALU_CYCLE_1) | instskip(SKIP_1) | instid1(SALU_CYCLE_1)
	s_and_not1_b32 s44, s44, exec_lo
	s_and_b32 s46, s46, exec_lo
	s_or_b32 s44, s44, s46
.LBB171_65:                             ;   in Loop: Header=BB171_58 Depth=3
	s_or_b32 exec_lo, exec_lo, s45
	s_delay_alu instid0(SALU_CYCLE_1)
	s_and_b32 s44, s44, exec_lo
                                        ; implicit-def: $vgpr7
.LBB171_66:                             ;   in Loop: Header=BB171_58 Depth=3
	s_and_not1_saveexec_b32 s43, s43
	s_cbranch_execz .LBB171_57
; %bb.67:                               ;   in Loop: Header=BB171_58 Depth=3
	v_mad_u64_u32 v[21:22], null, v18, 12, v[7:8]
	s_and_not1_b32 s44, s44, exec_lo
	ds_add_f32 v21, v20 offset:524
	s_branch .LBB171_57
.LBB171_68:
	s_or_b32 exec_lo, exec_lo, s12
.LBB171_69:
	s_delay_alu instid0(SALU_CYCLE_1)
	s_and_not1_b32 vcc_lo, exec_lo, s40
	s_waitcnt lgkmcnt(0)
	s_barrier
	buffer_gl0_inv
	s_cbranch_vccnz .LBB171_122
; %bb.70:
	s_lshl_b64 s[0:1], s[34:35], 3
	s_delay_alu instid0(SALU_CYCLE_1) | instskip(SKIP_4) | instid1(VALU_DEP_1)
	s_add_u32 s0, s4, s0
	s_addc_u32 s1, s5, s1
	s_mov_b32 s5, 0
	s_load_b128 s[12:15], s[0:1], 0x0
	v_sub_co_u32 v1, s0, v0, s23
	v_sub_co_ci_u32_e64 v2, null, 0, 0, s0
	s_mov_b32 s4, exec_lo
	s_waitcnt lgkmcnt(0)
	s_delay_alu instid0(VALU_DEP_2) | instskip(NEXT) | instid1(VALU_DEP_2)
	v_add_co_u32 v1, vcc_lo, s12, v1
	v_add_co_ci_u32_e32 v2, vcc_lo, s13, v2, vcc_lo
	s_sub_u32 s0, s14, s23
	s_subb_u32 s1, s15, 0
	s_delay_alu instid0(VALU_DEP_1) | instid1(SALU_CYCLE_1)
	v_cmpx_gt_i64_e64 s[0:1], v[1:2]
	s_cbranch_execz .LBB171_121
; %bb.71:
	s_cmp_eq_u32 s3, 0
	s_cselect_b32 s12, 1, 2
	s_cselect_b32 s13, 2, 1
	s_branch .LBB171_73
.LBB171_72:                             ;   in Loop: Header=BB171_73 Depth=1
	s_or_b32 exec_lo, exec_lo, s14
	v_add_co_u32 v1, vcc_lo, 0x100, v1
	v_add_co_ci_u32_e32 v2, vcc_lo, 0, v2, vcc_lo
	s_delay_alu instid0(VALU_DEP_1) | instskip(SKIP_1) | instid1(SALU_CYCLE_1)
	v_cmp_le_i64_e32 vcc_lo, s[0:1], v[1:2]
	s_or_b32 s5, vcc_lo, s5
	s_and_not1_b32 exec_lo, exec_lo, s5
	s_cbranch_execz .LBB171_121
.LBB171_73:                             ; =>This Loop Header: Depth=1
                                        ;     Child Loop BB171_75 Depth 2
                                        ;     Child Loop BB171_87 Depth 2
	;; [unrolled: 1-line block ×4, first 2 shown]
	v_lshlrev_b64 v[3:4], 2, v[1:2]
	v_lshlrev_b64 v[5:6], 4, v[1:2]
	s_mov_b32 s14, 0
	s_delay_alu instid0(VALU_DEP_2) | instskip(NEXT) | instid1(VALU_DEP_3)
	v_add_co_u32 v13, vcc_lo, s6, v3
	v_add_co_ci_u32_e32 v14, vcc_lo, s7, v4, vcc_lo
	v_or_b32_e32 v12, 0, v4
	v_or_b32_e32 v11, s13, v3
	;; [unrolled: 1-line block ×3, first 2 shown]
	v_add_co_u32 v4, vcc_lo, s8, v5
	global_load_b32 v15, v[13:14], off
	v_add_co_ci_u32_e32 v5, vcc_lo, s9, v6, vcc_lo
	v_or_b32_e32 v6, s12, v3
	v_lshlrev_b64 v[11:12], 2, v[11:12]
	global_load_b32 v3, v[4:5], off
	v_lshlrev_b64 v[6:7], 2, v[6:7]
	v_add_co_u32 v11, vcc_lo, s8, v11
	v_add_co_ci_u32_e32 v12, vcc_lo, s9, v12, vcc_lo
	s_delay_alu instid0(VALU_DEP_3) | instskip(NEXT) | instid1(VALU_DEP_4)
	v_add_co_u32 v13, vcc_lo, s8, v6
	v_add_co_ci_u32_e32 v14, vcc_lo, s9, v7, vcc_lo
	s_clause 0x2
	global_load_b32 v7, v[11:12], off
	global_load_b32 v8, v[13:14], off
	global_load_b32 v6, v[4:5], off offset:12
	s_waitcnt vmcnt(4)
	v_subrev_nc_u32_e32 v4, s23, v15
	s_delay_alu instid0(VALU_DEP_1) | instskip(NEXT) | instid1(VALU_DEP_1)
	v_lshl_add_u32 v5, v4, 3, v4
	v_and_b32_e32 v5, 0x7f, v5
	s_waitcnt vmcnt(3)
	s_delay_alu instid0(VALU_DEP_1)
	v_dual_mul_f32 v11, v10, v3 :: v_dual_mov_b32 v12, v5
	s_branch .LBB171_75
.LBB171_74:                             ;   in Loop: Header=BB171_75 Depth=2
	s_or_b32 exec_lo, exec_lo, s15
	s_xor_b32 s15, s16, -1
	s_delay_alu instid0(SALU_CYCLE_1) | instskip(NEXT) | instid1(SALU_CYCLE_1)
	s_and_b32 s15, exec_lo, s15
	s_or_b32 s14, s15, s14
	s_delay_alu instid0(SALU_CYCLE_1)
	s_and_not1_b32 exec_lo, exec_lo, s14
	s_cbranch_execz .LBB171_85
.LBB171_75:                             ;   Parent Loop BB171_73 Depth=1
                                        ; =>  This Inner Loop Header: Depth=2
	s_delay_alu instid0(VALU_DEP_1)
	v_lshl_add_u32 v3, v12, 2, 0
	s_mov_b32 s15, exec_lo
                                        ; implicit-def: $sgpr16
	ds_load_b32 v13, v3
	s_waitcnt lgkmcnt(0)
	v_cmpx_ne_u32_e64 v13, v4
	s_xor_b32 s15, exec_lo, s15
	s_cbranch_execz .LBB171_83
; %bb.76:                               ;   in Loop: Header=BB171_75 Depth=2
	s_mov_b32 s17, exec_lo
                                        ; implicit-def: $sgpr16
	v_cmpx_ne_u32_e64 s33, v13
	s_xor_b32 s17, exec_lo, s17
; %bb.77:                               ;   in Loop: Header=BB171_75 Depth=2
	v_add_nc_u32_e32 v3, 1, v12
	s_mov_b32 s16, -1
	s_delay_alu instid0(VALU_DEP_1)
	v_and_b32_e32 v12, 0x7f, v3
                                        ; implicit-def: $vgpr3
; %bb.78:                               ;   in Loop: Header=BB171_75 Depth=2
	s_and_not1_saveexec_b32 s17, s17
	s_cbranch_execz .LBB171_82
; %bb.79:                               ;   in Loop: Header=BB171_75 Depth=2
	v_mov_b32_e32 v13, s33
	s_mov_b32 s18, -1
	s_mov_b32 s19, exec_lo
	ds_cmpstore_rtn_b32 v13, v3, v4, v13
	s_waitcnt lgkmcnt(0)
	v_cmpx_eq_u32_e64 s33, v13
	s_cbranch_execz .LBB171_81
; %bb.80:                               ;   in Loop: Header=BB171_75 Depth=2
	v_mad_u64_u32 v[13:14], null, v12, 12, v[3:4]
	s_xor_b32 s18, exec_lo, -1
	ds_add_f32 v13, v11 offset:512
.LBB171_81:                             ;   in Loop: Header=BB171_75 Depth=2
	s_or_b32 exec_lo, exec_lo, s19
	s_delay_alu instid0(SALU_CYCLE_1) | instskip(SKIP_1) | instid1(SALU_CYCLE_1)
	s_and_not1_b32 s16, s16, exec_lo
	s_and_b32 s18, s18, exec_lo
	s_or_b32 s16, s16, s18
.LBB171_82:                             ;   in Loop: Header=BB171_75 Depth=2
	s_or_b32 exec_lo, exec_lo, s17
	s_delay_alu instid0(SALU_CYCLE_1)
	s_and_b32 s16, s16, exec_lo
                                        ; implicit-def: $vgpr3
.LBB171_83:                             ;   in Loop: Header=BB171_75 Depth=2
	s_and_not1_saveexec_b32 s15, s15
	s_cbranch_execz .LBB171_74
; %bb.84:                               ;   in Loop: Header=BB171_75 Depth=2
	v_mad_u64_u32 v[13:14], null, v12, 12, v[3:4]
	s_and_not1_b32 s16, s16, exec_lo
	ds_add_f32 v13, v11 offset:512
	s_branch .LBB171_74
.LBB171_85:                             ;   in Loop: Header=BB171_73 Depth=1
	s_or_b32 exec_lo, exec_lo, s14
	s_waitcnt vmcnt(1)
	v_dual_mul_f32 v8, v10, v8 :: v_dual_mov_b32 v11, v5
	s_mov_b32 s14, 0
	s_branch .LBB171_87
.LBB171_86:                             ;   in Loop: Header=BB171_87 Depth=2
	s_or_b32 exec_lo, exec_lo, s15
	s_xor_b32 s15, s16, -1
	s_delay_alu instid0(SALU_CYCLE_1) | instskip(NEXT) | instid1(SALU_CYCLE_1)
	s_and_b32 s15, exec_lo, s15
	s_or_b32 s14, s15, s14
	s_delay_alu instid0(SALU_CYCLE_1)
	s_and_not1_b32 exec_lo, exec_lo, s14
	s_cbranch_execz .LBB171_97
.LBB171_87:                             ;   Parent Loop BB171_73 Depth=1
                                        ; =>  This Inner Loop Header: Depth=2
	s_delay_alu instid0(VALU_DEP_1)
	v_lshl_add_u32 v3, v11, 2, 0
	s_mov_b32 s15, exec_lo
                                        ; implicit-def: $sgpr16
	ds_load_b32 v12, v3
	s_waitcnt lgkmcnt(0)
	v_cmpx_ne_u32_e64 v12, v4
	s_xor_b32 s15, exec_lo, s15
	s_cbranch_execz .LBB171_95
; %bb.88:                               ;   in Loop: Header=BB171_87 Depth=2
	s_mov_b32 s17, exec_lo
                                        ; implicit-def: $sgpr16
	v_cmpx_ne_u32_e64 s33, v12
	s_xor_b32 s17, exec_lo, s17
; %bb.89:                               ;   in Loop: Header=BB171_87 Depth=2
	v_add_nc_u32_e32 v3, 1, v11
	s_mov_b32 s16, -1
	s_delay_alu instid0(VALU_DEP_1)
	v_and_b32_e32 v11, 0x7f, v3
                                        ; implicit-def: $vgpr3
; %bb.90:                               ;   in Loop: Header=BB171_87 Depth=2
	s_and_not1_saveexec_b32 s17, s17
	s_cbranch_execz .LBB171_94
; %bb.91:                               ;   in Loop: Header=BB171_87 Depth=2
	v_mov_b32_e32 v12, s33
	s_mov_b32 s18, -1
	s_mov_b32 s19, exec_lo
	ds_cmpstore_rtn_b32 v12, v3, v4, v12
	s_waitcnt lgkmcnt(0)
	v_cmpx_eq_u32_e64 s33, v12
	s_cbranch_execz .LBB171_93
; %bb.92:                               ;   in Loop: Header=BB171_87 Depth=2
	v_mad_u64_u32 v[12:13], null, v11, 12, v[3:4]
	s_xor_b32 s18, exec_lo, -1
	ds_add_f32 v12, v8 offset:516
.LBB171_93:                             ;   in Loop: Header=BB171_87 Depth=2
	s_or_b32 exec_lo, exec_lo, s19
	s_delay_alu instid0(SALU_CYCLE_1) | instskip(SKIP_1) | instid1(SALU_CYCLE_1)
	s_and_not1_b32 s16, s16, exec_lo
	s_and_b32 s18, s18, exec_lo
	s_or_b32 s16, s16, s18
.LBB171_94:                             ;   in Loop: Header=BB171_87 Depth=2
	s_or_b32 exec_lo, exec_lo, s17
	s_delay_alu instid0(SALU_CYCLE_1)
	s_and_b32 s16, s16, exec_lo
                                        ; implicit-def: $vgpr3
.LBB171_95:                             ;   in Loop: Header=BB171_87 Depth=2
	s_and_not1_saveexec_b32 s15, s15
	s_cbranch_execz .LBB171_86
; %bb.96:                               ;   in Loop: Header=BB171_87 Depth=2
	v_mad_u64_u32 v[12:13], null, v11, 12, v[3:4]
	s_and_not1_b32 s16, s16, exec_lo
	ds_add_f32 v12, v8 offset:516
	s_branch .LBB171_86
.LBB171_97:                             ;   in Loop: Header=BB171_73 Depth=1
	s_or_b32 exec_lo, exec_lo, s14
	v_dual_mul_f32 v7, v10, v7 :: v_dual_mov_b32 v8, v5
	s_mov_b32 s14, 0
	s_branch .LBB171_99
.LBB171_98:                             ;   in Loop: Header=BB171_99 Depth=2
	s_or_b32 exec_lo, exec_lo, s15
	s_xor_b32 s15, s16, -1
	s_delay_alu instid0(SALU_CYCLE_1) | instskip(NEXT) | instid1(SALU_CYCLE_1)
	s_and_b32 s15, exec_lo, s15
	s_or_b32 s14, s15, s14
	s_delay_alu instid0(SALU_CYCLE_1)
	s_and_not1_b32 exec_lo, exec_lo, s14
	s_cbranch_execz .LBB171_109
.LBB171_99:                             ;   Parent Loop BB171_73 Depth=1
                                        ; =>  This Inner Loop Header: Depth=2
	s_delay_alu instid0(VALU_DEP_1)
	v_lshl_add_u32 v3, v8, 2, 0
	s_mov_b32 s15, exec_lo
                                        ; implicit-def: $sgpr16
	ds_load_b32 v11, v3
	s_waitcnt lgkmcnt(0)
	v_cmpx_ne_u32_e64 v11, v4
	s_xor_b32 s15, exec_lo, s15
	s_cbranch_execz .LBB171_107
; %bb.100:                              ;   in Loop: Header=BB171_99 Depth=2
	s_mov_b32 s17, exec_lo
                                        ; implicit-def: $sgpr16
	v_cmpx_ne_u32_e64 s33, v11
	s_xor_b32 s17, exec_lo, s17
; %bb.101:                              ;   in Loop: Header=BB171_99 Depth=2
	v_add_nc_u32_e32 v3, 1, v8
	s_mov_b32 s16, -1
	s_delay_alu instid0(VALU_DEP_1)
	v_and_b32_e32 v8, 0x7f, v3
                                        ; implicit-def: $vgpr3
; %bb.102:                              ;   in Loop: Header=BB171_99 Depth=2
	s_and_not1_saveexec_b32 s17, s17
	s_cbranch_execz .LBB171_106
; %bb.103:                              ;   in Loop: Header=BB171_99 Depth=2
	v_mov_b32_e32 v11, s33
	s_mov_b32 s18, -1
	s_mov_b32 s19, exec_lo
	ds_cmpstore_rtn_b32 v11, v3, v4, v11
	s_waitcnt lgkmcnt(0)
	v_cmpx_eq_u32_e64 s33, v11
	s_cbranch_execz .LBB171_105
; %bb.104:                              ;   in Loop: Header=BB171_99 Depth=2
	v_mad_u64_u32 v[11:12], null, v8, 12, v[3:4]
	s_xor_b32 s18, exec_lo, -1
	ds_add_f32 v11, v7 offset:520
.LBB171_105:                            ;   in Loop: Header=BB171_99 Depth=2
	s_or_b32 exec_lo, exec_lo, s19
	s_delay_alu instid0(SALU_CYCLE_1) | instskip(SKIP_1) | instid1(SALU_CYCLE_1)
	s_and_not1_b32 s16, s16, exec_lo
	s_and_b32 s18, s18, exec_lo
	s_or_b32 s16, s16, s18
.LBB171_106:                            ;   in Loop: Header=BB171_99 Depth=2
	s_or_b32 exec_lo, exec_lo, s17
	s_delay_alu instid0(SALU_CYCLE_1)
	s_and_b32 s16, s16, exec_lo
                                        ; implicit-def: $vgpr3
.LBB171_107:                            ;   in Loop: Header=BB171_99 Depth=2
	s_and_not1_saveexec_b32 s15, s15
	s_cbranch_execz .LBB171_98
; %bb.108:                              ;   in Loop: Header=BB171_99 Depth=2
	v_mad_u64_u32 v[11:12], null, v8, 12, v[3:4]
	s_and_not1_b32 s16, s16, exec_lo
	ds_add_f32 v11, v7 offset:520
	s_branch .LBB171_98
.LBB171_109:                            ;   in Loop: Header=BB171_73 Depth=1
	s_or_b32 exec_lo, exec_lo, s14
	s_waitcnt vmcnt(0)
	v_mul_f32_e32 v6, v10, v6
	s_mov_b32 s14, 0
	s_branch .LBB171_111
.LBB171_110:                            ;   in Loop: Header=BB171_111 Depth=2
	s_or_b32 exec_lo, exec_lo, s15
	s_xor_b32 s15, s16, -1
	s_delay_alu instid0(SALU_CYCLE_1) | instskip(NEXT) | instid1(SALU_CYCLE_1)
	s_and_b32 s15, exec_lo, s15
	s_or_b32 s14, s15, s14
	s_delay_alu instid0(SALU_CYCLE_1)
	s_and_not1_b32 exec_lo, exec_lo, s14
	s_cbranch_execz .LBB171_72
.LBB171_111:                            ;   Parent Loop BB171_73 Depth=1
                                        ; =>  This Inner Loop Header: Depth=2
	v_lshl_add_u32 v3, v5, 2, 0
	s_mov_b32 s15, exec_lo
                                        ; implicit-def: $sgpr16
	ds_load_b32 v7, v3
	s_waitcnt lgkmcnt(0)
	v_cmpx_ne_u32_e64 v7, v4
	s_xor_b32 s15, exec_lo, s15
	s_cbranch_execz .LBB171_119
; %bb.112:                              ;   in Loop: Header=BB171_111 Depth=2
	s_mov_b32 s17, exec_lo
                                        ; implicit-def: $sgpr16
	v_cmpx_ne_u32_e64 s33, v7
	s_xor_b32 s17, exec_lo, s17
; %bb.113:                              ;   in Loop: Header=BB171_111 Depth=2
	v_add_nc_u32_e32 v3, 1, v5
	s_mov_b32 s16, -1
	s_delay_alu instid0(VALU_DEP_1)
	v_and_b32_e32 v5, 0x7f, v3
                                        ; implicit-def: $vgpr3
; %bb.114:                              ;   in Loop: Header=BB171_111 Depth=2
	s_and_not1_saveexec_b32 s17, s17
	s_cbranch_execz .LBB171_118
; %bb.115:                              ;   in Loop: Header=BB171_111 Depth=2
	v_mov_b32_e32 v7, s33
	s_mov_b32 s18, -1
	s_mov_b32 s19, exec_lo
	ds_cmpstore_rtn_b32 v7, v3, v4, v7
	s_waitcnt lgkmcnt(0)
	v_cmpx_eq_u32_e64 s33, v7
	s_cbranch_execz .LBB171_117
; %bb.116:                              ;   in Loop: Header=BB171_111 Depth=2
	v_mad_u64_u32 v[7:8], null, v5, 12, v[3:4]
	s_xor_b32 s18, exec_lo, -1
	ds_add_f32 v7, v6 offset:524
.LBB171_117:                            ;   in Loop: Header=BB171_111 Depth=2
	s_or_b32 exec_lo, exec_lo, s19
	s_delay_alu instid0(SALU_CYCLE_1) | instskip(SKIP_1) | instid1(SALU_CYCLE_1)
	s_and_not1_b32 s16, s16, exec_lo
	s_and_b32 s18, s18, exec_lo
	s_or_b32 s16, s16, s18
.LBB171_118:                            ;   in Loop: Header=BB171_111 Depth=2
	s_or_b32 exec_lo, exec_lo, s17
	s_delay_alu instid0(SALU_CYCLE_1)
	s_and_b32 s16, s16, exec_lo
                                        ; implicit-def: $vgpr3
.LBB171_119:                            ;   in Loop: Header=BB171_111 Depth=2
	s_and_not1_saveexec_b32 s15, s15
	s_cbranch_execz .LBB171_110
; %bb.120:                              ;   in Loop: Header=BB171_111 Depth=2
	v_mad_u64_u32 v[7:8], null, v5, 12, v[3:4]
	s_and_not1_b32 s16, s16, exec_lo
	ds_add_f32 v7, v6 offset:524
	s_branch .LBB171_110
.LBB171_121:
	s_or_b32 exec_lo, exec_lo, s4
.LBB171_122:
	s_waitcnt lgkmcnt(0)
	s_barrier
	buffer_gl0_inv
	s_and_saveexec_b32 s0, s2
	s_cbranch_execz .LBB171_127
; %bb.123:
	ds_load_b32 v3, v9
	s_mov_b32 s1, 0
	s_waitcnt lgkmcnt(0)
	v_cmp_gt_i32_e32 vcc_lo, s33, v3
	s_and_b32 exec_lo, exec_lo, vcc_lo
	s_cbranch_execz .LBB171_127
; %bb.124:
	s_lshl_b64 s[4:5], s[34:35], 3
	s_delay_alu instid0(SALU_CYCLE_1)
	s_add_u32 s4, s10, s4
	s_addc_u32 s5, s11, s5
	s_load_b64 s[4:5], s[4:5], 0x0
	s_waitcnt lgkmcnt(0)
	s_sub_u32 s4, s4, s22
	s_subb_u32 s5, s5, 0
	s_delay_alu instid0(SALU_CYCLE_1)
	v_dual_mov_b32 v1, s4 :: v_dual_mov_b32 v2, s5
.LBB171_125:                            ; =>This Inner Loop Header: Depth=1
	s_add_i32 s0, s1, 0
	s_add_i32 s1, s1, 64
	v_mov_b32_e32 v18, s0
	s_cmpk_lg_i32 s1, 0x200
	ds_load_2addr_b32 v[4:5], v18 offset1:1
	ds_load_2addr_b32 v[6:7], v18 offset0:2 offset1:3
	ds_load_2addr_b32 v[8:9], v18 offset0:4 offset1:5
	ds_load_2addr_b32 v[10:11], v18 offset0:6 offset1:7
	ds_load_2addr_b32 v[12:13], v18 offset0:8 offset1:9
	ds_load_2addr_b32 v[14:15], v18 offset0:10 offset1:11
	ds_load_2addr_b32 v[16:17], v18 offset0:12 offset1:13
	ds_load_2addr_b32 v[18:19], v18 offset0:14 offset1:15
	s_waitcnt lgkmcnt(7)
	v_cmp_gt_i32_e32 vcc_lo, v3, v4
	v_cndmask_b32_e64 v4, 0, 1, vcc_lo
	v_cmp_gt_i32_e32 vcc_lo, v3, v5
	v_cndmask_b32_e64 v5, 0, 1, vcc_lo
	s_waitcnt lgkmcnt(6)
	v_cmp_gt_i32_e32 vcc_lo, v3, v6
	v_cndmask_b32_e64 v6, 0, 1, vcc_lo
	v_cmp_gt_i32_e32 vcc_lo, v3, v7
	v_cndmask_b32_e64 v7, 0, 1, vcc_lo
	;; [unrolled: 5-line block ×4, first 2 shown]
	s_waitcnt lgkmcnt(3)
	v_cmp_gt_i32_e32 vcc_lo, v3, v12
	v_cndmask_b32_e64 v12, 0, 1, vcc_lo
	v_add_co_u32 v1, vcc_lo, v1, v4
	v_add_co_ci_u32_e32 v2, vcc_lo, 0, v2, vcc_lo
	v_cmp_gt_i32_e32 vcc_lo, v3, v13
	s_delay_alu instid0(VALU_DEP_3) | instskip(NEXT) | instid1(VALU_DEP_1)
	v_add_co_u32 v1, s0, v1, v5
	v_add_co_ci_u32_e64 v2, s0, 0, v2, s0
	v_cndmask_b32_e64 v4, 0, 1, vcc_lo
	s_delay_alu instid0(VALU_DEP_3) | instskip(NEXT) | instid1(VALU_DEP_3)
	v_add_co_u32 v1, vcc_lo, v1, v6
	v_add_co_ci_u32_e32 v2, vcc_lo, 0, v2, vcc_lo
	s_waitcnt lgkmcnt(2)
	v_cmp_gt_i32_e32 vcc_lo, v3, v14
	s_delay_alu instid0(VALU_DEP_3) | instskip(NEXT) | instid1(VALU_DEP_1)
	v_add_co_u32 v1, s0, v1, v7
	v_add_co_ci_u32_e64 v2, s0, 0, v2, s0
	v_cndmask_b32_e64 v5, 0, 1, vcc_lo
	s_delay_alu instid0(VALU_DEP_3) | instskip(NEXT) | instid1(VALU_DEP_3)
	v_add_co_u32 v1, vcc_lo, v1, v8
	v_add_co_ci_u32_e32 v2, vcc_lo, 0, v2, vcc_lo
	v_cmp_gt_i32_e32 vcc_lo, v3, v15
	s_delay_alu instid0(VALU_DEP_3) | instskip(NEXT) | instid1(VALU_DEP_1)
	v_add_co_u32 v1, s0, v1, v9
	v_add_co_ci_u32_e64 v2, s0, 0, v2, s0
	v_cndmask_b32_e64 v6, 0, 1, vcc_lo
	s_delay_alu instid0(VALU_DEP_3) | instskip(NEXT) | instid1(VALU_DEP_3)
	v_add_co_u32 v1, vcc_lo, v1, v10
	v_add_co_ci_u32_e32 v2, vcc_lo, 0, v2, vcc_lo
	s_waitcnt lgkmcnt(1)
	v_cmp_gt_i32_e32 vcc_lo, v3, v16
	s_delay_alu instid0(VALU_DEP_3) | instskip(NEXT) | instid1(VALU_DEP_1)
	v_add_co_u32 v1, s0, v1, v11
	v_add_co_ci_u32_e64 v2, s0, 0, v2, s0
	v_cndmask_b32_e64 v7, 0, 1, vcc_lo
	s_delay_alu instid0(VALU_DEP_3) | instskip(NEXT) | instid1(VALU_DEP_3)
	;; [unrolled: 17-line block ×3, first 2 shown]
	v_add_co_u32 v1, vcc_lo, v1, v7
	v_add_co_ci_u32_e32 v2, vcc_lo, 0, v2, vcc_lo
	v_cmp_gt_i32_e32 vcc_lo, v3, v19
	s_delay_alu instid0(VALU_DEP_3) | instskip(NEXT) | instid1(VALU_DEP_1)
	v_add_co_u32 v1, s0, v1, v4
	v_add_co_ci_u32_e64 v2, s0, 0, v2, s0
	v_cndmask_b32_e64 v4, 0, 1, vcc_lo
	s_delay_alu instid0(VALU_DEP_3) | instskip(NEXT) | instid1(VALU_DEP_3)
	v_add_co_u32 v1, vcc_lo, v1, v5
	v_add_co_ci_u32_e32 v2, vcc_lo, 0, v2, vcc_lo
	s_delay_alu instid0(VALU_DEP_2) | instskip(NEXT) | instid1(VALU_DEP_2)
	v_add_co_u32 v1, vcc_lo, v1, v4
	v_add_co_ci_u32_e32 v2, vcc_lo, 0, v2, vcc_lo
	s_cbranch_scc1 .LBB171_125
; %bb.126:
	v_lshlrev_b32_e32 v4, 2, v0
	s_cmp_eq_u32 s3, 0
	v_lshlrev_b32_e32 v0, 4, v0
	s_cselect_b32 s0, 2, 1
	s_cselect_b32 s1, 1, 2
	v_or_b32_e32 v5, s0, v4
	v_or_b32_e32 v4, s1, v4
	v_add_nc_u32_e32 v6, 0, v0
	v_add3_u32 v0, 0, 0x200, v0
	v_lshlrev_b64 v[8:9], 2, v[1:2]
	v_lshl_add_u32 v5, v5, 2, 0
	v_lshl_add_u32 v7, v4, 2, 0
	v_add_nc_u32_e32 v10, s22, v3
	ds_load_b32 v4, v6 offset:512
	ds_load_b32 v6, v5 offset:512
	;; [unrolled: 1-line block ×4, first 2 shown]
	v_lshlrev_b64 v[0:1], 4, v[1:2]
	v_add_co_u32 v2, vcc_lo, s24, v8
	v_add_co_ci_u32_e32 v3, vcc_lo, s25, v9, vcc_lo
	s_delay_alu instid0(VALU_DEP_3) | instskip(NEXT) | instid1(VALU_DEP_4)
	v_add_co_u32 v0, vcc_lo, s26, v0
	v_add_co_ci_u32_e32 v1, vcc_lo, s27, v1, vcc_lo
	global_store_b32 v[2:3], v10, off
	s_waitcnt lgkmcnt(0)
	global_store_b128 v[0:1], v[4:7], off
.LBB171_127:
	s_nop 0
	s_sendmsg sendmsg(MSG_DEALLOC_VGPRS)
	s_endpgm
	.section	.rodata,"a",@progbits
	.p2align	6, 0x0
	.amdhsa_kernel _ZN9rocsparseL30bsrgemm_fill_block_per_row_2x2ILj256ELj16ELj128ELj137ElifEEv20rocsparse_direction_T4_S2_PKS2_S4_NS_24const_host_device_scalarIT5_EEPKT3_S4_PKS6_SA_S4_SC_S7_SA_S4_SC_SA_PS2_PS6_21rocsparse_index_base_SF_SF_SF_bbb
		.amdhsa_group_segment_fixed_size 0
		.amdhsa_private_segment_fixed_size 0
		.amdhsa_kernarg_size 164
		.amdhsa_user_sgpr_count 15
		.amdhsa_user_sgpr_dispatch_ptr 0
		.amdhsa_user_sgpr_queue_ptr 0
		.amdhsa_user_sgpr_kernarg_segment_ptr 1
		.amdhsa_user_sgpr_dispatch_id 0
		.amdhsa_user_sgpr_private_segment_size 0
		.amdhsa_wavefront_size32 1
		.amdhsa_uses_dynamic_stack 0
		.amdhsa_enable_private_segment 0
		.amdhsa_system_sgpr_workgroup_id_x 1
		.amdhsa_system_sgpr_workgroup_id_y 0
		.amdhsa_system_sgpr_workgroup_id_z 0
		.amdhsa_system_sgpr_workgroup_info 0
		.amdhsa_system_vgpr_workitem_id 0
		.amdhsa_next_free_vgpr 27
		.amdhsa_next_free_sgpr 48
		.amdhsa_reserve_vcc 1
		.amdhsa_float_round_mode_32 0
		.amdhsa_float_round_mode_16_64 0
		.amdhsa_float_denorm_mode_32 3
		.amdhsa_float_denorm_mode_16_64 3
		.amdhsa_dx10_clamp 1
		.amdhsa_ieee_mode 1
		.amdhsa_fp16_overflow 0
		.amdhsa_workgroup_processor_mode 1
		.amdhsa_memory_ordered 1
		.amdhsa_forward_progress 0
		.amdhsa_shared_vgpr_count 0
		.amdhsa_exception_fp_ieee_invalid_op 0
		.amdhsa_exception_fp_denorm_src 0
		.amdhsa_exception_fp_ieee_div_zero 0
		.amdhsa_exception_fp_ieee_overflow 0
		.amdhsa_exception_fp_ieee_underflow 0
		.amdhsa_exception_fp_ieee_inexact 0
		.amdhsa_exception_int_div_zero 0
	.end_amdhsa_kernel
	.section	.text._ZN9rocsparseL30bsrgemm_fill_block_per_row_2x2ILj256ELj16ELj128ELj137ElifEEv20rocsparse_direction_T4_S2_PKS2_S4_NS_24const_host_device_scalarIT5_EEPKT3_S4_PKS6_SA_S4_SC_S7_SA_S4_SC_SA_PS2_PS6_21rocsparse_index_base_SF_SF_SF_bbb,"axG",@progbits,_ZN9rocsparseL30bsrgemm_fill_block_per_row_2x2ILj256ELj16ELj128ELj137ElifEEv20rocsparse_direction_T4_S2_PKS2_S4_NS_24const_host_device_scalarIT5_EEPKT3_S4_PKS6_SA_S4_SC_S7_SA_S4_SC_SA_PS2_PS6_21rocsparse_index_base_SF_SF_SF_bbb,comdat
.Lfunc_end171:
	.size	_ZN9rocsparseL30bsrgemm_fill_block_per_row_2x2ILj256ELj16ELj128ELj137ElifEEv20rocsparse_direction_T4_S2_PKS2_S4_NS_24const_host_device_scalarIT5_EEPKT3_S4_PKS6_SA_S4_SC_S7_SA_S4_SC_SA_PS2_PS6_21rocsparse_index_base_SF_SF_SF_bbb, .Lfunc_end171-_ZN9rocsparseL30bsrgemm_fill_block_per_row_2x2ILj256ELj16ELj128ELj137ElifEEv20rocsparse_direction_T4_S2_PKS2_S4_NS_24const_host_device_scalarIT5_EEPKT3_S4_PKS6_SA_S4_SC_S7_SA_S4_SC_SA_PS2_PS6_21rocsparse_index_base_SF_SF_SF_bbb
                                        ; -- End function
	.section	.AMDGPU.csdata,"",@progbits
; Kernel info:
; codeLenInByte = 4492
; NumSgprs: 50
; NumVgprs: 27
; ScratchSize: 0
; MemoryBound: 0
; FloatMode: 240
; IeeeMode: 1
; LDSByteSize: 0 bytes/workgroup (compile time only)
; SGPRBlocks: 6
; VGPRBlocks: 3
; NumSGPRsForWavesPerEU: 50
; NumVGPRsForWavesPerEU: 27
; Occupancy: 16
; WaveLimiterHint : 1
; COMPUTE_PGM_RSRC2:SCRATCH_EN: 0
; COMPUTE_PGM_RSRC2:USER_SGPR: 15
; COMPUTE_PGM_RSRC2:TRAP_HANDLER: 0
; COMPUTE_PGM_RSRC2:TGID_X_EN: 1
; COMPUTE_PGM_RSRC2:TGID_Y_EN: 0
; COMPUTE_PGM_RSRC2:TGID_Z_EN: 0
; COMPUTE_PGM_RSRC2:TIDIG_COMP_CNT: 0
	.section	.text._ZN9rocsparseL30bsrgemm_fill_block_per_row_2x2ILj256ELj16ELj256ELj137ElifEEv20rocsparse_direction_T4_S2_PKS2_S4_NS_24const_host_device_scalarIT5_EEPKT3_S4_PKS6_SA_S4_SC_S7_SA_S4_SC_SA_PS2_PS6_21rocsparse_index_base_SF_SF_SF_bbb,"axG",@progbits,_ZN9rocsparseL30bsrgemm_fill_block_per_row_2x2ILj256ELj16ELj256ELj137ElifEEv20rocsparse_direction_T4_S2_PKS2_S4_NS_24const_host_device_scalarIT5_EEPKT3_S4_PKS6_SA_S4_SC_S7_SA_S4_SC_SA_PS2_PS6_21rocsparse_index_base_SF_SF_SF_bbb,comdat
	.globl	_ZN9rocsparseL30bsrgemm_fill_block_per_row_2x2ILj256ELj16ELj256ELj137ElifEEv20rocsparse_direction_T4_S2_PKS2_S4_NS_24const_host_device_scalarIT5_EEPKT3_S4_PKS6_SA_S4_SC_S7_SA_S4_SC_SA_PS2_PS6_21rocsparse_index_base_SF_SF_SF_bbb ; -- Begin function _ZN9rocsparseL30bsrgemm_fill_block_per_row_2x2ILj256ELj16ELj256ELj137ElifEEv20rocsparse_direction_T4_S2_PKS2_S4_NS_24const_host_device_scalarIT5_EEPKT3_S4_PKS6_SA_S4_SC_S7_SA_S4_SC_SA_PS2_PS6_21rocsparse_index_base_SF_SF_SF_bbb
	.p2align	8
	.type	_ZN9rocsparseL30bsrgemm_fill_block_per_row_2x2ILj256ELj16ELj256ELj137ElifEEv20rocsparse_direction_T4_S2_PKS2_S4_NS_24const_host_device_scalarIT5_EEPKT3_S4_PKS6_SA_S4_SC_S7_SA_S4_SC_SA_PS2_PS6_21rocsparse_index_base_SF_SF_SF_bbb,@function
_ZN9rocsparseL30bsrgemm_fill_block_per_row_2x2ILj256ELj16ELj256ELj137ElifEEv20rocsparse_direction_T4_S2_PKS2_S4_NS_24const_host_device_scalarIT5_EEPKT3_S4_PKS6_SA_S4_SC_S7_SA_S4_SC_SA_PS2_PS6_21rocsparse_index_base_SF_SF_SF_bbb: ; @_ZN9rocsparseL30bsrgemm_fill_block_per_row_2x2ILj256ELj16ELj256ELj137ElifEEv20rocsparse_direction_T4_S2_PKS2_S4_NS_24const_host_device_scalarIT5_EEPKT3_S4_PKS6_SA_S4_SC_S7_SA_S4_SC_SA_PS2_PS6_21rocsparse_index_base_SF_SF_SF_bbb
; %bb.0:
	s_clause 0x2
	s_load_b32 s6, s[0:1], 0xa0
	s_load_b64 s[4:5], s[0:1], 0x20
	s_load_b64 s[2:3], s[0:1], 0x58
	s_mov_b32 s34, s15
	s_waitcnt lgkmcnt(0)
	s_bitcmp1_b32 s6, 0
	s_cselect_b32 s35, -1, 0
	s_bitcmp1_b32 s6, 16
	s_cselect_b32 s7, -1, 0
	s_xor_b32 s8, s35, -1
	s_delay_alu instid0(SALU_CYCLE_1) | instskip(NEXT) | instid1(SALU_CYCLE_1)
	s_or_b32 s8, s8, s7
	s_and_b32 vcc_lo, exec_lo, s8
	s_cbranch_vccnz .LBB172_2
; %bb.1:
	s_load_b32 s4, s[4:5], 0x0
	s_waitcnt lgkmcnt(0)
	v_mov_b32_e32 v12, s4
	s_branch .LBB172_3
.LBB172_2:
	v_cndmask_b32_e64 v12, 0, s4, s35
.LBB172_3:
	s_load_b128 s[20:23], s[0:1], 0x90
	s_bitcmp1_b32 s6, 8
	s_cselect_b32 s40, -1, 0
	s_delay_alu instid0(SALU_CYCLE_1) | instskip(NEXT) | instid1(SALU_CYCLE_1)
	s_xor_b32 s4, s40, -1
	s_or_b32 s4, s4, s7
	s_delay_alu instid0(SALU_CYCLE_1)
	s_and_b32 vcc_lo, exec_lo, s4
	s_cbranch_vccnz .LBB172_5
; %bb.4:
	s_load_b32 s2, s[2:3], 0x0
	s_waitcnt lgkmcnt(0)
	v_mov_b32_e32 v10, s2
	s_branch .LBB172_6
.LBB172_5:
	v_cndmask_b32_e64 v10, 0, s2, s40
.LBB172_6:
	s_clause 0x5
	s_load_b128 s[24:27], s[0:1], 0x80
	s_load_b256 s[4:11], s[0:1], 0x60
	s_load_b128 s[28:31], s[0:1], 0x48
	s_load_b256 s[12:19], s[0:1], 0x28
	s_load_b128 s[36:39], s[0:1], 0x10
	s_load_b32 s33, s[0:1], 0x8
	v_cmp_gt_u32_e64 s2, 0x100, v0
	v_lshl_add_u32 v11, v0, 2, 0
	s_delay_alu instid0(VALU_DEP_2)
	s_and_saveexec_b32 s3, s2
	s_cbranch_execz .LBB172_8
; %bb.7:
	s_waitcnt lgkmcnt(0)
	v_mov_b32_e32 v1, s33
	ds_store_b32 v11, v1
.LBB172_8:
	s_or_b32 exec_lo, exec_lo, s3
	v_lshlrev_b32_e32 v9, 2, v0
	v_or_b32_e32 v1, 0xffffff00, v0
	v_mov_b32_e32 v3, 0
	s_mov_b32 s3, 0
	s_delay_alu instid0(VALU_DEP_3)
	v_add3_u32 v2, v9, 0, 0x400
.LBB172_9:                              ; =>This Inner Loop Header: Depth=1
	s_delay_alu instid0(VALU_DEP_3) | instskip(SKIP_4) | instid1(SALU_CYCLE_1)
	v_add_nc_u32_e32 v1, 0x100, v1
	ds_store_b32 v2, v3
	v_add_nc_u32_e32 v2, 0x400, v2
	v_cmp_lt_u32_e32 vcc_lo, 0x2ff, v1
	s_or_b32 s3, vcc_lo, s3
	s_and_not1_b32 exec_lo, exec_lo, s3
	s_cbranch_execnz .LBB172_9
; %bb.10:
	s_or_b32 exec_lo, exec_lo, s3
	s_waitcnt lgkmcnt(0)
	s_cmp_lg_u64 s[38:39], 0
	s_barrier
	buffer_gl0_inv
	s_cbranch_scc0 .LBB172_12
; %bb.11:
	s_load_b32 s3, s[36:37], 0x0
	s_mov_b32 s37, 0
	s_waitcnt lgkmcnt(0)
	s_add_i32 s36, s3, s34
	s_delay_alu instid0(SALU_CYCLE_1) | instskip(NEXT) | instid1(SALU_CYCLE_1)
	s_lshl_b64 s[36:37], s[36:37], 2
	s_add_u32 s36, s38, s36
	s_addc_u32 s37, s39, s37
	s_load_b32 s34, s[36:37], 0x0
.LBB172_12:
	s_load_b32 s3, s[0:1], 0x0
	s_and_not1_b32 vcc_lo, exec_lo, s35
	s_waitcnt lgkmcnt(0)
	s_ashr_i32 s35, s34, 31
	s_cbranch_vccnz .LBB172_68
; %bb.13:
	s_lshl_b64 s[0:1], s[34:35], 3
	v_lshrrev_b32_e32 v1, 4, v0
	s_add_u32 s0, s12, s0
	s_addc_u32 s1, s13, s1
	s_mov_b32 s13, 0
	s_load_b128 s[36:39], s[0:1], 0x0
	v_sub_co_u32 v1, s0, v1, s20
	s_delay_alu instid0(VALU_DEP_1) | instskip(SKIP_2) | instid1(VALU_DEP_2)
	v_sub_co_ci_u32_e64 v2, null, 0, 0, s0
	s_mov_b32 s12, exec_lo
	s_waitcnt lgkmcnt(0)
	v_add_co_u32 v1, vcc_lo, s36, v1
	s_delay_alu instid0(VALU_DEP_2)
	v_add_co_ci_u32_e32 v2, vcc_lo, s37, v2, vcc_lo
	s_sub_u32 s0, s38, s20
	s_subb_u32 s1, s39, 0
	s_delay_alu instid0(VALU_DEP_1) | instid1(SALU_CYCLE_1)
	v_cmpx_gt_i64_e64 s[0:1], v[1:2]
	s_cbranch_execz .LBB172_67
; %bb.14:
	v_and_b32_e32 v3, 15, v0
	s_cmp_eq_u32 s3, 0
	s_cselect_b32 s37, 1, 2
	s_cselect_b32 s38, 2, 1
	s_delay_alu instid0(VALU_DEP_1) | instskip(NEXT) | instid1(VALU_DEP_1)
	v_sub_co_u32 v13, s36, v3, s21
	v_sub_co_ci_u32_e64 v14, null, 0, 0, s36
	s_mov_b32 s36, s21
	s_branch .LBB172_16
.LBB172_15:                             ;   in Loop: Header=BB172_16 Depth=1
	s_or_b32 exec_lo, exec_lo, s39
	v_add_co_u32 v1, vcc_lo, v1, 16
	v_add_co_ci_u32_e32 v2, vcc_lo, 0, v2, vcc_lo
	s_delay_alu instid0(VALU_DEP_1) | instskip(SKIP_1) | instid1(SALU_CYCLE_1)
	v_cmp_le_i64_e32 vcc_lo, s[0:1], v[1:2]
	s_or_b32 s13, vcc_lo, s13
	s_and_not1_b32 exec_lo, exec_lo, s13
	s_cbranch_execz .LBB172_67
.LBB172_16:                             ; =>This Loop Header: Depth=1
                                        ;     Child Loop BB172_19 Depth 2
                                        ;       Child Loop BB172_21 Depth 3
                                        ;       Child Loop BB172_33 Depth 3
	;; [unrolled: 1-line block ×4, first 2 shown]
	v_lshlrev_b64 v[7:8], 2, v[1:2]
	s_mov_b32 s39, exec_lo
	s_delay_alu instid0(VALU_DEP_1) | instskip(NEXT) | instid1(VALU_DEP_2)
	v_add_co_u32 v3, vcc_lo, s14, v7
	v_add_co_ci_u32_e32 v4, vcc_lo, s15, v8, vcc_lo
	global_load_b32 v3, v[3:4], off
	s_waitcnt vmcnt(0)
	v_subrev_nc_u32_e32 v3, s20, v3
	s_delay_alu instid0(VALU_DEP_1) | instskip(NEXT) | instid1(VALU_DEP_1)
	v_ashrrev_i32_e32 v4, 31, v3
	v_lshlrev_b64 v[3:4], 3, v[3:4]
	s_delay_alu instid0(VALU_DEP_1) | instskip(NEXT) | instid1(VALU_DEP_2)
	v_add_co_u32 v3, vcc_lo, s18, v3
	v_add_co_ci_u32_e32 v4, vcc_lo, s19, v4, vcc_lo
	global_load_b128 v[15:18], v[3:4], off
	s_waitcnt vmcnt(0)
	v_sub_co_u32 v3, vcc_lo, v17, s36
	v_subrev_co_ci_u32_e32 v4, vcc_lo, 0, v18, vcc_lo
	v_add_co_u32 v5, vcc_lo, v15, v13
	v_add_co_ci_u32_e32 v6, vcc_lo, v16, v14, vcc_lo
	s_delay_alu instid0(VALU_DEP_1)
	v_cmpx_lt_i64_e64 v[5:6], v[3:4]
	s_cbranch_execz .LBB172_15
; %bb.17:                               ;   in Loop: Header=BB172_16 Depth=1
	v_or_b32_e32 v16, 0, v8
	v_or_b32_e32 v15, s38, v7
	v_lshlrev_b64 v[17:18], 4, v[1:2]
	v_or_b32_e32 v8, 0, v8
	v_or_b32_e32 v7, s37, v7
	s_mov_b32 s41, 0
	v_lshlrev_b64 v[15:16], 2, v[15:16]
	s_delay_alu instid0(VALU_DEP_4) | instskip(NEXT) | instid1(VALU_DEP_3)
	v_add_co_u32 v17, vcc_lo, s16, v17
	v_lshlrev_b64 v[7:8], 2, v[7:8]
	v_add_co_ci_u32_e32 v18, vcc_lo, s17, v18, vcc_lo
	s_delay_alu instid0(VALU_DEP_4) | instskip(SKIP_1) | instid1(VALU_DEP_4)
	v_add_co_u32 v15, vcc_lo, s16, v15
	v_add_co_ci_u32_e32 v16, vcc_lo, s17, v16, vcc_lo
	v_add_co_u32 v7, vcc_lo, s16, v7
	v_add_co_ci_u32_e32 v8, vcc_lo, s17, v8, vcc_lo
	s_clause 0x3
	global_load_b32 v19, v[17:18], off offset:12
	global_load_b32 v15, v[15:16], off
	global_load_b32 v7, v[7:8], off
	;; [unrolled: 1-line block ×3, first 2 shown]
	s_waitcnt vmcnt(3)
	v_mul_f32_e32 v8, v12, v19
	s_waitcnt vmcnt(2)
	v_mul_f32_e32 v15, v12, v15
	;; [unrolled: 2-line block ×4, first 2 shown]
	s_branch .LBB172_19
.LBB172_18:                             ;   in Loop: Header=BB172_19 Depth=2
	s_or_b32 exec_lo, exec_lo, s42
	v_add_co_u32 v5, vcc_lo, v5, 16
	v_add_co_ci_u32_e32 v6, vcc_lo, 0, v6, vcc_lo
	s_delay_alu instid0(VALU_DEP_1) | instskip(SKIP_1) | instid1(SALU_CYCLE_1)
	v_cmp_ge_i64_e32 vcc_lo, v[5:6], v[3:4]
	s_or_b32 s41, vcc_lo, s41
	s_and_not1_b32 exec_lo, exec_lo, s41
	s_cbranch_execz .LBB172_15
.LBB172_19:                             ;   Parent Loop BB172_16 Depth=1
                                        ; =>  This Loop Header: Depth=2
                                        ;       Child Loop BB172_21 Depth 3
                                        ;       Child Loop BB172_33 Depth 3
	;; [unrolled: 1-line block ×4, first 2 shown]
	v_lshlrev_b64 v[18:19], 2, v[5:6]
	v_lshlrev_b64 v[24:25], 4, v[5:6]
	s_mov_b32 s42, 0
	s_delay_alu instid0(VALU_DEP_2) | instskip(NEXT) | instid1(VALU_DEP_3)
	v_add_co_u32 v22, vcc_lo, s28, v18
	v_or_b32_e32 v21, 0, v19
	v_or_b32_e32 v20, s38, v18
	v_add_co_ci_u32_e32 v23, vcc_lo, s29, v19, vcc_lo
	v_or_b32_e32 v19, 0, v19
	v_or_b32_e32 v18, s37, v18
	s_delay_alu instid0(VALU_DEP_4)
	v_lshlrev_b64 v[20:21], 2, v[20:21]
	global_load_b32 v7, v[22:23], off
	v_lshlrev_b64 v[18:19], 2, v[18:19]
	v_add_co_u32 v20, vcc_lo, s30, v20
	v_add_co_ci_u32_e32 v21, vcc_lo, s31, v21, vcc_lo
	v_add_co_u32 v24, vcc_lo, s30, v24
	v_add_co_ci_u32_e32 v25, vcc_lo, s31, v25, vcc_lo
	s_clause 0x1
	global_load_b32 v23, v[20:21], off
	global_load_b32 v22, v[24:25], off
	v_add_co_u32 v18, vcc_lo, s30, v18
	v_add_co_ci_u32_e32 v19, vcc_lo, s31, v19, vcc_lo
	s_clause 0x1
	global_load_b32 v20, v[18:19], off
	global_load_b32 v21, v[24:25], off offset:12
	s_waitcnt vmcnt(4)
	v_subrev_nc_u32_e32 v18, s21, v7
	s_delay_alu instid0(VALU_DEP_1) | instskip(NEXT) | instid1(VALU_DEP_1)
	v_mul_lo_u32 v7, 0x89, v18
	v_and_b32_e32 v19, 0xff, v7
	s_waitcnt vmcnt(3)
	s_delay_alu instid0(VALU_DEP_1) | instskip(SKIP_1) | instid1(VALU_DEP_1)
	v_dual_mul_f32 v24, v16, v23 :: v_dual_mov_b32 v25, v19
	s_waitcnt vmcnt(2)
	v_fmac_f32_e32 v24, v17, v22
	s_branch .LBB172_21
.LBB172_20:                             ;   in Loop: Header=BB172_21 Depth=3
	s_or_b32 exec_lo, exec_lo, s43
	s_xor_b32 s43, s44, -1
	s_delay_alu instid0(SALU_CYCLE_1) | instskip(NEXT) | instid1(SALU_CYCLE_1)
	s_and_b32 s43, exec_lo, s43
	s_or_b32 s42, s43, s42
	s_delay_alu instid0(SALU_CYCLE_1)
	s_and_not1_b32 exec_lo, exec_lo, s42
	s_cbranch_execz .LBB172_31
.LBB172_21:                             ;   Parent Loop BB172_16 Depth=1
                                        ;     Parent Loop BB172_19 Depth=2
                                        ; =>    This Inner Loop Header: Depth=3
	s_delay_alu instid0(VALU_DEP_2)
	v_lshl_add_u32 v7, v25, 2, 0
	s_mov_b32 s43, exec_lo
                                        ; implicit-def: $sgpr44
	ds_load_b32 v26, v7
	s_waitcnt lgkmcnt(0)
	v_cmpx_ne_u32_e64 v26, v18
	s_xor_b32 s43, exec_lo, s43
	s_cbranch_execz .LBB172_29
; %bb.22:                               ;   in Loop: Header=BB172_21 Depth=3
	s_mov_b32 s45, exec_lo
                                        ; implicit-def: $sgpr44
	v_cmpx_ne_u32_e64 s33, v26
	s_xor_b32 s45, exec_lo, s45
; %bb.23:                               ;   in Loop: Header=BB172_21 Depth=3
	v_add_nc_u32_e32 v7, 1, v25
	s_mov_b32 s44, -1
	s_delay_alu instid0(VALU_DEP_1)
	v_and_b32_e32 v25, 0xff, v7
                                        ; implicit-def: $vgpr7
; %bb.24:                               ;   in Loop: Header=BB172_21 Depth=3
	s_and_not1_saveexec_b32 s45, s45
	s_cbranch_execz .LBB172_28
; %bb.25:                               ;   in Loop: Header=BB172_21 Depth=3
	v_mov_b32_e32 v26, s33
	s_mov_b32 s46, -1
	s_mov_b32 s47, exec_lo
	ds_cmpstore_rtn_b32 v26, v7, v18, v26
	s_waitcnt lgkmcnt(0)
	v_cmpx_eq_u32_e64 s33, v26
	s_cbranch_execz .LBB172_27
; %bb.26:                               ;   in Loop: Header=BB172_21 Depth=3
	v_mad_u64_u32 v[26:27], null, v25, 12, v[7:8]
	s_xor_b32 s46, exec_lo, -1
	ds_add_f32 v26, v24 offset:1024
.LBB172_27:                             ;   in Loop: Header=BB172_21 Depth=3
	s_or_b32 exec_lo, exec_lo, s47
	s_delay_alu instid0(SALU_CYCLE_1) | instskip(SKIP_1) | instid1(SALU_CYCLE_1)
	s_and_not1_b32 s44, s44, exec_lo
	s_and_b32 s46, s46, exec_lo
	s_or_b32 s44, s44, s46
.LBB172_28:                             ;   in Loop: Header=BB172_21 Depth=3
	s_or_b32 exec_lo, exec_lo, s45
	s_delay_alu instid0(SALU_CYCLE_1)
	s_and_b32 s44, s44, exec_lo
                                        ; implicit-def: $vgpr7
.LBB172_29:                             ;   in Loop: Header=BB172_21 Depth=3
	s_and_not1_saveexec_b32 s43, s43
	s_cbranch_execz .LBB172_20
; %bb.30:                               ;   in Loop: Header=BB172_21 Depth=3
	v_mad_u64_u32 v[26:27], null, v25, 12, v[7:8]
	s_and_not1_b32 s44, s44, exec_lo
	ds_add_f32 v26, v24 offset:1024
	s_branch .LBB172_20
.LBB172_31:                             ;   in Loop: Header=BB172_19 Depth=2
	s_or_b32 exec_lo, exec_lo, s42
	s_waitcnt vmcnt(0)
	v_dual_mul_f32 v24, v16, v21 :: v_dual_mov_b32 v25, v19
	s_mov_b32 s42, 0
	s_delay_alu instid0(VALU_DEP_1)
	v_fmac_f32_e32 v24, v17, v20
	s_branch .LBB172_33
.LBB172_32:                             ;   in Loop: Header=BB172_33 Depth=3
	s_or_b32 exec_lo, exec_lo, s43
	s_xor_b32 s43, s44, -1
	s_delay_alu instid0(SALU_CYCLE_1) | instskip(NEXT) | instid1(SALU_CYCLE_1)
	s_and_b32 s43, exec_lo, s43
	s_or_b32 s42, s43, s42
	s_delay_alu instid0(SALU_CYCLE_1)
	s_and_not1_b32 exec_lo, exec_lo, s42
	s_cbranch_execz .LBB172_43
.LBB172_33:                             ;   Parent Loop BB172_16 Depth=1
                                        ;     Parent Loop BB172_19 Depth=2
                                        ; =>    This Inner Loop Header: Depth=3
	s_delay_alu instid0(VALU_DEP_2)
	v_lshl_add_u32 v7, v25, 2, 0
	s_mov_b32 s43, exec_lo
                                        ; implicit-def: $sgpr44
	ds_load_b32 v26, v7
	s_waitcnt lgkmcnt(0)
	v_cmpx_ne_u32_e64 v26, v18
	s_xor_b32 s43, exec_lo, s43
	s_cbranch_execz .LBB172_41
; %bb.34:                               ;   in Loop: Header=BB172_33 Depth=3
	s_mov_b32 s45, exec_lo
                                        ; implicit-def: $sgpr44
	v_cmpx_ne_u32_e64 s33, v26
	s_xor_b32 s45, exec_lo, s45
; %bb.35:                               ;   in Loop: Header=BB172_33 Depth=3
	v_add_nc_u32_e32 v7, 1, v25
	s_mov_b32 s44, -1
	s_delay_alu instid0(VALU_DEP_1)
	v_and_b32_e32 v25, 0xff, v7
                                        ; implicit-def: $vgpr7
; %bb.36:                               ;   in Loop: Header=BB172_33 Depth=3
	s_and_not1_saveexec_b32 s45, s45
	s_cbranch_execz .LBB172_40
; %bb.37:                               ;   in Loop: Header=BB172_33 Depth=3
	v_mov_b32_e32 v26, s33
	s_mov_b32 s46, -1
	s_mov_b32 s47, exec_lo
	ds_cmpstore_rtn_b32 v26, v7, v18, v26
	s_waitcnt lgkmcnt(0)
	v_cmpx_eq_u32_e64 s33, v26
	s_cbranch_execz .LBB172_39
; %bb.38:                               ;   in Loop: Header=BB172_33 Depth=3
	v_mad_u64_u32 v[26:27], null, v25, 12, v[7:8]
	s_xor_b32 s46, exec_lo, -1
	ds_add_f32 v26, v24 offset:1028
.LBB172_39:                             ;   in Loop: Header=BB172_33 Depth=3
	s_or_b32 exec_lo, exec_lo, s47
	s_delay_alu instid0(SALU_CYCLE_1) | instskip(SKIP_1) | instid1(SALU_CYCLE_1)
	s_and_not1_b32 s44, s44, exec_lo
	s_and_b32 s46, s46, exec_lo
	s_or_b32 s44, s44, s46
.LBB172_40:                             ;   in Loop: Header=BB172_33 Depth=3
	s_or_b32 exec_lo, exec_lo, s45
	s_delay_alu instid0(SALU_CYCLE_1)
	s_and_b32 s44, s44, exec_lo
                                        ; implicit-def: $vgpr7
.LBB172_41:                             ;   in Loop: Header=BB172_33 Depth=3
	s_and_not1_saveexec_b32 s43, s43
	s_cbranch_execz .LBB172_32
; %bb.42:                               ;   in Loop: Header=BB172_33 Depth=3
	v_mad_u64_u32 v[26:27], null, v25, 12, v[7:8]
	s_and_not1_b32 s44, s44, exec_lo
	ds_add_f32 v26, v24 offset:1028
	s_branch .LBB172_32
.LBB172_43:                             ;   in Loop: Header=BB172_19 Depth=2
	s_or_b32 exec_lo, exec_lo, s42
	v_mul_f32_e32 v23, v8, v23
	s_mov_b32 s42, 0
	s_delay_alu instid0(VALU_DEP_1)
	v_fmac_f32_e32 v23, v15, v22
	v_mov_b32_e32 v22, v19
	s_branch .LBB172_45
.LBB172_44:                             ;   in Loop: Header=BB172_45 Depth=3
	s_or_b32 exec_lo, exec_lo, s43
	s_xor_b32 s43, s44, -1
	s_delay_alu instid0(SALU_CYCLE_1) | instskip(NEXT) | instid1(SALU_CYCLE_1)
	s_and_b32 s43, exec_lo, s43
	s_or_b32 s42, s43, s42
	s_delay_alu instid0(SALU_CYCLE_1)
	s_and_not1_b32 exec_lo, exec_lo, s42
	s_cbranch_execz .LBB172_55
.LBB172_45:                             ;   Parent Loop BB172_16 Depth=1
                                        ;     Parent Loop BB172_19 Depth=2
                                        ; =>    This Inner Loop Header: Depth=3
	s_delay_alu instid0(VALU_DEP_1)
	v_lshl_add_u32 v7, v22, 2, 0
	s_mov_b32 s43, exec_lo
                                        ; implicit-def: $sgpr44
	ds_load_b32 v24, v7
	s_waitcnt lgkmcnt(0)
	v_cmpx_ne_u32_e64 v24, v18
	s_xor_b32 s43, exec_lo, s43
	s_cbranch_execz .LBB172_53
; %bb.46:                               ;   in Loop: Header=BB172_45 Depth=3
	s_mov_b32 s45, exec_lo
                                        ; implicit-def: $sgpr44
	v_cmpx_ne_u32_e64 s33, v24
	s_xor_b32 s45, exec_lo, s45
; %bb.47:                               ;   in Loop: Header=BB172_45 Depth=3
	v_add_nc_u32_e32 v7, 1, v22
	s_mov_b32 s44, -1
	s_delay_alu instid0(VALU_DEP_1)
	v_and_b32_e32 v22, 0xff, v7
                                        ; implicit-def: $vgpr7
; %bb.48:                               ;   in Loop: Header=BB172_45 Depth=3
	s_and_not1_saveexec_b32 s45, s45
	s_cbranch_execz .LBB172_52
; %bb.49:                               ;   in Loop: Header=BB172_45 Depth=3
	v_mov_b32_e32 v24, s33
	s_mov_b32 s46, -1
	s_mov_b32 s47, exec_lo
	ds_cmpstore_rtn_b32 v24, v7, v18, v24
	s_waitcnt lgkmcnt(0)
	v_cmpx_eq_u32_e64 s33, v24
	s_cbranch_execz .LBB172_51
; %bb.50:                               ;   in Loop: Header=BB172_45 Depth=3
	v_mad_u64_u32 v[24:25], null, v22, 12, v[7:8]
	s_xor_b32 s46, exec_lo, -1
	ds_add_f32 v24, v23 offset:1032
.LBB172_51:                             ;   in Loop: Header=BB172_45 Depth=3
	s_or_b32 exec_lo, exec_lo, s47
	s_delay_alu instid0(SALU_CYCLE_1) | instskip(SKIP_1) | instid1(SALU_CYCLE_1)
	s_and_not1_b32 s44, s44, exec_lo
	s_and_b32 s46, s46, exec_lo
	s_or_b32 s44, s44, s46
.LBB172_52:                             ;   in Loop: Header=BB172_45 Depth=3
	s_or_b32 exec_lo, exec_lo, s45
	s_delay_alu instid0(SALU_CYCLE_1)
	s_and_b32 s44, s44, exec_lo
                                        ; implicit-def: $vgpr7
.LBB172_53:                             ;   in Loop: Header=BB172_45 Depth=3
	s_and_not1_saveexec_b32 s43, s43
	s_cbranch_execz .LBB172_44
; %bb.54:                               ;   in Loop: Header=BB172_45 Depth=3
	v_mad_u64_u32 v[24:25], null, v22, 12, v[7:8]
	s_and_not1_b32 s44, s44, exec_lo
	ds_add_f32 v24, v23 offset:1032
	s_branch .LBB172_44
.LBB172_55:                             ;   in Loop: Header=BB172_19 Depth=2
	s_or_b32 exec_lo, exec_lo, s42
	v_mul_f32_e32 v21, v8, v21
	s_mov_b32 s42, 0
	s_delay_alu instid0(VALU_DEP_1)
	v_fmac_f32_e32 v21, v15, v20
	s_branch .LBB172_57
.LBB172_56:                             ;   in Loop: Header=BB172_57 Depth=3
	s_or_b32 exec_lo, exec_lo, s43
	s_xor_b32 s43, s44, -1
	s_delay_alu instid0(SALU_CYCLE_1) | instskip(NEXT) | instid1(SALU_CYCLE_1)
	s_and_b32 s43, exec_lo, s43
	s_or_b32 s42, s43, s42
	s_delay_alu instid0(SALU_CYCLE_1)
	s_and_not1_b32 exec_lo, exec_lo, s42
	s_cbranch_execz .LBB172_18
.LBB172_57:                             ;   Parent Loop BB172_16 Depth=1
                                        ;     Parent Loop BB172_19 Depth=2
                                        ; =>    This Inner Loop Header: Depth=3
	v_lshl_add_u32 v7, v19, 2, 0
	s_mov_b32 s43, exec_lo
                                        ; implicit-def: $sgpr44
	ds_load_b32 v20, v7
	s_waitcnt lgkmcnt(0)
	v_cmpx_ne_u32_e64 v20, v18
	s_xor_b32 s43, exec_lo, s43
	s_cbranch_execz .LBB172_65
; %bb.58:                               ;   in Loop: Header=BB172_57 Depth=3
	s_mov_b32 s45, exec_lo
                                        ; implicit-def: $sgpr44
	v_cmpx_ne_u32_e64 s33, v20
	s_xor_b32 s45, exec_lo, s45
; %bb.59:                               ;   in Loop: Header=BB172_57 Depth=3
	v_add_nc_u32_e32 v7, 1, v19
	s_mov_b32 s44, -1
	s_delay_alu instid0(VALU_DEP_1)
	v_and_b32_e32 v19, 0xff, v7
                                        ; implicit-def: $vgpr7
; %bb.60:                               ;   in Loop: Header=BB172_57 Depth=3
	s_and_not1_saveexec_b32 s45, s45
	s_cbranch_execz .LBB172_64
; %bb.61:                               ;   in Loop: Header=BB172_57 Depth=3
	v_mov_b32_e32 v20, s33
	s_mov_b32 s46, -1
	s_mov_b32 s47, exec_lo
	ds_cmpstore_rtn_b32 v20, v7, v18, v20
	s_waitcnt lgkmcnt(0)
	v_cmpx_eq_u32_e64 s33, v20
	s_cbranch_execz .LBB172_63
; %bb.62:                               ;   in Loop: Header=BB172_57 Depth=3
	v_mad_u64_u32 v[22:23], null, v19, 12, v[7:8]
	s_xor_b32 s46, exec_lo, -1
	ds_add_f32 v22, v21 offset:1036
.LBB172_63:                             ;   in Loop: Header=BB172_57 Depth=3
	s_or_b32 exec_lo, exec_lo, s47
	s_delay_alu instid0(SALU_CYCLE_1) | instskip(SKIP_1) | instid1(SALU_CYCLE_1)
	s_and_not1_b32 s44, s44, exec_lo
	s_and_b32 s46, s46, exec_lo
	s_or_b32 s44, s44, s46
.LBB172_64:                             ;   in Loop: Header=BB172_57 Depth=3
	s_or_b32 exec_lo, exec_lo, s45
	s_delay_alu instid0(SALU_CYCLE_1)
	s_and_b32 s44, s44, exec_lo
                                        ; implicit-def: $vgpr7
.LBB172_65:                             ;   in Loop: Header=BB172_57 Depth=3
	s_and_not1_saveexec_b32 s43, s43
	s_cbranch_execz .LBB172_56
; %bb.66:                               ;   in Loop: Header=BB172_57 Depth=3
	v_mad_u64_u32 v[22:23], null, v19, 12, v[7:8]
	s_and_not1_b32 s44, s44, exec_lo
	ds_add_f32 v22, v21 offset:1036
	s_branch .LBB172_56
.LBB172_67:
	s_or_b32 exec_lo, exec_lo, s12
.LBB172_68:
	s_delay_alu instid0(SALU_CYCLE_1)
	s_and_not1_b32 vcc_lo, exec_lo, s40
	s_waitcnt lgkmcnt(0)
	s_barrier
	buffer_gl0_inv
	s_cbranch_vccnz .LBB172_121
; %bb.69:
	s_lshl_b64 s[0:1], s[34:35], 3
	s_delay_alu instid0(SALU_CYCLE_1) | instskip(SKIP_4) | instid1(VALU_DEP_1)
	s_add_u32 s0, s4, s0
	s_addc_u32 s1, s5, s1
	s_mov_b32 s5, 0
	s_load_b128 s[12:15], s[0:1], 0x0
	v_sub_co_u32 v0, s0, v0, s23
	v_sub_co_ci_u32_e64 v1, null, 0, 0, s0
	s_mov_b32 s4, exec_lo
	s_waitcnt lgkmcnt(0)
	s_delay_alu instid0(VALU_DEP_2) | instskip(NEXT) | instid1(VALU_DEP_2)
	v_add_co_u32 v0, vcc_lo, s12, v0
	v_add_co_ci_u32_e32 v1, vcc_lo, s13, v1, vcc_lo
	s_sub_u32 s0, s14, s23
	s_subb_u32 s1, s15, 0
	s_delay_alu instid0(VALU_DEP_1) | instid1(SALU_CYCLE_1)
	v_cmpx_gt_i64_e64 s[0:1], v[0:1]
	s_cbranch_execz .LBB172_120
; %bb.70:
	s_cmp_eq_u32 s3, 0
	s_cselect_b32 s12, 1, 2
	s_cselect_b32 s13, 2, 1
	s_branch .LBB172_72
.LBB172_71:                             ;   in Loop: Header=BB172_72 Depth=1
	s_or_b32 exec_lo, exec_lo, s14
	v_add_co_u32 v0, vcc_lo, 0x100, v0
	v_add_co_ci_u32_e32 v1, vcc_lo, 0, v1, vcc_lo
	s_delay_alu instid0(VALU_DEP_1) | instskip(SKIP_1) | instid1(SALU_CYCLE_1)
	v_cmp_le_i64_e32 vcc_lo, s[0:1], v[0:1]
	s_or_b32 s5, vcc_lo, s5
	s_and_not1_b32 exec_lo, exec_lo, s5
	s_cbranch_execz .LBB172_120
.LBB172_72:                             ; =>This Loop Header: Depth=1
                                        ;     Child Loop BB172_74 Depth 2
                                        ;     Child Loop BB172_86 Depth 2
	;; [unrolled: 1-line block ×4, first 2 shown]
	v_lshlrev_b64 v[2:3], 2, v[0:1]
	v_lshlrev_b64 v[6:7], 4, v[0:1]
	s_mov_b32 s14, 0
	s_delay_alu instid0(VALU_DEP_2) | instskip(NEXT) | instid1(VALU_DEP_3)
	v_add_co_u32 v4, vcc_lo, s6, v2
	v_add_co_ci_u32_e32 v5, vcc_lo, s7, v3, vcc_lo
	v_or_b32_e32 v13, 0, v3
	v_or_b32_e32 v12, s13, v2
	;; [unrolled: 1-line block ×3, first 2 shown]
	global_load_b32 v14, v[4:5], off
	v_add_co_u32 v3, vcc_lo, s8, v6
	v_add_co_ci_u32_e32 v4, vcc_lo, s9, v7, vcc_lo
	v_or_b32_e32 v7, s12, v2
	v_lshlrev_b64 v[5:6], 2, v[12:13]
	global_load_b32 v2, v[3:4], off
	v_lshlrev_b64 v[7:8], 2, v[7:8]
	v_add_co_u32 v5, vcc_lo, s8, v5
	v_add_co_ci_u32_e32 v6, vcc_lo, s9, v6, vcc_lo
	s_delay_alu instid0(VALU_DEP_3) | instskip(NEXT) | instid1(VALU_DEP_4)
	v_add_co_u32 v7, vcc_lo, s8, v7
	v_add_co_ci_u32_e32 v8, vcc_lo, s9, v8, vcc_lo
	s_clause 0x2
	global_load_b32 v6, v[5:6], off
	global_load_b32 v7, v[7:8], off
	global_load_b32 v5, v[3:4], off offset:12
	s_waitcnt vmcnt(4)
	v_subrev_nc_u32_e32 v3, s23, v14
	s_delay_alu instid0(VALU_DEP_1) | instskip(SKIP_2) | instid1(VALU_DEP_2)
	v_mul_lo_u32 v4, 0x89, v3
	s_waitcnt vmcnt(3)
	v_mul_f32_e32 v8, v10, v2
	v_and_b32_e32 v4, 0xff, v4
	s_delay_alu instid0(VALU_DEP_1)
	v_mov_b32_e32 v12, v4
	s_branch .LBB172_74
.LBB172_73:                             ;   in Loop: Header=BB172_74 Depth=2
	s_or_b32 exec_lo, exec_lo, s15
	s_xor_b32 s15, s16, -1
	s_delay_alu instid0(SALU_CYCLE_1) | instskip(NEXT) | instid1(SALU_CYCLE_1)
	s_and_b32 s15, exec_lo, s15
	s_or_b32 s14, s15, s14
	s_delay_alu instid0(SALU_CYCLE_1)
	s_and_not1_b32 exec_lo, exec_lo, s14
	s_cbranch_execz .LBB172_84
.LBB172_74:                             ;   Parent Loop BB172_72 Depth=1
                                        ; =>  This Inner Loop Header: Depth=2
	s_delay_alu instid0(VALU_DEP_1)
	v_lshl_add_u32 v2, v12, 2, 0
	s_mov_b32 s15, exec_lo
                                        ; implicit-def: $sgpr16
	ds_load_b32 v13, v2
	s_waitcnt lgkmcnt(0)
	v_cmpx_ne_u32_e64 v13, v3
	s_xor_b32 s15, exec_lo, s15
	s_cbranch_execz .LBB172_82
; %bb.75:                               ;   in Loop: Header=BB172_74 Depth=2
	s_mov_b32 s17, exec_lo
                                        ; implicit-def: $sgpr16
	v_cmpx_ne_u32_e64 s33, v13
	s_xor_b32 s17, exec_lo, s17
; %bb.76:                               ;   in Loop: Header=BB172_74 Depth=2
	v_add_nc_u32_e32 v2, 1, v12
	s_mov_b32 s16, -1
	s_delay_alu instid0(VALU_DEP_1)
	v_and_b32_e32 v12, 0xff, v2
                                        ; implicit-def: $vgpr2
; %bb.77:                               ;   in Loop: Header=BB172_74 Depth=2
	s_and_not1_saveexec_b32 s17, s17
	s_cbranch_execz .LBB172_81
; %bb.78:                               ;   in Loop: Header=BB172_74 Depth=2
	v_mov_b32_e32 v13, s33
	s_mov_b32 s18, -1
	s_mov_b32 s19, exec_lo
	ds_cmpstore_rtn_b32 v13, v2, v3, v13
	s_waitcnt lgkmcnt(0)
	v_cmpx_eq_u32_e64 s33, v13
	s_cbranch_execz .LBB172_80
; %bb.79:                               ;   in Loop: Header=BB172_74 Depth=2
	v_mad_u64_u32 v[13:14], null, v12, 12, v[2:3]
	s_xor_b32 s18, exec_lo, -1
	ds_add_f32 v13, v8 offset:1024
.LBB172_80:                             ;   in Loop: Header=BB172_74 Depth=2
	s_or_b32 exec_lo, exec_lo, s19
	s_delay_alu instid0(SALU_CYCLE_1) | instskip(SKIP_1) | instid1(SALU_CYCLE_1)
	s_and_not1_b32 s16, s16, exec_lo
	s_and_b32 s18, s18, exec_lo
	s_or_b32 s16, s16, s18
.LBB172_81:                             ;   in Loop: Header=BB172_74 Depth=2
	s_or_b32 exec_lo, exec_lo, s17
	s_delay_alu instid0(SALU_CYCLE_1)
	s_and_b32 s16, s16, exec_lo
                                        ; implicit-def: $vgpr2
.LBB172_82:                             ;   in Loop: Header=BB172_74 Depth=2
	s_and_not1_saveexec_b32 s15, s15
	s_cbranch_execz .LBB172_73
; %bb.83:                               ;   in Loop: Header=BB172_74 Depth=2
	v_mad_u64_u32 v[13:14], null, v12, 12, v[2:3]
	s_and_not1_b32 s16, s16, exec_lo
	ds_add_f32 v13, v8 offset:1024
	s_branch .LBB172_73
.LBB172_84:                             ;   in Loop: Header=BB172_72 Depth=1
	s_or_b32 exec_lo, exec_lo, s14
	s_waitcnt vmcnt(1)
	v_dual_mul_f32 v7, v10, v7 :: v_dual_mov_b32 v8, v4
	s_mov_b32 s14, 0
	s_branch .LBB172_86
.LBB172_85:                             ;   in Loop: Header=BB172_86 Depth=2
	s_or_b32 exec_lo, exec_lo, s15
	s_xor_b32 s15, s16, -1
	s_delay_alu instid0(SALU_CYCLE_1) | instskip(NEXT) | instid1(SALU_CYCLE_1)
	s_and_b32 s15, exec_lo, s15
	s_or_b32 s14, s15, s14
	s_delay_alu instid0(SALU_CYCLE_1)
	s_and_not1_b32 exec_lo, exec_lo, s14
	s_cbranch_execz .LBB172_96
.LBB172_86:                             ;   Parent Loop BB172_72 Depth=1
                                        ; =>  This Inner Loop Header: Depth=2
	s_delay_alu instid0(VALU_DEP_1)
	v_lshl_add_u32 v2, v8, 2, 0
	s_mov_b32 s15, exec_lo
                                        ; implicit-def: $sgpr16
	ds_load_b32 v12, v2
	s_waitcnt lgkmcnt(0)
	v_cmpx_ne_u32_e64 v12, v3
	s_xor_b32 s15, exec_lo, s15
	s_cbranch_execz .LBB172_94
; %bb.87:                               ;   in Loop: Header=BB172_86 Depth=2
	s_mov_b32 s17, exec_lo
                                        ; implicit-def: $sgpr16
	v_cmpx_ne_u32_e64 s33, v12
	s_xor_b32 s17, exec_lo, s17
; %bb.88:                               ;   in Loop: Header=BB172_86 Depth=2
	v_add_nc_u32_e32 v2, 1, v8
	s_mov_b32 s16, -1
	s_delay_alu instid0(VALU_DEP_1)
	v_and_b32_e32 v8, 0xff, v2
                                        ; implicit-def: $vgpr2
; %bb.89:                               ;   in Loop: Header=BB172_86 Depth=2
	s_and_not1_saveexec_b32 s17, s17
	s_cbranch_execz .LBB172_93
; %bb.90:                               ;   in Loop: Header=BB172_86 Depth=2
	v_mov_b32_e32 v12, s33
	s_mov_b32 s18, -1
	s_mov_b32 s19, exec_lo
	ds_cmpstore_rtn_b32 v12, v2, v3, v12
	s_waitcnt lgkmcnt(0)
	v_cmpx_eq_u32_e64 s33, v12
	s_cbranch_execz .LBB172_92
; %bb.91:                               ;   in Loop: Header=BB172_86 Depth=2
	v_mad_u64_u32 v[12:13], null, v8, 12, v[2:3]
	s_xor_b32 s18, exec_lo, -1
	ds_add_f32 v12, v7 offset:1028
.LBB172_92:                             ;   in Loop: Header=BB172_86 Depth=2
	s_or_b32 exec_lo, exec_lo, s19
	s_delay_alu instid0(SALU_CYCLE_1) | instskip(SKIP_1) | instid1(SALU_CYCLE_1)
	s_and_not1_b32 s16, s16, exec_lo
	s_and_b32 s18, s18, exec_lo
	s_or_b32 s16, s16, s18
.LBB172_93:                             ;   in Loop: Header=BB172_86 Depth=2
	s_or_b32 exec_lo, exec_lo, s17
	s_delay_alu instid0(SALU_CYCLE_1)
	s_and_b32 s16, s16, exec_lo
                                        ; implicit-def: $vgpr2
.LBB172_94:                             ;   in Loop: Header=BB172_86 Depth=2
	s_and_not1_saveexec_b32 s15, s15
	s_cbranch_execz .LBB172_85
; %bb.95:                               ;   in Loop: Header=BB172_86 Depth=2
	v_mad_u64_u32 v[12:13], null, v8, 12, v[2:3]
	s_and_not1_b32 s16, s16, exec_lo
	ds_add_f32 v12, v7 offset:1028
	s_branch .LBB172_85
.LBB172_96:                             ;   in Loop: Header=BB172_72 Depth=1
	s_or_b32 exec_lo, exec_lo, s14
	v_dual_mul_f32 v6, v10, v6 :: v_dual_mov_b32 v7, v4
	s_mov_b32 s14, 0
	s_branch .LBB172_98
.LBB172_97:                             ;   in Loop: Header=BB172_98 Depth=2
	s_or_b32 exec_lo, exec_lo, s15
	s_xor_b32 s15, s16, -1
	s_delay_alu instid0(SALU_CYCLE_1) | instskip(NEXT) | instid1(SALU_CYCLE_1)
	s_and_b32 s15, exec_lo, s15
	s_or_b32 s14, s15, s14
	s_delay_alu instid0(SALU_CYCLE_1)
	s_and_not1_b32 exec_lo, exec_lo, s14
	s_cbranch_execz .LBB172_108
.LBB172_98:                             ;   Parent Loop BB172_72 Depth=1
                                        ; =>  This Inner Loop Header: Depth=2
	s_delay_alu instid0(VALU_DEP_1)
	v_lshl_add_u32 v2, v7, 2, 0
	s_mov_b32 s15, exec_lo
                                        ; implicit-def: $sgpr16
	ds_load_b32 v8, v2
	s_waitcnt lgkmcnt(0)
	v_cmpx_ne_u32_e64 v8, v3
	s_xor_b32 s15, exec_lo, s15
	s_cbranch_execz .LBB172_106
; %bb.99:                               ;   in Loop: Header=BB172_98 Depth=2
	s_mov_b32 s17, exec_lo
                                        ; implicit-def: $sgpr16
	v_cmpx_ne_u32_e64 s33, v8
	s_xor_b32 s17, exec_lo, s17
; %bb.100:                              ;   in Loop: Header=BB172_98 Depth=2
	v_add_nc_u32_e32 v2, 1, v7
	s_mov_b32 s16, -1
	s_delay_alu instid0(VALU_DEP_1)
	v_and_b32_e32 v7, 0xff, v2
                                        ; implicit-def: $vgpr2
; %bb.101:                              ;   in Loop: Header=BB172_98 Depth=2
	s_and_not1_saveexec_b32 s17, s17
	s_cbranch_execz .LBB172_105
; %bb.102:                              ;   in Loop: Header=BB172_98 Depth=2
	v_mov_b32_e32 v8, s33
	s_mov_b32 s18, -1
	s_mov_b32 s19, exec_lo
	ds_cmpstore_rtn_b32 v8, v2, v3, v8
	s_waitcnt lgkmcnt(0)
	v_cmpx_eq_u32_e64 s33, v8
	s_cbranch_execz .LBB172_104
; %bb.103:                              ;   in Loop: Header=BB172_98 Depth=2
	v_mad_u64_u32 v[12:13], null, v7, 12, v[2:3]
	s_xor_b32 s18, exec_lo, -1
	ds_add_f32 v12, v6 offset:1032
.LBB172_104:                            ;   in Loop: Header=BB172_98 Depth=2
	s_or_b32 exec_lo, exec_lo, s19
	s_delay_alu instid0(SALU_CYCLE_1) | instskip(SKIP_1) | instid1(SALU_CYCLE_1)
	s_and_not1_b32 s16, s16, exec_lo
	s_and_b32 s18, s18, exec_lo
	s_or_b32 s16, s16, s18
.LBB172_105:                            ;   in Loop: Header=BB172_98 Depth=2
	s_or_b32 exec_lo, exec_lo, s17
	s_delay_alu instid0(SALU_CYCLE_1)
	s_and_b32 s16, s16, exec_lo
                                        ; implicit-def: $vgpr2
.LBB172_106:                            ;   in Loop: Header=BB172_98 Depth=2
	s_and_not1_saveexec_b32 s15, s15
	s_cbranch_execz .LBB172_97
; %bb.107:                              ;   in Loop: Header=BB172_98 Depth=2
	v_mad_u64_u32 v[12:13], null, v7, 12, v[2:3]
	s_and_not1_b32 s16, s16, exec_lo
	ds_add_f32 v12, v6 offset:1032
	s_branch .LBB172_97
.LBB172_108:                            ;   in Loop: Header=BB172_72 Depth=1
	s_or_b32 exec_lo, exec_lo, s14
	s_waitcnt vmcnt(0)
	v_mul_f32_e32 v5, v10, v5
	s_mov_b32 s14, 0
	s_branch .LBB172_110
.LBB172_109:                            ;   in Loop: Header=BB172_110 Depth=2
	s_or_b32 exec_lo, exec_lo, s15
	s_xor_b32 s15, s16, -1
	s_delay_alu instid0(SALU_CYCLE_1) | instskip(NEXT) | instid1(SALU_CYCLE_1)
	s_and_b32 s15, exec_lo, s15
	s_or_b32 s14, s15, s14
	s_delay_alu instid0(SALU_CYCLE_1)
	s_and_not1_b32 exec_lo, exec_lo, s14
	s_cbranch_execz .LBB172_71
.LBB172_110:                            ;   Parent Loop BB172_72 Depth=1
                                        ; =>  This Inner Loop Header: Depth=2
	v_lshl_add_u32 v2, v4, 2, 0
	s_mov_b32 s15, exec_lo
                                        ; implicit-def: $sgpr16
	ds_load_b32 v6, v2
	s_waitcnt lgkmcnt(0)
	v_cmpx_ne_u32_e64 v6, v3
	s_xor_b32 s15, exec_lo, s15
	s_cbranch_execz .LBB172_118
; %bb.111:                              ;   in Loop: Header=BB172_110 Depth=2
	s_mov_b32 s17, exec_lo
                                        ; implicit-def: $sgpr16
	v_cmpx_ne_u32_e64 s33, v6
	s_xor_b32 s17, exec_lo, s17
; %bb.112:                              ;   in Loop: Header=BB172_110 Depth=2
	v_add_nc_u32_e32 v2, 1, v4
	s_mov_b32 s16, -1
	s_delay_alu instid0(VALU_DEP_1)
	v_and_b32_e32 v4, 0xff, v2
                                        ; implicit-def: $vgpr2
; %bb.113:                              ;   in Loop: Header=BB172_110 Depth=2
	s_and_not1_saveexec_b32 s17, s17
	s_cbranch_execz .LBB172_117
; %bb.114:                              ;   in Loop: Header=BB172_110 Depth=2
	v_mov_b32_e32 v6, s33
	s_mov_b32 s18, -1
	s_mov_b32 s19, exec_lo
	ds_cmpstore_rtn_b32 v6, v2, v3, v6
	s_waitcnt lgkmcnt(0)
	v_cmpx_eq_u32_e64 s33, v6
	s_cbranch_execz .LBB172_116
; %bb.115:                              ;   in Loop: Header=BB172_110 Depth=2
	v_mad_u64_u32 v[6:7], null, v4, 12, v[2:3]
	s_xor_b32 s18, exec_lo, -1
	ds_add_f32 v6, v5 offset:1036
.LBB172_116:                            ;   in Loop: Header=BB172_110 Depth=2
	s_or_b32 exec_lo, exec_lo, s19
	s_delay_alu instid0(SALU_CYCLE_1) | instskip(SKIP_1) | instid1(SALU_CYCLE_1)
	s_and_not1_b32 s16, s16, exec_lo
	s_and_b32 s18, s18, exec_lo
	s_or_b32 s16, s16, s18
.LBB172_117:                            ;   in Loop: Header=BB172_110 Depth=2
	s_or_b32 exec_lo, exec_lo, s17
	s_delay_alu instid0(SALU_CYCLE_1)
	s_and_b32 s16, s16, exec_lo
                                        ; implicit-def: $vgpr2
.LBB172_118:                            ;   in Loop: Header=BB172_110 Depth=2
	s_and_not1_saveexec_b32 s15, s15
	s_cbranch_execz .LBB172_109
; %bb.119:                              ;   in Loop: Header=BB172_110 Depth=2
	v_mad_u64_u32 v[6:7], null, v4, 12, v[2:3]
	s_and_not1_b32 s16, s16, exec_lo
	ds_add_f32 v6, v5 offset:1036
	s_branch .LBB172_109
.LBB172_120:
	s_or_b32 exec_lo, exec_lo, s4
.LBB172_121:
	s_waitcnt lgkmcnt(0)
	s_barrier
	buffer_gl0_inv
	s_and_saveexec_b32 s0, s2
	s_cbranch_execz .LBB172_126
; %bb.122:
	ds_load_b32 v2, v11
	s_mov_b32 s1, 0
	s_waitcnt lgkmcnt(0)
	v_cmp_gt_i32_e32 vcc_lo, s33, v2
	s_and_b32 exec_lo, exec_lo, vcc_lo
	s_cbranch_execz .LBB172_126
; %bb.123:
	s_lshl_b64 s[4:5], s[34:35], 3
	s_delay_alu instid0(SALU_CYCLE_1)
	s_add_u32 s4, s10, s4
	s_addc_u32 s5, s11, s5
	s_load_b64 s[4:5], s[4:5], 0x0
	s_waitcnt lgkmcnt(0)
	s_sub_u32 s4, s4, s22
	s_subb_u32 s5, s5, 0
	s_delay_alu instid0(SALU_CYCLE_1)
	v_dual_mov_b32 v0, s4 :: v_dual_mov_b32 v1, s5
.LBB172_124:                            ; =>This Inner Loop Header: Depth=1
	s_add_i32 s0, s1, 0
	s_add_i32 s1, s1, 64
	v_mov_b32_e32 v18, s0
	s_cmpk_lg_i32 s1, 0x400
	ds_load_2addr_b32 v[3:4], v18 offset1:1
	ds_load_2addr_b32 v[5:6], v18 offset0:2 offset1:3
	ds_load_2addr_b32 v[7:8], v18 offset0:4 offset1:5
	;; [unrolled: 1-line block ×7, first 2 shown]
	s_waitcnt lgkmcnt(7)
	v_cmp_gt_i32_e32 vcc_lo, v2, v3
	v_cndmask_b32_e64 v3, 0, 1, vcc_lo
	v_cmp_gt_i32_e32 vcc_lo, v2, v4
	v_cndmask_b32_e64 v4, 0, 1, vcc_lo
	s_waitcnt lgkmcnt(6)
	v_cmp_gt_i32_e32 vcc_lo, v2, v5
	v_cndmask_b32_e64 v5, 0, 1, vcc_lo
	v_cmp_gt_i32_e32 vcc_lo, v2, v6
	v_cndmask_b32_e64 v6, 0, 1, vcc_lo
	;; [unrolled: 5-line block ×4, first 2 shown]
	s_waitcnt lgkmcnt(3)
	v_cmp_gt_i32_e32 vcc_lo, v2, v12
	v_cndmask_b32_e64 v12, 0, 1, vcc_lo
	v_add_co_u32 v0, vcc_lo, v0, v3
	v_add_co_ci_u32_e32 v1, vcc_lo, 0, v1, vcc_lo
	v_cmp_gt_i32_e32 vcc_lo, v2, v13
	s_delay_alu instid0(VALU_DEP_3) | instskip(NEXT) | instid1(VALU_DEP_1)
	v_add_co_u32 v0, s0, v0, v4
	v_add_co_ci_u32_e64 v1, s0, 0, v1, s0
	v_cndmask_b32_e64 v3, 0, 1, vcc_lo
	s_delay_alu instid0(VALU_DEP_3) | instskip(NEXT) | instid1(VALU_DEP_3)
	v_add_co_u32 v0, vcc_lo, v0, v5
	v_add_co_ci_u32_e32 v1, vcc_lo, 0, v1, vcc_lo
	s_waitcnt lgkmcnt(2)
	v_cmp_gt_i32_e32 vcc_lo, v2, v14
	s_delay_alu instid0(VALU_DEP_3) | instskip(NEXT) | instid1(VALU_DEP_1)
	v_add_co_u32 v0, s0, v0, v6
	v_add_co_ci_u32_e64 v1, s0, 0, v1, s0
	v_cndmask_b32_e64 v4, 0, 1, vcc_lo
	s_delay_alu instid0(VALU_DEP_3) | instskip(NEXT) | instid1(VALU_DEP_3)
	v_add_co_u32 v0, vcc_lo, v0, v7
	v_add_co_ci_u32_e32 v1, vcc_lo, 0, v1, vcc_lo
	v_cmp_gt_i32_e32 vcc_lo, v2, v15
	s_delay_alu instid0(VALU_DEP_3) | instskip(NEXT) | instid1(VALU_DEP_1)
	v_add_co_u32 v0, s0, v0, v8
	v_add_co_ci_u32_e64 v1, s0, 0, v1, s0
	v_cndmask_b32_e64 v5, 0, 1, vcc_lo
	s_delay_alu instid0(VALU_DEP_3) | instskip(NEXT) | instid1(VALU_DEP_3)
	v_add_co_u32 v0, vcc_lo, v0, v10
	v_add_co_ci_u32_e32 v1, vcc_lo, 0, v1, vcc_lo
	s_waitcnt lgkmcnt(1)
	v_cmp_gt_i32_e32 vcc_lo, v2, v16
	s_delay_alu instid0(VALU_DEP_3) | instskip(NEXT) | instid1(VALU_DEP_1)
	v_add_co_u32 v0, s0, v0, v11
	v_add_co_ci_u32_e64 v1, s0, 0, v1, s0
	v_cndmask_b32_e64 v6, 0, 1, vcc_lo
	s_delay_alu instid0(VALU_DEP_3) | instskip(NEXT) | instid1(VALU_DEP_3)
	;; [unrolled: 17-line block ×3, first 2 shown]
	v_add_co_u32 v0, vcc_lo, v0, v6
	v_add_co_ci_u32_e32 v1, vcc_lo, 0, v1, vcc_lo
	v_cmp_gt_i32_e32 vcc_lo, v2, v19
	s_delay_alu instid0(VALU_DEP_3) | instskip(NEXT) | instid1(VALU_DEP_1)
	v_add_co_u32 v0, s0, v0, v3
	v_add_co_ci_u32_e64 v1, s0, 0, v1, s0
	v_cndmask_b32_e64 v3, 0, 1, vcc_lo
	s_delay_alu instid0(VALU_DEP_3) | instskip(NEXT) | instid1(VALU_DEP_3)
	v_add_co_u32 v0, vcc_lo, v0, v4
	v_add_co_ci_u32_e32 v1, vcc_lo, 0, v1, vcc_lo
	s_delay_alu instid0(VALU_DEP_2) | instskip(NEXT) | instid1(VALU_DEP_2)
	v_add_co_u32 v0, vcc_lo, v0, v3
	v_add_co_ci_u32_e32 v1, vcc_lo, 0, v1, vcc_lo
	s_cbranch_scc1 .LBB172_124
; %bb.125:
	s_cmp_eq_u32 s3, 0
	v_lshlrev_b32_e32 v3, 2, v9
	s_cselect_b32 s0, 2, 1
	s_cselect_b32 s1, 1, 2
	v_or_b32_e32 v4, s0, v9
	v_or_b32_e32 v5, s1, v9
	v_add_nc_u32_e32 v6, 0, v3
	v_add3_u32 v8, 0, 0x400, v3
	v_add_nc_u32_e32 v2, s22, v2
	v_lshl_add_u32 v4, v4, 2, 0
	v_lshl_add_u32 v7, v5, 2, 0
	ds_load_b32 v3, v6 offset:1024
	ds_load_b32 v5, v4 offset:1024
	;; [unrolled: 1-line block ×4, first 2 shown]
	v_lshlrev_b64 v[7:8], 2, v[0:1]
	v_lshlrev_b64 v[0:1], 4, v[0:1]
	s_delay_alu instid0(VALU_DEP_2) | instskip(NEXT) | instid1(VALU_DEP_3)
	v_add_co_u32 v7, vcc_lo, s24, v7
	v_add_co_ci_u32_e32 v8, vcc_lo, s25, v8, vcc_lo
	s_delay_alu instid0(VALU_DEP_3) | instskip(NEXT) | instid1(VALU_DEP_4)
	v_add_co_u32 v0, vcc_lo, s26, v0
	v_add_co_ci_u32_e32 v1, vcc_lo, s27, v1, vcc_lo
	global_store_b32 v[7:8], v2, off
	s_waitcnt lgkmcnt(0)
	global_store_b128 v[0:1], v[3:6], off
.LBB172_126:
	s_nop 0
	s_sendmsg sendmsg(MSG_DEALLOC_VGPRS)
	s_endpgm
	.section	.rodata,"a",@progbits
	.p2align	6, 0x0
	.amdhsa_kernel _ZN9rocsparseL30bsrgemm_fill_block_per_row_2x2ILj256ELj16ELj256ELj137ElifEEv20rocsparse_direction_T4_S2_PKS2_S4_NS_24const_host_device_scalarIT5_EEPKT3_S4_PKS6_SA_S4_SC_S7_SA_S4_SC_SA_PS2_PS6_21rocsparse_index_base_SF_SF_SF_bbb
		.amdhsa_group_segment_fixed_size 0
		.amdhsa_private_segment_fixed_size 0
		.amdhsa_kernarg_size 164
		.amdhsa_user_sgpr_count 15
		.amdhsa_user_sgpr_dispatch_ptr 0
		.amdhsa_user_sgpr_queue_ptr 0
		.amdhsa_user_sgpr_kernarg_segment_ptr 1
		.amdhsa_user_sgpr_dispatch_id 0
		.amdhsa_user_sgpr_private_segment_size 0
		.amdhsa_wavefront_size32 1
		.amdhsa_uses_dynamic_stack 0
		.amdhsa_enable_private_segment 0
		.amdhsa_system_sgpr_workgroup_id_x 1
		.amdhsa_system_sgpr_workgroup_id_y 0
		.amdhsa_system_sgpr_workgroup_id_z 0
		.amdhsa_system_sgpr_workgroup_info 0
		.amdhsa_system_vgpr_workitem_id 0
		.amdhsa_next_free_vgpr 28
		.amdhsa_next_free_sgpr 48
		.amdhsa_reserve_vcc 1
		.amdhsa_float_round_mode_32 0
		.amdhsa_float_round_mode_16_64 0
		.amdhsa_float_denorm_mode_32 3
		.amdhsa_float_denorm_mode_16_64 3
		.amdhsa_dx10_clamp 1
		.amdhsa_ieee_mode 1
		.amdhsa_fp16_overflow 0
		.amdhsa_workgroup_processor_mode 1
		.amdhsa_memory_ordered 1
		.amdhsa_forward_progress 0
		.amdhsa_shared_vgpr_count 0
		.amdhsa_exception_fp_ieee_invalid_op 0
		.amdhsa_exception_fp_denorm_src 0
		.amdhsa_exception_fp_ieee_div_zero 0
		.amdhsa_exception_fp_ieee_overflow 0
		.amdhsa_exception_fp_ieee_underflow 0
		.amdhsa_exception_fp_ieee_inexact 0
		.amdhsa_exception_int_div_zero 0
	.end_amdhsa_kernel
	.section	.text._ZN9rocsparseL30bsrgemm_fill_block_per_row_2x2ILj256ELj16ELj256ELj137ElifEEv20rocsparse_direction_T4_S2_PKS2_S4_NS_24const_host_device_scalarIT5_EEPKT3_S4_PKS6_SA_S4_SC_S7_SA_S4_SC_SA_PS2_PS6_21rocsparse_index_base_SF_SF_SF_bbb,"axG",@progbits,_ZN9rocsparseL30bsrgemm_fill_block_per_row_2x2ILj256ELj16ELj256ELj137ElifEEv20rocsparse_direction_T4_S2_PKS2_S4_NS_24const_host_device_scalarIT5_EEPKT3_S4_PKS6_SA_S4_SC_S7_SA_S4_SC_SA_PS2_PS6_21rocsparse_index_base_SF_SF_SF_bbb,comdat
.Lfunc_end172:
	.size	_ZN9rocsparseL30bsrgemm_fill_block_per_row_2x2ILj256ELj16ELj256ELj137ElifEEv20rocsparse_direction_T4_S2_PKS2_S4_NS_24const_host_device_scalarIT5_EEPKT3_S4_PKS6_SA_S4_SC_S7_SA_S4_SC_SA_PS2_PS6_21rocsparse_index_base_SF_SF_SF_bbb, .Lfunc_end172-_ZN9rocsparseL30bsrgemm_fill_block_per_row_2x2ILj256ELj16ELj256ELj137ElifEEv20rocsparse_direction_T4_S2_PKS2_S4_NS_24const_host_device_scalarIT5_EEPKT3_S4_PKS6_SA_S4_SC_S7_SA_S4_SC_SA_PS2_PS6_21rocsparse_index_base_SF_SF_SF_bbb
                                        ; -- End function
	.section	.AMDGPU.csdata,"",@progbits
; Kernel info:
; codeLenInByte = 4476
; NumSgprs: 50
; NumVgprs: 28
; ScratchSize: 0
; MemoryBound: 0
; FloatMode: 240
; IeeeMode: 1
; LDSByteSize: 0 bytes/workgroup (compile time only)
; SGPRBlocks: 6
; VGPRBlocks: 3
; NumSGPRsForWavesPerEU: 50
; NumVGPRsForWavesPerEU: 28
; Occupancy: 16
; WaveLimiterHint : 1
; COMPUTE_PGM_RSRC2:SCRATCH_EN: 0
; COMPUTE_PGM_RSRC2:USER_SGPR: 15
; COMPUTE_PGM_RSRC2:TRAP_HANDLER: 0
; COMPUTE_PGM_RSRC2:TGID_X_EN: 1
; COMPUTE_PGM_RSRC2:TGID_Y_EN: 0
; COMPUTE_PGM_RSRC2:TGID_Z_EN: 0
; COMPUTE_PGM_RSRC2:TIDIG_COMP_CNT: 0
	.section	.text._ZN9rocsparseL30bsrgemm_fill_block_per_row_2x2ILj256ELj16ELj512ELj137ElifEEv20rocsparse_direction_T4_S2_PKS2_S4_NS_24const_host_device_scalarIT5_EEPKT3_S4_PKS6_SA_S4_SC_S7_SA_S4_SC_SA_PS2_PS6_21rocsparse_index_base_SF_SF_SF_bbb,"axG",@progbits,_ZN9rocsparseL30bsrgemm_fill_block_per_row_2x2ILj256ELj16ELj512ELj137ElifEEv20rocsparse_direction_T4_S2_PKS2_S4_NS_24const_host_device_scalarIT5_EEPKT3_S4_PKS6_SA_S4_SC_S7_SA_S4_SC_SA_PS2_PS6_21rocsparse_index_base_SF_SF_SF_bbb,comdat
	.globl	_ZN9rocsparseL30bsrgemm_fill_block_per_row_2x2ILj256ELj16ELj512ELj137ElifEEv20rocsparse_direction_T4_S2_PKS2_S4_NS_24const_host_device_scalarIT5_EEPKT3_S4_PKS6_SA_S4_SC_S7_SA_S4_SC_SA_PS2_PS6_21rocsparse_index_base_SF_SF_SF_bbb ; -- Begin function _ZN9rocsparseL30bsrgemm_fill_block_per_row_2x2ILj256ELj16ELj512ELj137ElifEEv20rocsparse_direction_T4_S2_PKS2_S4_NS_24const_host_device_scalarIT5_EEPKT3_S4_PKS6_SA_S4_SC_S7_SA_S4_SC_SA_PS2_PS6_21rocsparse_index_base_SF_SF_SF_bbb
	.p2align	8
	.type	_ZN9rocsparseL30bsrgemm_fill_block_per_row_2x2ILj256ELj16ELj512ELj137ElifEEv20rocsparse_direction_T4_S2_PKS2_S4_NS_24const_host_device_scalarIT5_EEPKT3_S4_PKS6_SA_S4_SC_S7_SA_S4_SC_SA_PS2_PS6_21rocsparse_index_base_SF_SF_SF_bbb,@function
_ZN9rocsparseL30bsrgemm_fill_block_per_row_2x2ILj256ELj16ELj512ELj137ElifEEv20rocsparse_direction_T4_S2_PKS2_S4_NS_24const_host_device_scalarIT5_EEPKT3_S4_PKS6_SA_S4_SC_S7_SA_S4_SC_SA_PS2_PS6_21rocsparse_index_base_SF_SF_SF_bbb: ; @_ZN9rocsparseL30bsrgemm_fill_block_per_row_2x2ILj256ELj16ELj512ELj137ElifEEv20rocsparse_direction_T4_S2_PKS2_S4_NS_24const_host_device_scalarIT5_EEPKT3_S4_PKS6_SA_S4_SC_S7_SA_S4_SC_SA_PS2_PS6_21rocsparse_index_base_SF_SF_SF_bbb
; %bb.0:
	s_clause 0x2
	s_load_b32 s6, s[0:1], 0xa0
	s_load_b64 s[4:5], s[0:1], 0x20
	s_load_b64 s[2:3], s[0:1], 0x58
	s_mov_b32 s34, s15
	s_waitcnt lgkmcnt(0)
	s_bitcmp1_b32 s6, 0
	s_cselect_b32 s35, -1, 0
	s_bitcmp1_b32 s6, 16
	s_cselect_b32 s7, -1, 0
	s_xor_b32 s8, s35, -1
	s_delay_alu instid0(SALU_CYCLE_1) | instskip(NEXT) | instid1(SALU_CYCLE_1)
	s_or_b32 s8, s8, s7
	s_and_b32 vcc_lo, exec_lo, s8
	s_cbranch_vccnz .LBB173_2
; %bb.1:
	s_load_b32 s4, s[4:5], 0x0
	s_waitcnt lgkmcnt(0)
	v_mov_b32_e32 v10, s4
	s_branch .LBB173_3
.LBB173_2:
	v_cndmask_b32_e64 v10, 0, s4, s35
.LBB173_3:
	s_bitcmp1_b32 s6, 8
	s_cselect_b32 s40, -1, 0
	s_delay_alu instid0(SALU_CYCLE_1) | instskip(NEXT) | instid1(SALU_CYCLE_1)
	s_xor_b32 s4, s40, -1
	s_or_b32 s4, s4, s7
	s_delay_alu instid0(SALU_CYCLE_1)
	s_and_b32 vcc_lo, exec_lo, s4
	s_cbranch_vccnz .LBB173_5
; %bb.4:
	s_load_b32 s2, s[2:3], 0x0
	s_waitcnt lgkmcnt(0)
	v_mov_b32_e32 v9, s2
	s_branch .LBB173_6
.LBB173_5:
	v_cndmask_b32_e64 v9, 0, s2, s40
.LBB173_6:
	s_clause 0x1
	s_load_b128 s[20:23], s[0:1], 0x90
	s_load_b32 s33, s[0:1], 0x8
	v_cmp_gt_u32_e64 s2, 0x200, v0
	v_lshlrev_b32_e32 v2, 2, v0
	v_or_b32_e32 v1, 0xffffff00, v0
	s_mov_b32 s3, exec_lo
	v_cmpx_lt_u32_e32 0x1ff, v0
	s_xor_b32 s3, exec_lo, s3
; %bb.7:
	v_lshlrev_b32_e32 v2, 2, v0
	v_or_b32_e32 v1, 0xffffff00, v0
; %bb.8:
	s_or_saveexec_b32 s3, s3
	s_clause 0x4
	s_load_b128 s[24:27], s[0:1], 0x80
	s_load_b256 s[4:11], s[0:1], 0x60
	s_load_b128 s[28:31], s[0:1], 0x48
	s_load_b128 s[36:39], s[0:1], 0x10
	s_load_b256 s[12:19], s[0:1], 0x28
	s_xor_b32 exec_lo, exec_lo, s3
	s_cbranch_execz .LBB173_12
; %bb.9:
	s_waitcnt lgkmcnt(0)
	v_dual_mov_b32 v4, s33 :: v_dual_add_nc_u32 v3, 0, v2
	v_mov_b32_e32 v5, v1
	s_mov_b32 s41, 0
.LBB173_10:                             ; =>This Inner Loop Header: Depth=1
	s_delay_alu instid0(VALU_DEP_1) | instskip(NEXT) | instid1(VALU_DEP_1)
	v_add_co_u32 v5, s42, 0x100, v5
	s_xor_b32 s42, s42, -1
	ds_store_b32 v3, v4
	v_add_nc_u32_e32 v3, 0x400, v3
	s_and_b32 s42, exec_lo, s42
	s_delay_alu instid0(SALU_CYCLE_1) | instskip(NEXT) | instid1(SALU_CYCLE_1)
	s_or_b32 s41, s42, s41
	s_and_not1_b32 exec_lo, exec_lo, s41
	s_cbranch_execnz .LBB173_10
; %bb.11:
	s_or_b32 exec_lo, exec_lo, s41
.LBB173_12:
	s_delay_alu instid0(SALU_CYCLE_1)
	s_or_b32 exec_lo, exec_lo, s3
	v_add3_u32 v2, v2, 0, 0x800
	v_mov_b32_e32 v3, 0
	s_mov_b32 s3, 0
.LBB173_13:                             ; =>This Inner Loop Header: Depth=1
	v_add_nc_u32_e32 v1, 0x100, v1
	ds_store_b32 v2, v3
	v_add_nc_u32_e32 v2, 0x400, v2
	v_cmp_lt_u32_e32 vcc_lo, 0x6ff, v1
	s_or_b32 s3, vcc_lo, s3
	s_delay_alu instid0(SALU_CYCLE_1)
	s_and_not1_b32 exec_lo, exec_lo, s3
	s_cbranch_execnz .LBB173_13
; %bb.14:
	s_or_b32 exec_lo, exec_lo, s3
	s_waitcnt lgkmcnt(0)
	s_cmp_lg_u64 s[38:39], 0
	s_barrier
	buffer_gl0_inv
	s_cbranch_scc0 .LBB173_16
; %bb.15:
	s_load_b32 s3, s[36:37], 0x0
	s_mov_b32 s37, 0
	s_waitcnt lgkmcnt(0)
	s_add_i32 s36, s3, s34
	s_delay_alu instid0(SALU_CYCLE_1) | instskip(NEXT) | instid1(SALU_CYCLE_1)
	s_lshl_b64 s[36:37], s[36:37], 2
	s_add_u32 s36, s38, s36
	s_addc_u32 s37, s39, s37
	s_load_b32 s34, s[36:37], 0x0
.LBB173_16:
	s_load_b32 s36, s[0:1], 0x0
	s_and_not1_b32 vcc_lo, exec_lo, s35
	s_waitcnt lgkmcnt(0)
	s_ashr_i32 s35, s34, 31
	s_cbranch_vccnz .LBB173_72
; %bb.17:
	s_lshl_b64 s[0:1], s[34:35], 3
	v_lshrrev_b32_e32 v1, 4, v0
	s_add_u32 s0, s12, s0
	s_addc_u32 s1, s13, s1
	s_mov_b32 s12, 0
	s_load_b128 s[44:47], s[0:1], 0x0
	v_sub_co_u32 v1, s0, v1, s20
	s_delay_alu instid0(VALU_DEP_1) | instskip(SKIP_2) | instid1(VALU_DEP_2)
	v_sub_co_ci_u32_e64 v2, null, 0, 0, s0
	s_mov_b32 s3, exec_lo
	s_waitcnt lgkmcnt(0)
	v_add_co_u32 v1, vcc_lo, s44, v1
	s_delay_alu instid0(VALU_DEP_2)
	v_add_co_ci_u32_e32 v2, vcc_lo, s45, v2, vcc_lo
	s_sub_u32 s0, s46, s20
	s_subb_u32 s1, s47, 0
	s_delay_alu instid0(VALU_DEP_1) | instid1(SALU_CYCLE_1)
	v_cmpx_gt_i64_e64 s[0:1], v[1:2]
	s_cbranch_execz .LBB173_71
; %bb.18:
	v_and_b32_e32 v3, 15, v0
	s_cmp_eq_u32 s36, 0
	s_cselect_b32 s37, 1, 2
	s_cselect_b32 s38, 2, 1
	s_delay_alu instid0(VALU_DEP_1) | instskip(NEXT) | instid1(VALU_DEP_1)
	v_sub_co_u32 v11, s13, v3, s21
	v_sub_co_ci_u32_e64 v12, null, 0, 0, s13
	s_mov_b32 s13, s21
	s_branch .LBB173_20
.LBB173_19:                             ;   in Loop: Header=BB173_20 Depth=1
	s_or_b32 exec_lo, exec_lo, s39
	v_add_co_u32 v1, vcc_lo, v1, 16
	v_add_co_ci_u32_e32 v2, vcc_lo, 0, v2, vcc_lo
	s_delay_alu instid0(VALU_DEP_1) | instskip(SKIP_1) | instid1(SALU_CYCLE_1)
	v_cmp_le_i64_e32 vcc_lo, s[0:1], v[1:2]
	s_or_b32 s12, vcc_lo, s12
	s_and_not1_b32 exec_lo, exec_lo, s12
	s_cbranch_execz .LBB173_71
.LBB173_20:                             ; =>This Loop Header: Depth=1
                                        ;     Child Loop BB173_23 Depth 2
                                        ;       Child Loop BB173_25 Depth 3
                                        ;       Child Loop BB173_37 Depth 3
	;; [unrolled: 1-line block ×4, first 2 shown]
	v_lshlrev_b64 v[7:8], 2, v[1:2]
	s_mov_b32 s39, exec_lo
	s_delay_alu instid0(VALU_DEP_1) | instskip(NEXT) | instid1(VALU_DEP_2)
	v_add_co_u32 v3, vcc_lo, s14, v7
	v_add_co_ci_u32_e32 v4, vcc_lo, s15, v8, vcc_lo
	global_load_b32 v3, v[3:4], off
	s_waitcnt vmcnt(0)
	v_subrev_nc_u32_e32 v3, s20, v3
	s_delay_alu instid0(VALU_DEP_1) | instskip(NEXT) | instid1(VALU_DEP_1)
	v_ashrrev_i32_e32 v4, 31, v3
	v_lshlrev_b64 v[3:4], 3, v[3:4]
	s_delay_alu instid0(VALU_DEP_1) | instskip(NEXT) | instid1(VALU_DEP_2)
	v_add_co_u32 v3, vcc_lo, s18, v3
	v_add_co_ci_u32_e32 v4, vcc_lo, s19, v4, vcc_lo
	global_load_b128 v[13:16], v[3:4], off
	s_waitcnt vmcnt(0)
	v_sub_co_u32 v3, vcc_lo, v15, s13
	v_subrev_co_ci_u32_e32 v4, vcc_lo, 0, v16, vcc_lo
	v_add_co_u32 v5, vcc_lo, v13, v11
	v_add_co_ci_u32_e32 v6, vcc_lo, v14, v12, vcc_lo
	s_delay_alu instid0(VALU_DEP_1)
	v_cmpx_lt_i64_e64 v[5:6], v[3:4]
	s_cbranch_execz .LBB173_19
; %bb.21:                               ;   in Loop: Header=BB173_20 Depth=1
	v_or_b32_e32 v14, 0, v8
	v_or_b32_e32 v13, s38, v7
	v_lshlrev_b64 v[15:16], 4, v[1:2]
	v_or_b32_e32 v8, 0, v8
	v_or_b32_e32 v7, s37, v7
	s_mov_b32 s41, 0
	v_lshlrev_b64 v[13:14], 2, v[13:14]
	s_delay_alu instid0(VALU_DEP_4) | instskip(NEXT) | instid1(VALU_DEP_3)
	v_add_co_u32 v15, vcc_lo, s16, v15
	v_lshlrev_b64 v[7:8], 2, v[7:8]
	v_add_co_ci_u32_e32 v16, vcc_lo, s17, v16, vcc_lo
	s_delay_alu instid0(VALU_DEP_4) | instskip(SKIP_1) | instid1(VALU_DEP_4)
	v_add_co_u32 v13, vcc_lo, s16, v13
	v_add_co_ci_u32_e32 v14, vcc_lo, s17, v14, vcc_lo
	v_add_co_u32 v7, vcc_lo, s16, v7
	v_add_co_ci_u32_e32 v8, vcc_lo, s17, v8, vcc_lo
	s_clause 0x3
	global_load_b32 v17, v[15:16], off offset:12
	global_load_b32 v13, v[13:14], off
	global_load_b32 v7, v[7:8], off
	;; [unrolled: 1-line block ×3, first 2 shown]
	s_waitcnt vmcnt(3)
	v_mul_f32_e32 v8, v10, v17
	s_waitcnt vmcnt(2)
	v_mul_f32_e32 v13, v10, v13
	;; [unrolled: 2-line block ×4, first 2 shown]
	s_branch .LBB173_23
.LBB173_22:                             ;   in Loop: Header=BB173_23 Depth=2
	s_or_b32 exec_lo, exec_lo, s42
	v_add_co_u32 v5, vcc_lo, v5, 16
	v_add_co_ci_u32_e32 v6, vcc_lo, 0, v6, vcc_lo
	s_delay_alu instid0(VALU_DEP_1) | instskip(SKIP_1) | instid1(SALU_CYCLE_1)
	v_cmp_ge_i64_e32 vcc_lo, v[5:6], v[3:4]
	s_or_b32 s41, vcc_lo, s41
	s_and_not1_b32 exec_lo, exec_lo, s41
	s_cbranch_execz .LBB173_19
.LBB173_23:                             ;   Parent Loop BB173_20 Depth=1
                                        ; =>  This Loop Header: Depth=2
                                        ;       Child Loop BB173_25 Depth 3
                                        ;       Child Loop BB173_37 Depth 3
	;; [unrolled: 1-line block ×4, first 2 shown]
	v_lshlrev_b64 v[16:17], 2, v[5:6]
	v_lshlrev_b64 v[22:23], 4, v[5:6]
	s_mov_b32 s42, 0
	s_delay_alu instid0(VALU_DEP_2) | instskip(NEXT) | instid1(VALU_DEP_3)
	v_add_co_u32 v20, vcc_lo, s28, v16
	v_or_b32_e32 v19, 0, v17
	v_or_b32_e32 v18, s38, v16
	v_add_co_ci_u32_e32 v21, vcc_lo, s29, v17, vcc_lo
	v_or_b32_e32 v17, 0, v17
	v_or_b32_e32 v16, s37, v16
	s_delay_alu instid0(VALU_DEP_4)
	v_lshlrev_b64 v[18:19], 2, v[18:19]
	global_load_b32 v7, v[20:21], off
	v_lshlrev_b64 v[16:17], 2, v[16:17]
	v_add_co_u32 v18, vcc_lo, s30, v18
	v_add_co_ci_u32_e32 v19, vcc_lo, s31, v19, vcc_lo
	v_add_co_u32 v22, vcc_lo, s30, v22
	v_add_co_ci_u32_e32 v23, vcc_lo, s31, v23, vcc_lo
	s_clause 0x1
	global_load_b32 v21, v[18:19], off
	global_load_b32 v20, v[22:23], off
	v_add_co_u32 v16, vcc_lo, s30, v16
	v_add_co_ci_u32_e32 v17, vcc_lo, s31, v17, vcc_lo
	s_clause 0x1
	global_load_b32 v18, v[16:17], off
	global_load_b32 v19, v[22:23], off offset:12
	s_waitcnt vmcnt(4)
	v_subrev_nc_u32_e32 v16, s21, v7
	s_delay_alu instid0(VALU_DEP_1) | instskip(SKIP_1) | instid1(VALU_DEP_1)
	v_mul_lo_u32 v7, 0x89, v16
	s_waitcnt vmcnt(3)
	v_dual_mul_f32 v22, v14, v21 :: v_dual_and_b32 v17, 0x1ff, v7
	s_waitcnt vmcnt(2)
	s_delay_alu instid0(VALU_DEP_1)
	v_dual_mov_b32 v23, v17 :: v_dual_fmac_f32 v22, v15, v20
	s_branch .LBB173_25
.LBB173_24:                             ;   in Loop: Header=BB173_25 Depth=3
	s_or_b32 exec_lo, exec_lo, s43
	s_xor_b32 s43, s44, -1
	s_delay_alu instid0(SALU_CYCLE_1) | instskip(NEXT) | instid1(SALU_CYCLE_1)
	s_and_b32 s43, exec_lo, s43
	s_or_b32 s42, s43, s42
	s_delay_alu instid0(SALU_CYCLE_1)
	s_and_not1_b32 exec_lo, exec_lo, s42
	s_cbranch_execz .LBB173_35
.LBB173_25:                             ;   Parent Loop BB173_20 Depth=1
                                        ;     Parent Loop BB173_23 Depth=2
                                        ; =>    This Inner Loop Header: Depth=3
	s_delay_alu instid0(VALU_DEP_1)
	v_lshl_add_u32 v7, v23, 2, 0
	s_mov_b32 s43, exec_lo
                                        ; implicit-def: $sgpr44
	ds_load_b32 v24, v7
	s_waitcnt lgkmcnt(0)
	v_cmpx_ne_u32_e64 v24, v16
	s_xor_b32 s43, exec_lo, s43
	s_cbranch_execz .LBB173_33
; %bb.26:                               ;   in Loop: Header=BB173_25 Depth=3
	s_mov_b32 s45, exec_lo
                                        ; implicit-def: $sgpr44
	v_cmpx_ne_u32_e64 s33, v24
	s_xor_b32 s45, exec_lo, s45
; %bb.27:                               ;   in Loop: Header=BB173_25 Depth=3
	v_add_nc_u32_e32 v7, 1, v23
	s_mov_b32 s44, -1
	s_delay_alu instid0(VALU_DEP_1)
	v_and_b32_e32 v23, 0x1ff, v7
                                        ; implicit-def: $vgpr7
; %bb.28:                               ;   in Loop: Header=BB173_25 Depth=3
	s_and_not1_saveexec_b32 s45, s45
	s_cbranch_execz .LBB173_32
; %bb.29:                               ;   in Loop: Header=BB173_25 Depth=3
	v_mov_b32_e32 v24, s33
	s_mov_b32 s46, -1
	s_mov_b32 s47, exec_lo
	ds_cmpstore_rtn_b32 v24, v7, v16, v24
	s_waitcnt lgkmcnt(0)
	v_cmpx_eq_u32_e64 s33, v24
	s_cbranch_execz .LBB173_31
; %bb.30:                               ;   in Loop: Header=BB173_25 Depth=3
	v_mad_u64_u32 v[24:25], null, v23, 12, v[7:8]
	s_xor_b32 s46, exec_lo, -1
	ds_add_f32 v24, v22 offset:2048
.LBB173_31:                             ;   in Loop: Header=BB173_25 Depth=3
	s_or_b32 exec_lo, exec_lo, s47
	s_delay_alu instid0(SALU_CYCLE_1) | instskip(SKIP_1) | instid1(SALU_CYCLE_1)
	s_and_not1_b32 s44, s44, exec_lo
	s_and_b32 s46, s46, exec_lo
	s_or_b32 s44, s44, s46
.LBB173_32:                             ;   in Loop: Header=BB173_25 Depth=3
	s_or_b32 exec_lo, exec_lo, s45
	s_delay_alu instid0(SALU_CYCLE_1)
	s_and_b32 s44, s44, exec_lo
                                        ; implicit-def: $vgpr7
.LBB173_33:                             ;   in Loop: Header=BB173_25 Depth=3
	s_and_not1_saveexec_b32 s43, s43
	s_cbranch_execz .LBB173_24
; %bb.34:                               ;   in Loop: Header=BB173_25 Depth=3
	v_mad_u64_u32 v[24:25], null, v23, 12, v[7:8]
	s_and_not1_b32 s44, s44, exec_lo
	ds_add_f32 v24, v22 offset:2048
	s_branch .LBB173_24
.LBB173_35:                             ;   in Loop: Header=BB173_23 Depth=2
	s_or_b32 exec_lo, exec_lo, s42
	s_waitcnt vmcnt(0)
	v_dual_mul_f32 v22, v14, v19 :: v_dual_mov_b32 v23, v17
	s_mov_b32 s42, 0
	s_delay_alu instid0(VALU_DEP_1)
	v_fmac_f32_e32 v22, v15, v18
	s_branch .LBB173_37
.LBB173_36:                             ;   in Loop: Header=BB173_37 Depth=3
	s_or_b32 exec_lo, exec_lo, s43
	s_xor_b32 s43, s44, -1
	s_delay_alu instid0(SALU_CYCLE_1) | instskip(NEXT) | instid1(SALU_CYCLE_1)
	s_and_b32 s43, exec_lo, s43
	s_or_b32 s42, s43, s42
	s_delay_alu instid0(SALU_CYCLE_1)
	s_and_not1_b32 exec_lo, exec_lo, s42
	s_cbranch_execz .LBB173_47
.LBB173_37:                             ;   Parent Loop BB173_20 Depth=1
                                        ;     Parent Loop BB173_23 Depth=2
                                        ; =>    This Inner Loop Header: Depth=3
	s_delay_alu instid0(VALU_DEP_2)
	v_lshl_add_u32 v7, v23, 2, 0
	s_mov_b32 s43, exec_lo
                                        ; implicit-def: $sgpr44
	ds_load_b32 v24, v7
	s_waitcnt lgkmcnt(0)
	v_cmpx_ne_u32_e64 v24, v16
	s_xor_b32 s43, exec_lo, s43
	s_cbranch_execz .LBB173_45
; %bb.38:                               ;   in Loop: Header=BB173_37 Depth=3
	s_mov_b32 s45, exec_lo
                                        ; implicit-def: $sgpr44
	v_cmpx_ne_u32_e64 s33, v24
	s_xor_b32 s45, exec_lo, s45
; %bb.39:                               ;   in Loop: Header=BB173_37 Depth=3
	v_add_nc_u32_e32 v7, 1, v23
	s_mov_b32 s44, -1
	s_delay_alu instid0(VALU_DEP_1)
	v_and_b32_e32 v23, 0x1ff, v7
                                        ; implicit-def: $vgpr7
; %bb.40:                               ;   in Loop: Header=BB173_37 Depth=3
	s_and_not1_saveexec_b32 s45, s45
	s_cbranch_execz .LBB173_44
; %bb.41:                               ;   in Loop: Header=BB173_37 Depth=3
	v_mov_b32_e32 v24, s33
	s_mov_b32 s46, -1
	s_mov_b32 s47, exec_lo
	ds_cmpstore_rtn_b32 v24, v7, v16, v24
	s_waitcnt lgkmcnt(0)
	v_cmpx_eq_u32_e64 s33, v24
	s_cbranch_execz .LBB173_43
; %bb.42:                               ;   in Loop: Header=BB173_37 Depth=3
	v_mad_u64_u32 v[24:25], null, v23, 12, v[7:8]
	s_xor_b32 s46, exec_lo, -1
	ds_add_f32 v24, v22 offset:2052
.LBB173_43:                             ;   in Loop: Header=BB173_37 Depth=3
	s_or_b32 exec_lo, exec_lo, s47
	s_delay_alu instid0(SALU_CYCLE_1) | instskip(SKIP_1) | instid1(SALU_CYCLE_1)
	s_and_not1_b32 s44, s44, exec_lo
	s_and_b32 s46, s46, exec_lo
	s_or_b32 s44, s44, s46
.LBB173_44:                             ;   in Loop: Header=BB173_37 Depth=3
	s_or_b32 exec_lo, exec_lo, s45
	s_delay_alu instid0(SALU_CYCLE_1)
	s_and_b32 s44, s44, exec_lo
                                        ; implicit-def: $vgpr7
.LBB173_45:                             ;   in Loop: Header=BB173_37 Depth=3
	s_and_not1_saveexec_b32 s43, s43
	s_cbranch_execz .LBB173_36
; %bb.46:                               ;   in Loop: Header=BB173_37 Depth=3
	v_mad_u64_u32 v[24:25], null, v23, 12, v[7:8]
	s_and_not1_b32 s44, s44, exec_lo
	ds_add_f32 v24, v22 offset:2052
	s_branch .LBB173_36
.LBB173_47:                             ;   in Loop: Header=BB173_23 Depth=2
	s_or_b32 exec_lo, exec_lo, s42
	v_mul_f32_e32 v21, v8, v21
	s_mov_b32 s42, 0
	s_delay_alu instid0(VALU_DEP_1)
	v_fmac_f32_e32 v21, v13, v20
	v_mov_b32_e32 v20, v17
	s_branch .LBB173_49
.LBB173_48:                             ;   in Loop: Header=BB173_49 Depth=3
	s_or_b32 exec_lo, exec_lo, s43
	s_xor_b32 s43, s44, -1
	s_delay_alu instid0(SALU_CYCLE_1) | instskip(NEXT) | instid1(SALU_CYCLE_1)
	s_and_b32 s43, exec_lo, s43
	s_or_b32 s42, s43, s42
	s_delay_alu instid0(SALU_CYCLE_1)
	s_and_not1_b32 exec_lo, exec_lo, s42
	s_cbranch_execz .LBB173_59
.LBB173_49:                             ;   Parent Loop BB173_20 Depth=1
                                        ;     Parent Loop BB173_23 Depth=2
                                        ; =>    This Inner Loop Header: Depth=3
	s_delay_alu instid0(VALU_DEP_1)
	v_lshl_add_u32 v7, v20, 2, 0
	s_mov_b32 s43, exec_lo
                                        ; implicit-def: $sgpr44
	ds_load_b32 v22, v7
	s_waitcnt lgkmcnt(0)
	v_cmpx_ne_u32_e64 v22, v16
	s_xor_b32 s43, exec_lo, s43
	s_cbranch_execz .LBB173_57
; %bb.50:                               ;   in Loop: Header=BB173_49 Depth=3
	s_mov_b32 s45, exec_lo
                                        ; implicit-def: $sgpr44
	v_cmpx_ne_u32_e64 s33, v22
	s_xor_b32 s45, exec_lo, s45
; %bb.51:                               ;   in Loop: Header=BB173_49 Depth=3
	v_add_nc_u32_e32 v7, 1, v20
	s_mov_b32 s44, -1
	s_delay_alu instid0(VALU_DEP_1)
	v_and_b32_e32 v20, 0x1ff, v7
                                        ; implicit-def: $vgpr7
; %bb.52:                               ;   in Loop: Header=BB173_49 Depth=3
	s_and_not1_saveexec_b32 s45, s45
	s_cbranch_execz .LBB173_56
; %bb.53:                               ;   in Loop: Header=BB173_49 Depth=3
	v_mov_b32_e32 v22, s33
	s_mov_b32 s46, -1
	s_mov_b32 s47, exec_lo
	ds_cmpstore_rtn_b32 v22, v7, v16, v22
	s_waitcnt lgkmcnt(0)
	v_cmpx_eq_u32_e64 s33, v22
	s_cbranch_execz .LBB173_55
; %bb.54:                               ;   in Loop: Header=BB173_49 Depth=3
	v_mad_u64_u32 v[22:23], null, v20, 12, v[7:8]
	s_xor_b32 s46, exec_lo, -1
	ds_add_f32 v22, v21 offset:2056
.LBB173_55:                             ;   in Loop: Header=BB173_49 Depth=3
	s_or_b32 exec_lo, exec_lo, s47
	s_delay_alu instid0(SALU_CYCLE_1) | instskip(SKIP_1) | instid1(SALU_CYCLE_1)
	s_and_not1_b32 s44, s44, exec_lo
	s_and_b32 s46, s46, exec_lo
	s_or_b32 s44, s44, s46
.LBB173_56:                             ;   in Loop: Header=BB173_49 Depth=3
	s_or_b32 exec_lo, exec_lo, s45
	s_delay_alu instid0(SALU_CYCLE_1)
	s_and_b32 s44, s44, exec_lo
                                        ; implicit-def: $vgpr7
.LBB173_57:                             ;   in Loop: Header=BB173_49 Depth=3
	s_and_not1_saveexec_b32 s43, s43
	s_cbranch_execz .LBB173_48
; %bb.58:                               ;   in Loop: Header=BB173_49 Depth=3
	v_mad_u64_u32 v[22:23], null, v20, 12, v[7:8]
	s_and_not1_b32 s44, s44, exec_lo
	ds_add_f32 v22, v21 offset:2056
	s_branch .LBB173_48
.LBB173_59:                             ;   in Loop: Header=BB173_23 Depth=2
	s_or_b32 exec_lo, exec_lo, s42
	v_mul_f32_e32 v19, v8, v19
	s_mov_b32 s42, 0
	s_delay_alu instid0(VALU_DEP_1)
	v_fmac_f32_e32 v19, v13, v18
	s_branch .LBB173_61
.LBB173_60:                             ;   in Loop: Header=BB173_61 Depth=3
	s_or_b32 exec_lo, exec_lo, s43
	s_xor_b32 s43, s44, -1
	s_delay_alu instid0(SALU_CYCLE_1) | instskip(NEXT) | instid1(SALU_CYCLE_1)
	s_and_b32 s43, exec_lo, s43
	s_or_b32 s42, s43, s42
	s_delay_alu instid0(SALU_CYCLE_1)
	s_and_not1_b32 exec_lo, exec_lo, s42
	s_cbranch_execz .LBB173_22
.LBB173_61:                             ;   Parent Loop BB173_20 Depth=1
                                        ;     Parent Loop BB173_23 Depth=2
                                        ; =>    This Inner Loop Header: Depth=3
	v_lshl_add_u32 v7, v17, 2, 0
	s_mov_b32 s43, exec_lo
                                        ; implicit-def: $sgpr44
	ds_load_b32 v18, v7
	s_waitcnt lgkmcnt(0)
	v_cmpx_ne_u32_e64 v18, v16
	s_xor_b32 s43, exec_lo, s43
	s_cbranch_execz .LBB173_69
; %bb.62:                               ;   in Loop: Header=BB173_61 Depth=3
	s_mov_b32 s45, exec_lo
                                        ; implicit-def: $sgpr44
	v_cmpx_ne_u32_e64 s33, v18
	s_xor_b32 s45, exec_lo, s45
; %bb.63:                               ;   in Loop: Header=BB173_61 Depth=3
	v_add_nc_u32_e32 v7, 1, v17
	s_mov_b32 s44, -1
	s_delay_alu instid0(VALU_DEP_1)
	v_and_b32_e32 v17, 0x1ff, v7
                                        ; implicit-def: $vgpr7
; %bb.64:                               ;   in Loop: Header=BB173_61 Depth=3
	s_and_not1_saveexec_b32 s45, s45
	s_cbranch_execz .LBB173_68
; %bb.65:                               ;   in Loop: Header=BB173_61 Depth=3
	v_mov_b32_e32 v18, s33
	s_mov_b32 s46, -1
	s_mov_b32 s47, exec_lo
	ds_cmpstore_rtn_b32 v18, v7, v16, v18
	s_waitcnt lgkmcnt(0)
	v_cmpx_eq_u32_e64 s33, v18
	s_cbranch_execz .LBB173_67
; %bb.66:                               ;   in Loop: Header=BB173_61 Depth=3
	v_mad_u64_u32 v[20:21], null, v17, 12, v[7:8]
	s_xor_b32 s46, exec_lo, -1
	ds_add_f32 v20, v19 offset:2060
.LBB173_67:                             ;   in Loop: Header=BB173_61 Depth=3
	s_or_b32 exec_lo, exec_lo, s47
	s_delay_alu instid0(SALU_CYCLE_1) | instskip(SKIP_1) | instid1(SALU_CYCLE_1)
	s_and_not1_b32 s44, s44, exec_lo
	s_and_b32 s46, s46, exec_lo
	s_or_b32 s44, s44, s46
.LBB173_68:                             ;   in Loop: Header=BB173_61 Depth=3
	s_or_b32 exec_lo, exec_lo, s45
	s_delay_alu instid0(SALU_CYCLE_1)
	s_and_b32 s44, s44, exec_lo
                                        ; implicit-def: $vgpr7
.LBB173_69:                             ;   in Loop: Header=BB173_61 Depth=3
	s_and_not1_saveexec_b32 s43, s43
	s_cbranch_execz .LBB173_60
; %bb.70:                               ;   in Loop: Header=BB173_61 Depth=3
	v_mad_u64_u32 v[20:21], null, v17, 12, v[7:8]
	s_and_not1_b32 s44, s44, exec_lo
	ds_add_f32 v20, v19 offset:2060
	s_branch .LBB173_60
.LBB173_71:
	s_or_b32 exec_lo, exec_lo, s3
.LBB173_72:
	s_delay_alu instid0(SALU_CYCLE_1)
	s_and_not1_b32 vcc_lo, exec_lo, s40
	s_waitcnt lgkmcnt(0)
	s_barrier
	buffer_gl0_inv
	s_cbranch_vccnz .LBB173_125
; %bb.73:
	s_lshl_b64 s[0:1], s[34:35], 3
	s_mov_b32 s3, exec_lo
	s_add_u32 s0, s4, s0
	s_addc_u32 s1, s5, s1
	s_mov_b32 s4, 0
	s_load_b128 s[12:15], s[0:1], 0x0
	v_sub_co_u32 v1, s0, v0, s23
	s_delay_alu instid0(VALU_DEP_1) | instskip(SKIP_1) | instid1(VALU_DEP_2)
	v_sub_co_ci_u32_e64 v2, null, 0, 0, s0
	s_waitcnt lgkmcnt(0)
	v_add_co_u32 v1, vcc_lo, s12, v1
	s_delay_alu instid0(VALU_DEP_2)
	v_add_co_ci_u32_e32 v2, vcc_lo, s13, v2, vcc_lo
	s_sub_u32 s0, s14, s23
	s_subb_u32 s1, s15, 0
	s_delay_alu instid0(VALU_DEP_1) | instid1(SALU_CYCLE_1)
	v_cmpx_gt_i64_e64 s[0:1], v[1:2]
	s_cbranch_execz .LBB173_124
; %bb.74:
	s_cmp_eq_u32 s36, 0
	s_cselect_b32 s5, 1, 2
	s_cselect_b32 s12, 2, 1
	s_branch .LBB173_76
.LBB173_75:                             ;   in Loop: Header=BB173_76 Depth=1
	s_or_b32 exec_lo, exec_lo, s13
	v_add_co_u32 v1, vcc_lo, 0x100, v1
	v_add_co_ci_u32_e32 v2, vcc_lo, 0, v2, vcc_lo
	s_delay_alu instid0(VALU_DEP_1) | instskip(SKIP_1) | instid1(SALU_CYCLE_1)
	v_cmp_le_i64_e32 vcc_lo, s[0:1], v[1:2]
	s_or_b32 s4, vcc_lo, s4
	s_and_not1_b32 exec_lo, exec_lo, s4
	s_cbranch_execz .LBB173_124
.LBB173_76:                             ; =>This Loop Header: Depth=1
                                        ;     Child Loop BB173_78 Depth 2
                                        ;     Child Loop BB173_90 Depth 2
	;; [unrolled: 1-line block ×4, first 2 shown]
	v_lshlrev_b64 v[3:4], 2, v[1:2]
	v_lshlrev_b64 v[7:8], 4, v[1:2]
	s_mov_b32 s13, 0
	s_delay_alu instid0(VALU_DEP_2) | instskip(NEXT) | instid1(VALU_DEP_3)
	v_add_co_u32 v5, vcc_lo, s6, v3
	v_add_co_ci_u32_e32 v6, vcc_lo, s7, v4, vcc_lo
	v_or_b32_e32 v13, 0, v4
	v_or_b32_e32 v12, s12, v3
	;; [unrolled: 1-line block ×3, first 2 shown]
	global_load_b32 v14, v[5:6], off
	v_or_b32_e32 v10, s5, v3
	v_add_co_u32 v4, vcc_lo, s8, v7
	v_lshlrev_b64 v[6:7], 2, v[12:13]
	v_add_co_ci_u32_e32 v5, vcc_lo, s9, v8, vcc_lo
	s_delay_alu instid0(VALU_DEP_4) | instskip(NEXT) | instid1(VALU_DEP_3)
	v_lshlrev_b64 v[10:11], 2, v[10:11]
	v_add_co_u32 v6, vcc_lo, s8, v6
	s_delay_alu instid0(VALU_DEP_4) | instskip(NEXT) | instid1(VALU_DEP_3)
	v_add_co_ci_u32_e32 v7, vcc_lo, s9, v7, vcc_lo
	v_add_co_u32 v10, vcc_lo, s8, v10
	global_load_b32 v3, v[4:5], off
	v_add_co_ci_u32_e32 v11, vcc_lo, s9, v11, vcc_lo
	s_clause 0x2
	global_load_b32 v7, v[6:7], off
	global_load_b32 v8, v[10:11], off
	global_load_b32 v6, v[4:5], off offset:12
	s_waitcnt vmcnt(4)
	v_subrev_nc_u32_e32 v4, s23, v14
	s_delay_alu instid0(VALU_DEP_1) | instskip(SKIP_1) | instid1(VALU_DEP_1)
	v_mul_lo_u32 v5, 0x89, v4
	s_waitcnt vmcnt(3)
	v_dual_mul_f32 v10, v9, v3 :: v_dual_and_b32 v5, 0x1ff, v5
	s_delay_alu instid0(VALU_DEP_1)
	v_mov_b32_e32 v11, v5
	s_branch .LBB173_78
.LBB173_77:                             ;   in Loop: Header=BB173_78 Depth=2
	s_or_b32 exec_lo, exec_lo, s14
	s_xor_b32 s14, s15, -1
	s_delay_alu instid0(SALU_CYCLE_1) | instskip(NEXT) | instid1(SALU_CYCLE_1)
	s_and_b32 s14, exec_lo, s14
	s_or_b32 s13, s14, s13
	s_delay_alu instid0(SALU_CYCLE_1)
	s_and_not1_b32 exec_lo, exec_lo, s13
	s_cbranch_execz .LBB173_88
.LBB173_78:                             ;   Parent Loop BB173_76 Depth=1
                                        ; =>  This Inner Loop Header: Depth=2
	s_delay_alu instid0(VALU_DEP_1)
	v_lshl_add_u32 v3, v11, 2, 0
	s_mov_b32 s14, exec_lo
                                        ; implicit-def: $sgpr15
	ds_load_b32 v12, v3
	s_waitcnt lgkmcnt(0)
	v_cmpx_ne_u32_e64 v12, v4
	s_xor_b32 s14, exec_lo, s14
	s_cbranch_execz .LBB173_86
; %bb.79:                               ;   in Loop: Header=BB173_78 Depth=2
	s_mov_b32 s16, exec_lo
                                        ; implicit-def: $sgpr15
	v_cmpx_ne_u32_e64 s33, v12
	s_xor_b32 s16, exec_lo, s16
; %bb.80:                               ;   in Loop: Header=BB173_78 Depth=2
	v_add_nc_u32_e32 v3, 1, v11
	s_mov_b32 s15, -1
	s_delay_alu instid0(VALU_DEP_1)
	v_and_b32_e32 v11, 0x1ff, v3
                                        ; implicit-def: $vgpr3
; %bb.81:                               ;   in Loop: Header=BB173_78 Depth=2
	s_and_not1_saveexec_b32 s16, s16
	s_cbranch_execz .LBB173_85
; %bb.82:                               ;   in Loop: Header=BB173_78 Depth=2
	v_mov_b32_e32 v12, s33
	s_mov_b32 s17, -1
	s_mov_b32 s18, exec_lo
	ds_cmpstore_rtn_b32 v12, v3, v4, v12
	s_waitcnt lgkmcnt(0)
	v_cmpx_eq_u32_e64 s33, v12
	s_cbranch_execz .LBB173_84
; %bb.83:                               ;   in Loop: Header=BB173_78 Depth=2
	v_mad_u64_u32 v[12:13], null, v11, 12, v[3:4]
	s_xor_b32 s17, exec_lo, -1
	ds_add_f32 v12, v10 offset:2048
.LBB173_84:                             ;   in Loop: Header=BB173_78 Depth=2
	s_or_b32 exec_lo, exec_lo, s18
	s_delay_alu instid0(SALU_CYCLE_1) | instskip(SKIP_1) | instid1(SALU_CYCLE_1)
	s_and_not1_b32 s15, s15, exec_lo
	s_and_b32 s17, s17, exec_lo
	s_or_b32 s15, s15, s17
.LBB173_85:                             ;   in Loop: Header=BB173_78 Depth=2
	s_or_b32 exec_lo, exec_lo, s16
	s_delay_alu instid0(SALU_CYCLE_1)
	s_and_b32 s15, s15, exec_lo
                                        ; implicit-def: $vgpr3
.LBB173_86:                             ;   in Loop: Header=BB173_78 Depth=2
	s_and_not1_saveexec_b32 s14, s14
	s_cbranch_execz .LBB173_77
; %bb.87:                               ;   in Loop: Header=BB173_78 Depth=2
	v_mad_u64_u32 v[12:13], null, v11, 12, v[3:4]
	s_and_not1_b32 s15, s15, exec_lo
	ds_add_f32 v12, v10 offset:2048
	s_branch .LBB173_77
.LBB173_88:                             ;   in Loop: Header=BB173_76 Depth=1
	s_or_b32 exec_lo, exec_lo, s13
	s_waitcnt vmcnt(1)
	v_mul_f32_e32 v8, v9, v8
	v_mov_b32_e32 v10, v5
	s_mov_b32 s13, 0
	s_branch .LBB173_90
.LBB173_89:                             ;   in Loop: Header=BB173_90 Depth=2
	s_or_b32 exec_lo, exec_lo, s14
	s_xor_b32 s14, s15, -1
	s_delay_alu instid0(SALU_CYCLE_1) | instskip(NEXT) | instid1(SALU_CYCLE_1)
	s_and_b32 s14, exec_lo, s14
	s_or_b32 s13, s14, s13
	s_delay_alu instid0(SALU_CYCLE_1)
	s_and_not1_b32 exec_lo, exec_lo, s13
	s_cbranch_execz .LBB173_100
.LBB173_90:                             ;   Parent Loop BB173_76 Depth=1
                                        ; =>  This Inner Loop Header: Depth=2
	s_delay_alu instid0(VALU_DEP_1)
	v_lshl_add_u32 v3, v10, 2, 0
	s_mov_b32 s14, exec_lo
                                        ; implicit-def: $sgpr15
	ds_load_b32 v11, v3
	s_waitcnt lgkmcnt(0)
	v_cmpx_ne_u32_e64 v11, v4
	s_xor_b32 s14, exec_lo, s14
	s_cbranch_execz .LBB173_98
; %bb.91:                               ;   in Loop: Header=BB173_90 Depth=2
	s_mov_b32 s16, exec_lo
                                        ; implicit-def: $sgpr15
	v_cmpx_ne_u32_e64 s33, v11
	s_xor_b32 s16, exec_lo, s16
; %bb.92:                               ;   in Loop: Header=BB173_90 Depth=2
	v_add_nc_u32_e32 v3, 1, v10
	s_mov_b32 s15, -1
	s_delay_alu instid0(VALU_DEP_1)
	v_and_b32_e32 v10, 0x1ff, v3
                                        ; implicit-def: $vgpr3
; %bb.93:                               ;   in Loop: Header=BB173_90 Depth=2
	s_and_not1_saveexec_b32 s16, s16
	s_cbranch_execz .LBB173_97
; %bb.94:                               ;   in Loop: Header=BB173_90 Depth=2
	v_mov_b32_e32 v11, s33
	s_mov_b32 s17, -1
	s_mov_b32 s18, exec_lo
	ds_cmpstore_rtn_b32 v11, v3, v4, v11
	s_waitcnt lgkmcnt(0)
	v_cmpx_eq_u32_e64 s33, v11
	s_cbranch_execz .LBB173_96
; %bb.95:                               ;   in Loop: Header=BB173_90 Depth=2
	v_mad_u64_u32 v[11:12], null, v10, 12, v[3:4]
	s_xor_b32 s17, exec_lo, -1
	ds_add_f32 v11, v8 offset:2052
.LBB173_96:                             ;   in Loop: Header=BB173_90 Depth=2
	s_or_b32 exec_lo, exec_lo, s18
	s_delay_alu instid0(SALU_CYCLE_1) | instskip(SKIP_1) | instid1(SALU_CYCLE_1)
	s_and_not1_b32 s15, s15, exec_lo
	s_and_b32 s17, s17, exec_lo
	s_or_b32 s15, s15, s17
.LBB173_97:                             ;   in Loop: Header=BB173_90 Depth=2
	s_or_b32 exec_lo, exec_lo, s16
	s_delay_alu instid0(SALU_CYCLE_1)
	s_and_b32 s15, s15, exec_lo
                                        ; implicit-def: $vgpr3
.LBB173_98:                             ;   in Loop: Header=BB173_90 Depth=2
	s_and_not1_saveexec_b32 s14, s14
	s_cbranch_execz .LBB173_89
; %bb.99:                               ;   in Loop: Header=BB173_90 Depth=2
	v_mad_u64_u32 v[11:12], null, v10, 12, v[3:4]
	s_and_not1_b32 s15, s15, exec_lo
	ds_add_f32 v11, v8 offset:2052
	s_branch .LBB173_89
.LBB173_100:                            ;   in Loop: Header=BB173_76 Depth=1
	s_or_b32 exec_lo, exec_lo, s13
	v_mul_f32_e32 v7, v9, v7
	v_mov_b32_e32 v8, v5
	s_mov_b32 s13, 0
	s_branch .LBB173_102
.LBB173_101:                            ;   in Loop: Header=BB173_102 Depth=2
	s_or_b32 exec_lo, exec_lo, s14
	s_xor_b32 s14, s15, -1
	s_delay_alu instid0(SALU_CYCLE_1) | instskip(NEXT) | instid1(SALU_CYCLE_1)
	s_and_b32 s14, exec_lo, s14
	s_or_b32 s13, s14, s13
	s_delay_alu instid0(SALU_CYCLE_1)
	s_and_not1_b32 exec_lo, exec_lo, s13
	s_cbranch_execz .LBB173_112
.LBB173_102:                            ;   Parent Loop BB173_76 Depth=1
                                        ; =>  This Inner Loop Header: Depth=2
	s_delay_alu instid0(VALU_DEP_1)
	v_lshl_add_u32 v3, v8, 2, 0
	s_mov_b32 s14, exec_lo
                                        ; implicit-def: $sgpr15
	ds_load_b32 v10, v3
	s_waitcnt lgkmcnt(0)
	v_cmpx_ne_u32_e64 v10, v4
	s_xor_b32 s14, exec_lo, s14
	s_cbranch_execz .LBB173_110
; %bb.103:                              ;   in Loop: Header=BB173_102 Depth=2
	s_mov_b32 s16, exec_lo
                                        ; implicit-def: $sgpr15
	v_cmpx_ne_u32_e64 s33, v10
	s_xor_b32 s16, exec_lo, s16
; %bb.104:                              ;   in Loop: Header=BB173_102 Depth=2
	v_add_nc_u32_e32 v3, 1, v8
	s_mov_b32 s15, -1
	s_delay_alu instid0(VALU_DEP_1)
	v_and_b32_e32 v8, 0x1ff, v3
                                        ; implicit-def: $vgpr3
; %bb.105:                              ;   in Loop: Header=BB173_102 Depth=2
	s_and_not1_saveexec_b32 s16, s16
	s_cbranch_execz .LBB173_109
; %bb.106:                              ;   in Loop: Header=BB173_102 Depth=2
	v_mov_b32_e32 v10, s33
	s_mov_b32 s17, -1
	s_mov_b32 s18, exec_lo
	ds_cmpstore_rtn_b32 v10, v3, v4, v10
	s_waitcnt lgkmcnt(0)
	v_cmpx_eq_u32_e64 s33, v10
	s_cbranch_execz .LBB173_108
; %bb.107:                              ;   in Loop: Header=BB173_102 Depth=2
	v_mad_u64_u32 v[10:11], null, v8, 12, v[3:4]
	s_xor_b32 s17, exec_lo, -1
	ds_add_f32 v10, v7 offset:2056
.LBB173_108:                            ;   in Loop: Header=BB173_102 Depth=2
	s_or_b32 exec_lo, exec_lo, s18
	s_delay_alu instid0(SALU_CYCLE_1) | instskip(SKIP_1) | instid1(SALU_CYCLE_1)
	s_and_not1_b32 s15, s15, exec_lo
	s_and_b32 s17, s17, exec_lo
	s_or_b32 s15, s15, s17
.LBB173_109:                            ;   in Loop: Header=BB173_102 Depth=2
	s_or_b32 exec_lo, exec_lo, s16
	s_delay_alu instid0(SALU_CYCLE_1)
	s_and_b32 s15, s15, exec_lo
                                        ; implicit-def: $vgpr3
.LBB173_110:                            ;   in Loop: Header=BB173_102 Depth=2
	s_and_not1_saveexec_b32 s14, s14
	s_cbranch_execz .LBB173_101
; %bb.111:                              ;   in Loop: Header=BB173_102 Depth=2
	v_mad_u64_u32 v[10:11], null, v8, 12, v[3:4]
	s_and_not1_b32 s15, s15, exec_lo
	ds_add_f32 v10, v7 offset:2056
	s_branch .LBB173_101
.LBB173_112:                            ;   in Loop: Header=BB173_76 Depth=1
	s_or_b32 exec_lo, exec_lo, s13
	s_waitcnt vmcnt(0)
	v_mul_f32_e32 v6, v9, v6
	s_mov_b32 s13, 0
	s_branch .LBB173_114
.LBB173_113:                            ;   in Loop: Header=BB173_114 Depth=2
	s_or_b32 exec_lo, exec_lo, s14
	s_xor_b32 s14, s15, -1
	s_delay_alu instid0(SALU_CYCLE_1) | instskip(NEXT) | instid1(SALU_CYCLE_1)
	s_and_b32 s14, exec_lo, s14
	s_or_b32 s13, s14, s13
	s_delay_alu instid0(SALU_CYCLE_1)
	s_and_not1_b32 exec_lo, exec_lo, s13
	s_cbranch_execz .LBB173_75
.LBB173_114:                            ;   Parent Loop BB173_76 Depth=1
                                        ; =>  This Inner Loop Header: Depth=2
	v_lshl_add_u32 v3, v5, 2, 0
	s_mov_b32 s14, exec_lo
                                        ; implicit-def: $sgpr15
	ds_load_b32 v7, v3
	s_waitcnt lgkmcnt(0)
	v_cmpx_ne_u32_e64 v7, v4
	s_xor_b32 s14, exec_lo, s14
	s_cbranch_execz .LBB173_122
; %bb.115:                              ;   in Loop: Header=BB173_114 Depth=2
	s_mov_b32 s16, exec_lo
                                        ; implicit-def: $sgpr15
	v_cmpx_ne_u32_e64 s33, v7
	s_xor_b32 s16, exec_lo, s16
; %bb.116:                              ;   in Loop: Header=BB173_114 Depth=2
	v_add_nc_u32_e32 v3, 1, v5
	s_mov_b32 s15, -1
	s_delay_alu instid0(VALU_DEP_1)
	v_and_b32_e32 v5, 0x1ff, v3
                                        ; implicit-def: $vgpr3
; %bb.117:                              ;   in Loop: Header=BB173_114 Depth=2
	s_and_not1_saveexec_b32 s16, s16
	s_cbranch_execz .LBB173_121
; %bb.118:                              ;   in Loop: Header=BB173_114 Depth=2
	v_mov_b32_e32 v7, s33
	s_mov_b32 s17, -1
	s_mov_b32 s18, exec_lo
	ds_cmpstore_rtn_b32 v7, v3, v4, v7
	s_waitcnt lgkmcnt(0)
	v_cmpx_eq_u32_e64 s33, v7
	s_cbranch_execz .LBB173_120
; %bb.119:                              ;   in Loop: Header=BB173_114 Depth=2
	v_mad_u64_u32 v[7:8], null, v5, 12, v[3:4]
	s_xor_b32 s17, exec_lo, -1
	ds_add_f32 v7, v6 offset:2060
.LBB173_120:                            ;   in Loop: Header=BB173_114 Depth=2
	s_or_b32 exec_lo, exec_lo, s18
	s_delay_alu instid0(SALU_CYCLE_1) | instskip(SKIP_1) | instid1(SALU_CYCLE_1)
	s_and_not1_b32 s15, s15, exec_lo
	s_and_b32 s17, s17, exec_lo
	s_or_b32 s15, s15, s17
.LBB173_121:                            ;   in Loop: Header=BB173_114 Depth=2
	s_or_b32 exec_lo, exec_lo, s16
	s_delay_alu instid0(SALU_CYCLE_1)
	s_and_b32 s15, s15, exec_lo
                                        ; implicit-def: $vgpr3
.LBB173_122:                            ;   in Loop: Header=BB173_114 Depth=2
	s_and_not1_saveexec_b32 s14, s14
	s_cbranch_execz .LBB173_113
; %bb.123:                              ;   in Loop: Header=BB173_114 Depth=2
	v_mad_u64_u32 v[7:8], null, v5, 12, v[3:4]
	s_and_not1_b32 s15, s15, exec_lo
	ds_add_f32 v7, v6 offset:2060
	s_branch .LBB173_113
.LBB173_124:
	s_or_b32 exec_lo, exec_lo, s3
.LBB173_125:
	s_waitcnt lgkmcnt(0)
	s_barrier
	buffer_gl0_inv
	s_and_saveexec_b32 s0, s2
	s_cbranch_execz .LBB173_132
; %bb.126:
	s_lshl_b64 s[0:1], s[34:35], 3
	s_delay_alu instid0(SALU_CYCLE_1)
	s_add_u32 s0, s10, s0
	s_addc_u32 s1, s11, s1
	s_load_b64 s[0:1], s[0:1], 0x0
	s_waitcnt lgkmcnt(0)
	s_sub_u32 s2, s0, s22
	s_subb_u32 s3, s1, 0
	s_cmp_eq_u32 s36, 0
	s_mov_b32 s1, 0
	s_cselect_b32 s4, 1, 2
	s_cselect_b32 s5, 2, 1
	s_add_i32 s6, 0, 0x800
	s_branch .LBB173_128
.LBB173_127:                            ;   in Loop: Header=BB173_128 Depth=1
	s_or_b32 exec_lo, exec_lo, s7
	v_add_nc_u32_e32 v1, 0x100, v0
	v_cmp_lt_u32_e32 vcc_lo, 0xff, v0
	s_delay_alu instid0(VALU_DEP_2) | instskip(SKIP_1) | instid1(SALU_CYCLE_1)
	v_mov_b32_e32 v0, v1
	s_or_b32 s1, vcc_lo, s1
	s_and_not1_b32 exec_lo, exec_lo, s1
	s_cbranch_execz .LBB173_132
.LBB173_128:                            ; =>This Loop Header: Depth=1
                                        ;     Child Loop BB173_130 Depth 2
	s_delay_alu instid0(VALU_DEP_1)
	v_lshl_add_u32 v1, v0, 2, 0
	s_mov_b32 s7, exec_lo
	ds_load_b32 v3, v1
	s_waitcnt lgkmcnt(0)
	v_cmpx_gt_i32_e64 s33, v3
	s_cbranch_execz .LBB173_127
; %bb.129:                              ;   in Loop: Header=BB173_128 Depth=1
	v_dual_mov_b32 v1, s2 :: v_dual_mov_b32 v2, s3
	s_mov_b32 s8, 0
.LBB173_130:                            ;   Parent Loop BB173_128 Depth=1
                                        ; =>  This Inner Loop Header: Depth=2
	s_delay_alu instid0(SALU_CYCLE_1)
	s_add_i32 s0, s8, 0
	s_add_i32 s8, s8, 64
	v_mov_b32_e32 v18, s0
	s_cmpk_lg_i32 s8, 0x800
	ds_load_2addr_b32 v[4:5], v18 offset1:1
	ds_load_2addr_b32 v[6:7], v18 offset0:2 offset1:3
	ds_load_2addr_b32 v[8:9], v18 offset0:4 offset1:5
	;; [unrolled: 1-line block ×7, first 2 shown]
	s_waitcnt lgkmcnt(7)
	v_cmp_gt_i32_e32 vcc_lo, v3, v4
	v_cndmask_b32_e64 v4, 0, 1, vcc_lo
	v_cmp_gt_i32_e32 vcc_lo, v3, v5
	v_cndmask_b32_e64 v5, 0, 1, vcc_lo
	s_waitcnt lgkmcnt(6)
	v_cmp_gt_i32_e32 vcc_lo, v3, v6
	v_cndmask_b32_e64 v6, 0, 1, vcc_lo
	v_cmp_gt_i32_e32 vcc_lo, v3, v7
	v_cndmask_b32_e64 v7, 0, 1, vcc_lo
	;; [unrolled: 5-line block ×4, first 2 shown]
	s_waitcnt lgkmcnt(3)
	v_cmp_gt_i32_e32 vcc_lo, v3, v12
	v_cndmask_b32_e64 v12, 0, 1, vcc_lo
	v_add_co_u32 v1, vcc_lo, v1, v4
	v_add_co_ci_u32_e32 v2, vcc_lo, 0, v2, vcc_lo
	v_cmp_gt_i32_e32 vcc_lo, v3, v13
	s_delay_alu instid0(VALU_DEP_3) | instskip(NEXT) | instid1(VALU_DEP_1)
	v_add_co_u32 v1, s0, v1, v5
	v_add_co_ci_u32_e64 v2, s0, 0, v2, s0
	v_cndmask_b32_e64 v4, 0, 1, vcc_lo
	s_delay_alu instid0(VALU_DEP_3) | instskip(NEXT) | instid1(VALU_DEP_3)
	v_add_co_u32 v1, vcc_lo, v1, v6
	v_add_co_ci_u32_e32 v2, vcc_lo, 0, v2, vcc_lo
	s_waitcnt lgkmcnt(2)
	v_cmp_gt_i32_e32 vcc_lo, v3, v14
	s_delay_alu instid0(VALU_DEP_3) | instskip(NEXT) | instid1(VALU_DEP_1)
	v_add_co_u32 v1, s0, v1, v7
	v_add_co_ci_u32_e64 v2, s0, 0, v2, s0
	v_cndmask_b32_e64 v5, 0, 1, vcc_lo
	s_delay_alu instid0(VALU_DEP_3) | instskip(NEXT) | instid1(VALU_DEP_3)
	v_add_co_u32 v1, vcc_lo, v1, v8
	v_add_co_ci_u32_e32 v2, vcc_lo, 0, v2, vcc_lo
	v_cmp_gt_i32_e32 vcc_lo, v3, v15
	s_delay_alu instid0(VALU_DEP_3) | instskip(NEXT) | instid1(VALU_DEP_1)
	v_add_co_u32 v1, s0, v1, v9
	v_add_co_ci_u32_e64 v2, s0, 0, v2, s0
	v_cndmask_b32_e64 v6, 0, 1, vcc_lo
	s_delay_alu instid0(VALU_DEP_3) | instskip(NEXT) | instid1(VALU_DEP_3)
	v_add_co_u32 v1, vcc_lo, v1, v10
	v_add_co_ci_u32_e32 v2, vcc_lo, 0, v2, vcc_lo
	s_waitcnt lgkmcnt(1)
	v_cmp_gt_i32_e32 vcc_lo, v3, v16
	s_delay_alu instid0(VALU_DEP_3) | instskip(NEXT) | instid1(VALU_DEP_1)
	v_add_co_u32 v1, s0, v1, v11
	v_add_co_ci_u32_e64 v2, s0, 0, v2, s0
	v_cndmask_b32_e64 v7, 0, 1, vcc_lo
	s_delay_alu instid0(VALU_DEP_3) | instskip(NEXT) | instid1(VALU_DEP_3)
	;; [unrolled: 17-line block ×3, first 2 shown]
	v_add_co_u32 v1, vcc_lo, v1, v7
	v_add_co_ci_u32_e32 v2, vcc_lo, 0, v2, vcc_lo
	v_cmp_gt_i32_e32 vcc_lo, v3, v19
	s_delay_alu instid0(VALU_DEP_3) | instskip(NEXT) | instid1(VALU_DEP_1)
	v_add_co_u32 v1, s0, v1, v4
	v_add_co_ci_u32_e64 v2, s0, 0, v2, s0
	v_cndmask_b32_e64 v4, 0, 1, vcc_lo
	s_delay_alu instid0(VALU_DEP_3) | instskip(NEXT) | instid1(VALU_DEP_3)
	v_add_co_u32 v1, vcc_lo, v1, v5
	v_add_co_ci_u32_e32 v2, vcc_lo, 0, v2, vcc_lo
	s_delay_alu instid0(VALU_DEP_2) | instskip(NEXT) | instid1(VALU_DEP_2)
	v_add_co_u32 v1, vcc_lo, v1, v4
	v_add_co_ci_u32_e32 v2, vcc_lo, 0, v2, vcc_lo
	s_cbranch_scc1 .LBB173_130
; %bb.131:                              ;   in Loop: Header=BB173_128 Depth=1
	v_lshl_add_u32 v5, v0, 4, s6
	v_add_nc_u32_e32 v10, s22, v3
	ds_load_2addr_b32 v[6:7], v5 offset1:3
	s_waitcnt lgkmcnt(0)
	v_dual_mov_b32 v3, v6 :: v_dual_lshlrev_b32 v4, 2, v0
	s_delay_alu instid0(VALU_DEP_1) | instskip(SKIP_2) | instid1(VALU_DEP_3)
	v_or_b32_e32 v8, s4, v4
	v_or_b32_e32 v4, s5, v4
	v_mov_b32_e32 v6, v7
	v_lshl_add_u32 v5, v8, 2, s6
	s_delay_alu instid0(VALU_DEP_3) | instskip(SKIP_4) | instid1(VALU_DEP_2)
	v_lshl_add_u32 v8, v4, 2, s6
	ds_load_b32 v4, v5
	ds_load_b32 v5, v8
	v_lshlrev_b64 v[8:9], 2, v[1:2]
	v_lshlrev_b64 v[1:2], 4, v[1:2]
	v_add_co_u32 v8, vcc_lo, s24, v8
	s_delay_alu instid0(VALU_DEP_3) | instskip(NEXT) | instid1(VALU_DEP_3)
	v_add_co_ci_u32_e32 v9, vcc_lo, s25, v9, vcc_lo
	v_add_co_u32 v1, vcc_lo, s26, v1
	s_delay_alu instid0(VALU_DEP_4)
	v_add_co_ci_u32_e32 v2, vcc_lo, s27, v2, vcc_lo
	global_store_b32 v[8:9], v10, off
	s_waitcnt lgkmcnt(0)
	global_store_b128 v[1:2], v[3:6], off
	s_branch .LBB173_127
.LBB173_132:
	s_nop 0
	s_sendmsg sendmsg(MSG_DEALLOC_VGPRS)
	s_endpgm
	.section	.rodata,"a",@progbits
	.p2align	6, 0x0
	.amdhsa_kernel _ZN9rocsparseL30bsrgemm_fill_block_per_row_2x2ILj256ELj16ELj512ELj137ElifEEv20rocsparse_direction_T4_S2_PKS2_S4_NS_24const_host_device_scalarIT5_EEPKT3_S4_PKS6_SA_S4_SC_S7_SA_S4_SC_SA_PS2_PS6_21rocsparse_index_base_SF_SF_SF_bbb
		.amdhsa_group_segment_fixed_size 0
		.amdhsa_private_segment_fixed_size 0
		.amdhsa_kernarg_size 164
		.amdhsa_user_sgpr_count 15
		.amdhsa_user_sgpr_dispatch_ptr 0
		.amdhsa_user_sgpr_queue_ptr 0
		.amdhsa_user_sgpr_kernarg_segment_ptr 1
		.amdhsa_user_sgpr_dispatch_id 0
		.amdhsa_user_sgpr_private_segment_size 0
		.amdhsa_wavefront_size32 1
		.amdhsa_uses_dynamic_stack 0
		.amdhsa_enable_private_segment 0
		.amdhsa_system_sgpr_workgroup_id_x 1
		.amdhsa_system_sgpr_workgroup_id_y 0
		.amdhsa_system_sgpr_workgroup_id_z 0
		.amdhsa_system_sgpr_workgroup_info 0
		.amdhsa_system_vgpr_workitem_id 0
		.amdhsa_next_free_vgpr 26
		.amdhsa_next_free_sgpr 48
		.amdhsa_reserve_vcc 1
		.amdhsa_float_round_mode_32 0
		.amdhsa_float_round_mode_16_64 0
		.amdhsa_float_denorm_mode_32 3
		.amdhsa_float_denorm_mode_16_64 3
		.amdhsa_dx10_clamp 1
		.amdhsa_ieee_mode 1
		.amdhsa_fp16_overflow 0
		.amdhsa_workgroup_processor_mode 1
		.amdhsa_memory_ordered 1
		.amdhsa_forward_progress 0
		.amdhsa_shared_vgpr_count 0
		.amdhsa_exception_fp_ieee_invalid_op 0
		.amdhsa_exception_fp_denorm_src 0
		.amdhsa_exception_fp_ieee_div_zero 0
		.amdhsa_exception_fp_ieee_overflow 0
		.amdhsa_exception_fp_ieee_underflow 0
		.amdhsa_exception_fp_ieee_inexact 0
		.amdhsa_exception_int_div_zero 0
	.end_amdhsa_kernel
	.section	.text._ZN9rocsparseL30bsrgemm_fill_block_per_row_2x2ILj256ELj16ELj512ELj137ElifEEv20rocsparse_direction_T4_S2_PKS2_S4_NS_24const_host_device_scalarIT5_EEPKT3_S4_PKS6_SA_S4_SC_S7_SA_S4_SC_SA_PS2_PS6_21rocsparse_index_base_SF_SF_SF_bbb,"axG",@progbits,_ZN9rocsparseL30bsrgemm_fill_block_per_row_2x2ILj256ELj16ELj512ELj137ElifEEv20rocsparse_direction_T4_S2_PKS2_S4_NS_24const_host_device_scalarIT5_EEPKT3_S4_PKS6_SA_S4_SC_S7_SA_S4_SC_SA_PS2_PS6_21rocsparse_index_base_SF_SF_SF_bbb,comdat
.Lfunc_end173:
	.size	_ZN9rocsparseL30bsrgemm_fill_block_per_row_2x2ILj256ELj16ELj512ELj137ElifEEv20rocsparse_direction_T4_S2_PKS2_S4_NS_24const_host_device_scalarIT5_EEPKT3_S4_PKS6_SA_S4_SC_S7_SA_S4_SC_SA_PS2_PS6_21rocsparse_index_base_SF_SF_SF_bbb, .Lfunc_end173-_ZN9rocsparseL30bsrgemm_fill_block_per_row_2x2ILj256ELj16ELj512ELj137ElifEEv20rocsparse_direction_T4_S2_PKS2_S4_NS_24const_host_device_scalarIT5_EEPKT3_S4_PKS6_SA_S4_SC_S7_SA_S4_SC_SA_PS2_PS6_21rocsparse_index_base_SF_SF_SF_bbb
                                        ; -- End function
	.section	.AMDGPU.csdata,"",@progbits
; Kernel info:
; codeLenInByte = 4648
; NumSgprs: 50
; NumVgprs: 26
; ScratchSize: 0
; MemoryBound: 0
; FloatMode: 240
; IeeeMode: 1
; LDSByteSize: 0 bytes/workgroup (compile time only)
; SGPRBlocks: 6
; VGPRBlocks: 3
; NumSGPRsForWavesPerEU: 50
; NumVGPRsForWavesPerEU: 26
; Occupancy: 16
; WaveLimiterHint : 1
; COMPUTE_PGM_RSRC2:SCRATCH_EN: 0
; COMPUTE_PGM_RSRC2:USER_SGPR: 15
; COMPUTE_PGM_RSRC2:TRAP_HANDLER: 0
; COMPUTE_PGM_RSRC2:TGID_X_EN: 1
; COMPUTE_PGM_RSRC2:TGID_Y_EN: 0
; COMPUTE_PGM_RSRC2:TGID_Z_EN: 0
; COMPUTE_PGM_RSRC2:TIDIG_COMP_CNT: 0
	.section	.text._ZN9rocsparseL38bsrgemm_block_per_row_atomic_multipassILj256ELj256ELj2ElifEEv20rocsparse_direction_T3_S2_PKS2_S4_NS_24const_host_device_scalarIT4_EEPKT2_S4_PKS6_SA_S4_SC_S7_SA_S4_SC_SA_PS2_PS6_PS8_21rocsparse_index_base_SG_SG_SG_bbb,"axG",@progbits,_ZN9rocsparseL38bsrgemm_block_per_row_atomic_multipassILj256ELj256ELj2ElifEEv20rocsparse_direction_T3_S2_PKS2_S4_NS_24const_host_device_scalarIT4_EEPKT2_S4_PKS6_SA_S4_SC_S7_SA_S4_SC_SA_PS2_PS6_PS8_21rocsparse_index_base_SG_SG_SG_bbb,comdat
	.globl	_ZN9rocsparseL38bsrgemm_block_per_row_atomic_multipassILj256ELj256ELj2ElifEEv20rocsparse_direction_T3_S2_PKS2_S4_NS_24const_host_device_scalarIT4_EEPKT2_S4_PKS6_SA_S4_SC_S7_SA_S4_SC_SA_PS2_PS6_PS8_21rocsparse_index_base_SG_SG_SG_bbb ; -- Begin function _ZN9rocsparseL38bsrgemm_block_per_row_atomic_multipassILj256ELj256ELj2ElifEEv20rocsparse_direction_T3_S2_PKS2_S4_NS_24const_host_device_scalarIT4_EEPKT2_S4_PKS6_SA_S4_SC_S7_SA_S4_SC_SA_PS2_PS6_PS8_21rocsparse_index_base_SG_SG_SG_bbb
	.p2align	8
	.type	_ZN9rocsparseL38bsrgemm_block_per_row_atomic_multipassILj256ELj256ELj2ElifEEv20rocsparse_direction_T3_S2_PKS2_S4_NS_24const_host_device_scalarIT4_EEPKT2_S4_PKS6_SA_S4_SC_S7_SA_S4_SC_SA_PS2_PS6_PS8_21rocsparse_index_base_SG_SG_SG_bbb,@function
_ZN9rocsparseL38bsrgemm_block_per_row_atomic_multipassILj256ELj256ELj2ElifEEv20rocsparse_direction_T3_S2_PKS2_S4_NS_24const_host_device_scalarIT4_EEPKT2_S4_PKS6_SA_S4_SC_S7_SA_S4_SC_SA_PS2_PS6_PS8_21rocsparse_index_base_SG_SG_SG_bbb: ; @_ZN9rocsparseL38bsrgemm_block_per_row_atomic_multipassILj256ELj256ELj2ElifEEv20rocsparse_direction_T3_S2_PKS2_S4_NS_24const_host_device_scalarIT4_EEPKT2_S4_PKS6_SA_S4_SC_S7_SA_S4_SC_SA_PS2_PS6_PS8_21rocsparse_index_base_SG_SG_SG_bbb
; %bb.0:
	s_clause 0x3
	s_load_b32 s3, s[0:1], 0xa8
	s_load_b128 s[36:39], s[0:1], 0x98
	s_load_b64 s[6:7], s[0:1], 0x20
	s_load_b64 s[4:5], s[0:1], 0x58
	s_mov_b32 s2, s15
	s_waitcnt lgkmcnt(0)
	s_bitcmp1_b32 s3, 0
	s_cselect_b32 s8, -1, 0
	s_bitcmp1_b32 s3, 16
	s_cselect_b32 s9, -1, 0
	s_xor_b32 s10, s8, -1
	s_delay_alu instid0(SALU_CYCLE_1) | instskip(NEXT) | instid1(SALU_CYCLE_1)
	s_or_b32 s10, s10, s9
	s_and_b32 vcc_lo, exec_lo, s10
	s_cbranch_vccnz .LBB174_2
; %bb.1:
	s_load_b32 s6, s[6:7], 0x0
	s_waitcnt lgkmcnt(0)
	v_mov_b32_e32 v23, s6
	s_branch .LBB174_3
.LBB174_2:
	v_cndmask_b32_e64 v23, 0, s6, s8
.LBB174_3:
	s_load_b64 s[6:7], s[0:1], 0x18
	s_bitcmp1_b32 s3, 8
	s_cselect_b32 s33, -1, 0
	s_delay_alu instid0(SALU_CYCLE_1) | instskip(NEXT) | instid1(SALU_CYCLE_1)
	s_xor_b32 s3, s33, -1
	s_or_b32 s3, s3, s9
	s_delay_alu instid0(SALU_CYCLE_1)
	s_and_b32 vcc_lo, exec_lo, s3
	s_cbranch_vccnz .LBB174_5
; %bb.4:
	s_load_b32 s3, s[4:5], 0x0
	s_waitcnt lgkmcnt(0)
	v_mov_b32_e32 v24, s3
	s_load_b64 s[4:5], s[0:1], 0x28
	s_cmp_eq_u64 s[6:7], 0
	s_mov_b64 s[34:35], 0
	s_cbranch_scc0 .LBB174_6
	s_branch .LBB174_7
.LBB174_5:
	v_cndmask_b32_e64 v24, 0, s4, s33
	s_load_b64 s[4:5], s[0:1], 0x28
	s_waitcnt lgkmcnt(0)
	s_cmp_eq_u64 s[6:7], 0
	s_mov_b64 s[34:35], 0
	s_cbranch_scc1 .LBB174_7
.LBB174_6:
	s_load_b64 s[10:11], s[0:1], 0x10
	s_waitcnt lgkmcnt(0)
	s_load_b32 s3, s[10:11], 0x0
	s_waitcnt lgkmcnt(0)
	s_add_i32 s2, s3, s2
	s_mov_b32 s3, 0
	s_delay_alu instid0(SALU_CYCLE_1) | instskip(NEXT) | instid1(SALU_CYCLE_1)
	s_lshl_b64 s[2:3], s[2:3], 2
	s_add_u32 s2, s6, s2
	s_addc_u32 s3, s7, s3
	s_load_b32 s2, s[2:3], 0x0
.LBB174_7:
	s_and_not1_b32 vcc_lo, exec_lo, s8
	s_cbranch_vccz .LBB174_10
; %bb.8:
	s_and_not1_b32 vcc_lo, exec_lo, s8
	s_mov_b64 s[44:45], 0
	s_cbranch_vccz .LBB174_11
.LBB174_9:
	s_load_b128 s[40:43], s[0:1], 0x0
	s_waitcnt lgkmcnt(0)
	s_cmp_lt_i32 s41, 1
	s_cbranch_scc0 .LBB174_12
	s_branch .LBB174_98
.LBB174_10:
	s_waitcnt lgkmcnt(0)
	s_ashr_i32 s3, s2, 31
	s_delay_alu instid0(SALU_CYCLE_1) | instskip(NEXT) | instid1(SALU_CYCLE_1)
	s_lshl_b64 s[6:7], s[2:3], 3
	s_add_u32 s6, s4, s6
	s_addc_u32 s7, s5, s7
	s_load_b64 s[6:7], s[6:7], 0x0
	s_waitcnt lgkmcnt(0)
	s_sub_u32 s34, s6, s36
	s_subb_u32 s35, s7, 0
	s_and_not1_b32 vcc_lo, exec_lo, s8
	s_mov_b64 s[44:45], 0
	s_cbranch_vccnz .LBB174_9
.LBB174_11:
	s_waitcnt lgkmcnt(0)
	s_ashr_i32 s3, s2, 31
	s_delay_alu instid0(SALU_CYCLE_1) | instskip(NEXT) | instid1(SALU_CYCLE_1)
	s_lshl_b64 s[6:7], s[2:3], 3
	s_add_u32 s4, s4, s6
	s_addc_u32 s5, s5, s7
	s_load_b64 s[4:5], s[4:5], 0x8
	s_waitcnt lgkmcnt(0)
	s_sub_u32 s44, s4, s36
	s_subb_u32 s45, s5, 0
	s_load_b128 s[40:43], s[0:1], 0x0
	s_waitcnt lgkmcnt(0)
	s_cmp_lt_i32 s41, 1
	s_cbranch_scc1 .LBB174_98
.LBB174_12:
	v_bfe_u32 v5, v0, 1, 1
	s_clause 0x4
	s_load_b256 s[16:23], s[0:1], 0x60
	s_load_b64 s[46:47], s[0:1], 0x90
	s_load_b128 s[12:15], s[0:1], 0x80
	s_load_b64 s[50:51], s[0:1], 0x50
	s_load_b256 s[24:31], s[0:1], 0x30
	v_dual_mov_b32 v2, 0 :: v_dual_and_b32 v7, 3, v0
	v_and_b32_e32 v26, 1, v0
	v_mul_lo_u32 v1, v5, s42
	s_ashr_i32 s3, s2, 31
	v_lshlrev_b32_e32 v9, 2, v5
	s_lshl_b64 s[4:5], s[2:3], 3
	v_max_i32_e32 v6, v26, v5
	v_lshrrev_b32_e32 v25, 2, v0
	v_cmp_lt_i64_e64 s9, s[34:35], s[44:45]
	v_dual_mov_b32 v54, 0x100 :: v_dual_and_b32 v31, 2, v0
	v_lshlrev_b64 v[3:4], 2, v[1:2]
	v_mul_lo_u32 v1, v26, s42
	v_cmp_gt_u32_e64 s0, 0x100, v0
	s_waitcnt lgkmcnt(0)
	s_add_u32 s2, s22, s4
	s_addc_u32 s3, s23, s5
	v_cmp_eq_u32_e64 s1, 0, v0
	s_load_b64 s[6:7], s[2:3], 0x0
	v_cmp_gt_i32_e64 s2, s42, v6
	v_add_co_u32 v10, vcc_lo, s26, v3
	v_lshlrev_b64 v[5:6], 2, v[1:2]
	v_add_co_ci_u32_e32 v11, vcc_lo, s27, v4, vcc_lo
	v_add_co_u32 v1, vcc_lo, s14, v3
	v_add_co_ci_u32_e32 v12, vcc_lo, s15, v4, vcc_lo
	s_delay_alu instid0(VALU_DEP_4) | instskip(SKIP_2) | instid1(VALU_DEP_3)
	v_add_co_u32 v13, vcc_lo, s14, v5
	v_add_co_ci_u32_e32 v14, vcc_lo, s15, v6, vcc_lo
	v_add_co_u32 v15, s55, v0, -1
	v_add_co_u32 v13, vcc_lo, v13, v9
	s_delay_alu instid0(VALU_DEP_3)
	v_add_co_ci_u32_e32 v14, vcc_lo, 0, v14, vcc_lo
	v_lshlrev_b32_e32 v8, 2, v26
	s_waitcnt lgkmcnt(0)
	s_sub_u32 s14, s6, s38
	s_subb_u32 s15, s7, 0
	s_cmp_eq_u32 s40, 0
	v_cmp_lt_u32_e64 s6, 3, v0
	v_add_co_u32 v1, vcc_lo, v1, v8
	v_add_co_ci_u32_e32 v12, vcc_lo, 0, v12, vcc_lo
	s_cselect_b32 vcc_lo, -1, 0
	s_cmp_lg_u32 s40, 0
	s_delay_alu instid0(VALU_DEP_2) | instskip(NEXT) | instid1(VALU_DEP_2)
	v_dual_cndmask_b32 v44, v13, v1 :: v_dual_lshlrev_b32 v27, 2, v0
	v_cndmask_b32_e32 v43, v14, v12, vcc_lo
	v_add_co_u32 v29, s3, v10, v8
	s_delay_alu instid0(VALU_DEP_1) | instskip(SKIP_1) | instid1(VALU_DEP_1)
	v_add_co_ci_u32_e64 v30, s3, 0, v11, s3
	v_add_co_u32 v10, s3, s20, v5
	v_add_co_ci_u32_e64 v11, s3, s21, v6, s3
	v_sub_co_u32 v32, s3, v25, s39
	s_delay_alu instid0(VALU_DEP_1) | instskip(NEXT) | instid1(VALU_DEP_4)
	v_sub_co_ci_u32_e64 v33, null, 0, 0, s3
	v_add_co_u32 v10, s3, v10, v9
	s_delay_alu instid0(VALU_DEP_1) | instskip(SKIP_1) | instid1(VALU_DEP_1)
	v_add_co_ci_u32_e64 v11, s3, 0, v11, s3
	v_add_co_u32 v3, s3, s20, v3
	v_add_co_ci_u32_e64 v4, s3, s21, v4, s3
	s_cselect_b32 s40, -1, 0
	s_delay_alu instid0(VALU_DEP_2) | instskip(SKIP_1) | instid1(VALU_DEP_2)
	v_add_co_u32 v3, s3, v3, v8
	s_cmp_gt_i32 s42, 0
	v_add_co_ci_u32_e64 v4, s3, 0, v4, s3
	v_cmp_eq_u32_e64 s3, 3, v7
	v_and_b32_e32 v7, 0xfc, v0
	s_cselect_b32 s53, -1, 0
	s_add_u32 s16, s16, s4
	s_addc_u32 s17, s17, s5
	s_and_b32 s56, s8, s9
	s_add_u32 s57, s28, 8
	v_lshlrev_b32_e32 v1, 4, v25
	s_addc_u32 s58, s29, 0
	v_cmp_ne_u32_e64 s4, 0, v0
	v_cmp_lt_u32_e64 s5, 1, v0
	v_cmp_lt_u32_e64 s7, 7, v0
	;; [unrolled: 1-line block ×6, first 2 shown]
	v_cndmask_b32_e32 v3, v10, v3, vcc_lo
	s_add_u32 s59, s12, -4
	v_or_b32_e32 v45, 0xffffff00, v0
	v_add_co_u32 v0, s12, s50, v8
	v_or3_b32 v8, v7, v31, v26
	v_cndmask_b32_e32 v4, v11, v4, vcc_lo
	v_add_co_u32 v5, vcc_lo, s50, v5
	v_add_co_ci_u32_e32 v6, vcc_lo, s51, v6, vcc_lo
	v_or3_b32 v46, v1, v9, 0x1400
	v_add_co_ci_u32_e64 v1, null, s51, 0, s12
	s_movk_i32 s12, 0x3f8
	v_add_co_u32 v48, vcc_lo, v32, 64
	s_mov_b32 s49, 0
	v_add_nc_u32_e32 v36, 0xff8, v27
	v_lshlrev_b32_e32 v50, 2, v8
	v_or_b32_e32 v51, 0x1000, v7
	v_mov_b32_e32 v7, s14
	v_or_b32_e32 v28, 0x1400, v27
	v_or_b32_e32 v34, 0x1000, v27
	v_lshl_add_u32 v35, v15, 2, 0x1000
	v_dual_mov_b32 v8, s15 :: v_dual_add_nc_u32 v37, 0xff0, v27
	v_dual_mov_b32 v53, 0 :: v_dual_add_nc_u32 v38, 0xfe0, v27
	;; [unrolled: 1-line block ×3, first 2 shown]
	v_add_nc_u32_e32 v40, 0xf80, v27
	v_add_nc_u32_e32 v41, 0xf00, v27
	;; [unrolled: 1-line block ×3, first 2 shown]
	v_and_or_b32 v47, v27, s12, 0x1400
	v_add_co_ci_u32_e32 v49, vcc_lo, 0, v33, vcc_lo
	s_mul_i32 s48, s42, s42
	s_mov_b32 s43, s49
	s_mov_b32 s52, s37
	;; [unrolled: 1-line block ×3, first 2 shown]
	s_addc_u32 s60, s13, -1
	s_lshl_b64 s[20:21], s[48:49], 2
	s_lshl_b64 s[22:23], s[42:43], 2
	;; [unrolled: 1-line block ×3, first 2 shown]
	s_branch .LBB174_14
.LBB174_13:                             ;   in Loop: Header=BB174_14 Depth=1
	s_or_b32 exec_lo, exec_lo, s12
	s_waitcnt_vscnt null, 0x0
	s_barrier
	buffer_gl0_inv
	ds_load_b32 v53, v2 offset:6144
	v_ashrrev_i32_e32 v9, 31, v10
	v_add_co_u32 v7, s12, v7, v10
	s_waitcnt lgkmcnt(0)
	s_barrier
	s_delay_alu instid0(VALU_DEP_2)
	v_add_co_ci_u32_e64 v8, s12, v8, v9, s12
	buffer_gl0_inv
	v_cmp_le_i32_e32 vcc_lo, s41, v53
	v_add_nc_u32_e32 v54, 0x100, v53
	s_cbranch_vccnz .LBB174_98
.LBB174_14:                             ; =>This Loop Header: Depth=1
                                        ;     Child Loop BB174_17 Depth 2
                                        ;     Child Loop BB174_23 Depth 2
                                        ;       Child Loop BB174_36 Depth 3
                                        ;         Child Loop BB174_45 Depth 4
                                        ;         Child Loop BB174_50 Depth 4
                                        ;     Child Loop BB174_61 Depth 2
                                        ;     Child Loop BB174_70 Depth 2
	;; [unrolled: 1-line block ×3, first 2 shown]
	s_and_saveexec_b32 s12, s0
	s_cbranch_execz .LBB174_16
; %bb.15:                               ;   in Loop: Header=BB174_14 Depth=1
	ds_store_b32 v34, v2
.LBB174_16:                             ;   in Loop: Header=BB174_14 Depth=1
	s_or_b32 exec_lo, exec_lo, s12
	v_dual_mov_b32 v9, v27 :: v_dual_mov_b32 v10, v45
	s_mov_b32 s12, 0
.LBB174_17:                             ;   Parent Loop BB174_14 Depth=1
                                        ; =>  This Inner Loop Header: Depth=2
	s_delay_alu instid0(VALU_DEP_1) | instskip(SKIP_4) | instid1(SALU_CYCLE_1)
	v_add_nc_u32_e32 v10, 0x100, v10
	ds_store_b32 v9, v2
	v_add_nc_u32_e32 v9, 0x400, v9
	v_cmp_lt_u32_e32 vcc_lo, 0x2ff, v10
	s_or_b32 s12, vcc_lo, s12
	s_and_not1_b32 exec_lo, exec_lo, s12
	s_cbranch_execnz .LBB174_17
; %bb.18:                               ;   in Loop: Header=BB174_14 Depth=1
	s_or_b32 exec_lo, exec_lo, s12
	s_and_saveexec_b32 s12, s1
	s_cbranch_execz .LBB174_20
; %bb.19:                               ;   in Loop: Header=BB174_14 Depth=1
	v_mov_b32_e32 v9, s41
	ds_store_b32 v2, v9 offset:6144
.LBB174_20:                             ;   in Loop: Header=BB174_14 Depth=1
	s_or_b32 exec_lo, exec_lo, s12
	v_mov_b32_e32 v55, s41
	s_and_not1_b32 vcc_lo, exec_lo, s56
	s_waitcnt lgkmcnt(0)
	s_barrier
	buffer_gl0_inv
	s_cbranch_vccnz .LBB174_56
; %bb.21:                               ;   in Loop: Header=BB174_14 Depth=1
	v_cmp_ne_u32_e64 s12, 0, v53
	v_mov_b32_e32 v55, s41
	s_mov_b64 s[50:51], s[34:35]
	s_branch .LBB174_23
.LBB174_22:                             ;   in Loop: Header=BB174_23 Depth=2
	s_or_b32 exec_lo, exec_lo, s14
	s_add_u32 s50, s50, 64
	s_addc_u32 s51, s51, 0
	s_delay_alu instid0(SALU_CYCLE_1) | instskip(NEXT) | instid1(VALU_DEP_1)
	v_cmp_lt_i64_e64 s13, s[50:51], s[44:45]
	s_and_b32 vcc_lo, exec_lo, s13
	s_cbranch_vccz .LBB174_56
.LBB174_23:                             ;   Parent Loop BB174_14 Depth=1
                                        ; =>  This Loop Header: Depth=2
                                        ;       Child Loop BB174_36 Depth 3
                                        ;         Child Loop BB174_45 Depth 4
                                        ;         Child Loop BB174_50 Depth 4
	v_add_co_u32 v9, s13, s50, v25
	s_delay_alu instid0(VALU_DEP_1) | instskip(NEXT) | instid1(VALU_DEP_1)
	v_add_co_ci_u32_e64 v10, null, s51, 0, s13
	s_waitcnt_vscnt null, 0x0
	s_barrier
	buffer_gl0_inv
	v_cmp_gt_i64_e64 s13, s[44:45], v[9:10]
	s_delay_alu instid0(VALU_DEP_1)
	s_and_saveexec_b32 s14, s13
	s_cbranch_execz .LBB174_27
; %bb.24:                               ;   in Loop: Header=BB174_23 Depth=2
	v_mov_b32_e32 v11, 0
	s_and_saveexec_b32 s15, s2
	s_cbranch_execz .LBB174_26
; %bb.25:                               ;   in Loop: Header=BB174_23 Depth=2
	v_mad_u64_u32 v[11:12], null, v9, s48, 0
	s_delay_alu instid0(VALU_DEP_1) | instskip(NEXT) | instid1(VALU_DEP_1)
	v_mad_u64_u32 v[13:14], null, v10, s48, v[12:13]
	v_mov_b32_e32 v12, v13
	s_delay_alu instid0(VALU_DEP_1) | instskip(NEXT) | instid1(VALU_DEP_1)
	v_lshlrev_b64 v[11:12], 2, v[11:12]
	v_add_co_u32 v11, vcc_lo, v29, v11
	s_delay_alu instid0(VALU_DEP_2)
	v_add_co_ci_u32_e32 v12, vcc_lo, v30, v12, vcc_lo
	global_load_b32 v11, v[11:12], off
.LBB174_26:                             ;   in Loop: Header=BB174_23 Depth=2
	s_or_b32 exec_lo, exec_lo, s15
	s_waitcnt vmcnt(0)
	ds_store_b32 v28, v11
.LBB174_27:                             ;   in Loop: Header=BB174_23 Depth=2
	s_or_b32 exec_lo, exec_lo, s14
	v_mov_b32_e32 v11, 0
	v_mov_b32_e32 v12, 0
	s_waitcnt lgkmcnt(0)
	s_barrier
	buffer_gl0_inv
	s_and_saveexec_b32 s15, s13
	s_cbranch_execz .LBB174_53
; %bb.28:                               ;   in Loop: Header=BB174_23 Depth=2
	v_lshlrev_b64 v[11:12], 2, v[9:10]
	s_delay_alu instid0(VALU_DEP_1) | instskip(NEXT) | instid1(VALU_DEP_2)
	v_add_co_u32 v11, vcc_lo, s24, v11
	v_add_co_ci_u32_e32 v12, vcc_lo, s25, v12, vcc_lo
	s_and_b32 vcc_lo, exec_lo, s12
	global_load_b32 v11, v[11:12], off
	s_waitcnt vmcnt(0)
	v_subrev_nc_u32_e32 v13, s36, v11
	s_delay_alu instid0(VALU_DEP_1)
	v_ashrrev_i32_e32 v14, 31, v13
	s_cbranch_vccz .LBB174_55
; %bb.29:                               ;   in Loop: Header=BB174_23 Depth=2
	v_lshlrev_b64 v[11:12], 3, v[9:10]
	s_delay_alu instid0(VALU_DEP_1) | instskip(NEXT) | instid1(VALU_DEP_2)
	v_add_co_u32 v11, vcc_lo, s46, v11
	v_add_co_ci_u32_e32 v12, vcc_lo, s47, v12, vcc_lo
	global_load_b64 v[11:12], v[11:12], off
	s_cbranch_execnz .LBB174_31
.LBB174_30:                             ;   in Loop: Header=BB174_23 Depth=2
	s_waitcnt vmcnt(0)
	s_delay_alu instid0(VALU_DEP_1) | instskip(NEXT) | instid1(VALU_DEP_1)
	v_lshlrev_b64 v[11:12], 3, v[13:14]
	v_add_co_u32 v11, vcc_lo, s28, v11
	s_delay_alu instid0(VALU_DEP_2)
	v_add_co_ci_u32_e32 v12, vcc_lo, s29, v12, vcc_lo
	global_load_b64 v[11:12], v[11:12], off
	s_waitcnt vmcnt(0)
	v_sub_co_u32 v11, vcc_lo, v11, s52
	v_subrev_co_ci_u32_e32 v12, vcc_lo, 0, v12, vcc_lo
.LBB174_31:                             ;   in Loop: Header=BB174_23 Depth=2
	v_lshlrev_b64 v[13:14], 3, v[13:14]
	s_mov_b32 s43, exec_lo
	s_delay_alu instid0(VALU_DEP_1) | instskip(NEXT) | instid1(VALU_DEP_2)
	v_add_co_u32 v13, vcc_lo, s57, v13
	v_add_co_ci_u32_e32 v14, vcc_lo, s58, v14, vcc_lo
	global_load_b64 v[13:14], v[13:14], off
	s_waitcnt vmcnt(0)
	v_sub_co_u32 v13, vcc_lo, v13, s52
	v_subrev_co_ci_u32_e32 v14, vcc_lo, 0, v14, vcc_lo
	s_delay_alu instid0(VALU_DEP_1)
	v_cmpx_lt_i64_e64 v[11:12], v[13:14]
	s_cbranch_execz .LBB174_52
; %bb.32:                               ;   in Loop: Header=BB174_23 Depth=2
	v_mad_u64_u32 v[15:16], null, s20, v11, v[5:6]
	v_mul_lo_u32 v19, s20, v12
	v_mul_lo_u32 v20, s21, v11
	v_mad_u64_u32 v[17:18], null, s20, v11, v[0:1]
	s_mov_b32 s49, 0
	s_delay_alu instid0(VALU_DEP_2) | instskip(NEXT) | instid1(VALU_DEP_2)
	v_add3_u32 v16, v20, v16, v19
	v_add3_u32 v18, v20, v18, v19
	v_dual_mov_b32 v20, v12 :: v_dual_mov_b32 v19, v11
	s_branch .LBB174_36
.LBB174_33:                             ;   in Loop: Header=BB174_36 Depth=3
	v_or3_b32 v21, v56, v31, v26
	s_delay_alu instid0(VALU_DEP_2) | instskip(NEXT) | instid1(VALU_DEP_2)
	v_mul_f32_e32 v22, v23, v57
	v_lshlrev_b32_e32 v21, 2, v21
	ds_add_f32 v21, v22
.LBB174_34:                             ;   in Loop: Header=BB174_36 Depth=3
	s_or_b32 exec_lo, exec_lo, s63
	s_delay_alu instid0(SALU_CYCLE_1)
	s_or_b32 s61, s61, exec_lo
.LBB174_35:                             ;   in Loop: Header=BB174_36 Depth=3
	s_or_b32 exec_lo, exec_lo, s62
	v_add_co_u32 v11, vcc_lo, v11, 1
	v_add_co_ci_u32_e32 v12, vcc_lo, 0, v12, vcc_lo
	v_add_co_u32 v15, s14, v15, s20
	s_xor_b32 s61, s61, -1
	s_delay_alu instid0(VALU_DEP_2)
	v_cmp_ge_i64_e32 vcc_lo, v[11:12], v[13:14]
	v_add_co_ci_u32_e64 v16, s14, s21, v16, s14
	s_or_b32 s14, s61, vcc_lo
	v_add_co_u32 v17, vcc_lo, v17, s20
	v_add_co_ci_u32_e32 v18, vcc_lo, s21, v18, vcc_lo
	s_and_b32 s14, exec_lo, s14
	s_delay_alu instid0(SALU_CYCLE_1) | instskip(NEXT) | instid1(SALU_CYCLE_1)
	s_or_b32 s49, s14, s49
	s_and_not1_b32 exec_lo, exec_lo, s49
	s_cbranch_execz .LBB174_51
.LBB174_36:                             ;   Parent Loop BB174_14 Depth=1
                                        ;     Parent Loop BB174_23 Depth=2
                                        ; =>    This Loop Header: Depth=3
                                        ;         Child Loop BB174_45 Depth 4
                                        ;         Child Loop BB174_50 Depth 4
	v_lshlrev_b64 v[21:22], 2, v[11:12]
                                        ; implicit-def: $sgpr61
	s_delay_alu instid0(VALU_DEP_1) | instskip(NEXT) | instid1(VALU_DEP_2)
	v_add_co_u32 v21, vcc_lo, s30, v21
	v_add_co_ci_u32_e32 v22, vcc_lo, s31, v22, vcc_lo
	global_load_b32 v21, v[21:22], off
	s_waitcnt vmcnt(0)
	v_subrev_nc_u32_e32 v21, s37, v21
	s_delay_alu instid0(VALU_DEP_1) | instskip(SKIP_1) | instid1(VALU_DEP_2)
	v_cmp_lt_i32_e64 s14, v21, v53
	v_cmp_ge_i32_e32 vcc_lo, v21, v54
	s_or_b32 s14, s14, vcc_lo
	s_delay_alu instid0(SALU_CYCLE_1) | instskip(NEXT) | instid1(SALU_CYCLE_1)
	s_and_saveexec_b32 s62, s14
	s_xor_b32 s14, exec_lo, s62
	s_cbranch_execz .LBB174_40
; %bb.37:                               ;   in Loop: Header=BB174_36 Depth=3
	s_mov_b32 s61, -1
	s_and_saveexec_b32 s62, vcc_lo
; %bb.38:                               ;   in Loop: Header=BB174_36 Depth=3
	v_min_i32_e32 v55, v21, v55
	v_dual_mov_b32 v20, v12 :: v_dual_mov_b32 v19, v11
	s_xor_b32 s61, exec_lo, -1
; %bb.39:                               ;   in Loop: Header=BB174_36 Depth=3
	s_or_b32 exec_lo, exec_lo, s62
	s_delay_alu instid0(SALU_CYCLE_1)
	s_and_b32 s61, s61, exec_lo
                                        ; implicit-def: $vgpr21
.LBB174_40:                             ;   in Loop: Header=BB174_36 Depth=3
	s_and_not1_saveexec_b32 s62, s14
	s_cbranch_execz .LBB174_35
; %bb.41:                               ;   in Loop: Header=BB174_36 Depth=3
	v_sub_nc_u32_e32 v21, v21, v53
	s_delay_alu instid0(VALU_DEP_1)
	v_lshlrev_b32_e32 v56, 2, v21
	ds_store_b32 v56, v52 offset:4096
	s_and_saveexec_b32 s63, s2
	s_cbranch_execz .LBB174_34
; %bb.42:                               ;   in Loop: Header=BB174_36 Depth=3
	v_cndmask_b32_e64 v21, 0, 1, s53
	s_and_not1_b32 vcc_lo, exec_lo, s40
	s_delay_alu instid0(VALU_DEP_1)
	v_cmp_ne_u32_e64 s14, 1, v21
	s_cbranch_vccnz .LBB174_47
; %bb.43:                               ;   in Loop: Header=BB174_36 Depth=3
	v_mov_b32_e32 v57, 0
	s_delay_alu instid0(VALU_DEP_2)
	s_and_b32 vcc_lo, exec_lo, s14
	s_cbranch_vccnz .LBB174_46
; %bb.44:                               ;   in Loop: Header=BB174_36 Depth=3
	v_dual_mov_b32 v22, v16 :: v_dual_mov_b32 v21, v15
	v_mov_b32_e32 v58, v46
	s_mov_b32 s14, s42
.LBB174_45:                             ;   Parent Loop BB174_14 Depth=1
                                        ;     Parent Loop BB174_23 Depth=2
                                        ;       Parent Loop BB174_36 Depth=3
                                        ; =>      This Inner Loop Header: Depth=4
	global_load_b32 v59, v[21:22], off
	ds_load_b32 v60, v58
	v_add_co_u32 v21, vcc_lo, v21, 4
	v_add_nc_u32_e32 v58, 8, v58
	v_add_co_ci_u32_e32 v22, vcc_lo, 0, v22, vcc_lo
	s_add_i32 s14, s14, -1
	s_delay_alu instid0(SALU_CYCLE_1)
	s_cmp_lg_u32 s14, 0
	s_waitcnt vmcnt(0) lgkmcnt(0)
	v_fmac_f32_e32 v57, v60, v59
	s_cbranch_scc1 .LBB174_45
.LBB174_46:                             ;   in Loop: Header=BB174_36 Depth=3
	s_cbranch_execnz .LBB174_33
	s_branch .LBB174_48
.LBB174_47:                             ;   in Loop: Header=BB174_36 Depth=3
                                        ; implicit-def: $vgpr57
.LBB174_48:                             ;   in Loop: Header=BB174_36 Depth=3
	v_mov_b32_e32 v57, 0
	s_and_not1_b32 vcc_lo, exec_lo, s53
	s_cbranch_vccnz .LBB174_33
; %bb.49:                               ;   in Loop: Header=BB174_36 Depth=3
	v_mov_b32_e32 v22, v18
	v_dual_mov_b32 v58, v47 :: v_dual_mov_b32 v21, v17
	s_mov_b32 s14, s42
.LBB174_50:                             ;   Parent Loop BB174_14 Depth=1
                                        ;     Parent Loop BB174_23 Depth=2
                                        ;       Parent Loop BB174_36 Depth=3
                                        ; =>      This Inner Loop Header: Depth=4
	global_load_b32 v59, v[21:22], off
	ds_load_b32 v60, v58
	v_add_co_u32 v21, vcc_lo, v21, s22
	v_add_co_ci_u32_e32 v22, vcc_lo, s23, v22, vcc_lo
	v_add_nc_u32_e32 v58, 4, v58
	s_add_i32 s14, s14, -1
	s_delay_alu instid0(SALU_CYCLE_1)
	s_cmp_eq_u32 s14, 0
	s_waitcnt vmcnt(0) lgkmcnt(0)
	v_fmac_f32_e32 v57, v60, v59
	s_cbranch_scc0 .LBB174_50
	s_branch .LBB174_33
.LBB174_51:                             ;   in Loop: Header=BB174_23 Depth=2
	s_or_b32 exec_lo, exec_lo, s49
	v_dual_mov_b32 v11, v19 :: v_dual_mov_b32 v12, v20
.LBB174_52:                             ;   in Loop: Header=BB174_23 Depth=2
	s_or_b32 exec_lo, exec_lo, s43
.LBB174_53:                             ;   in Loop: Header=BB174_23 Depth=2
	s_delay_alu instid0(SALU_CYCLE_1)
	s_or_b32 exec_lo, exec_lo, s15
	s_waitcnt lgkmcnt(0)
	s_barrier
	buffer_gl0_inv
	s_and_saveexec_b32 s14, s13
	s_cbranch_execz .LBB174_22
; %bb.54:                               ;   in Loop: Header=BB174_23 Depth=2
	v_lshlrev_b64 v[9:10], 3, v[9:10]
	s_delay_alu instid0(VALU_DEP_1) | instskip(NEXT) | instid1(VALU_DEP_2)
	v_add_co_u32 v9, vcc_lo, s46, v9
	v_add_co_ci_u32_e32 v10, vcc_lo, s47, v10, vcc_lo
	global_store_b64 v[9:10], v[11:12], off
	s_branch .LBB174_22
.LBB174_55:                             ;   in Loop: Header=BB174_23 Depth=2
                                        ; implicit-def: $vgpr11_vgpr12
	s_branch .LBB174_30
.LBB174_56:                             ;   in Loop: Header=BB174_14 Depth=1
	s_and_not1_b32 vcc_lo, exec_lo, s33
	s_cbranch_vccnz .LBB174_68
; %bb.57:                               ;   in Loop: Header=BB174_14 Depth=1
	s_load_b128 s[12:15], s[16:17], 0x0
	s_mov_b32 s43, exec_lo
	s_waitcnt lgkmcnt(0)
	v_add_co_u32 v11, vcc_lo, s12, v32
	v_add_co_ci_u32_e32 v12, vcc_lo, s13, v33, vcc_lo
	s_sub_u32 s14, s14, s54
	s_subb_u32 s15, s15, 0
	s_delay_alu instid0(VALU_DEP_1) | instid1(SALU_CYCLE_1)
	v_cmpx_gt_i64_e64 s[14:15], v[11:12]
	s_cbranch_execz .LBB174_67
; %bb.58:                               ;   in Loop: Header=BB174_14 Depth=1
	v_lshlrev_b64 v[13:14], 2, v[11:12]
	v_mad_u64_u32 v[9:10], null, s20, v11, v[3:4]
	v_mul_lo_u32 v15, s20, v12
	v_mul_lo_u32 v16, s21, v11
	s_mov_b32 s49, 0
	s_delay_alu instid0(VALU_DEP_4) | instskip(SKIP_2) | instid1(VALU_DEP_4)
	v_add_co_u32 v11, vcc_lo, s18, v13
	v_add_co_ci_u32_e32 v12, vcc_lo, s19, v14, vcc_lo
	v_add_co_u32 v13, vcc_lo, v48, s12
	v_add3_u32 v10, v16, v10, v15
	v_add_co_ci_u32_e32 v14, vcc_lo, s13, v49, vcc_lo
	s_branch .LBB174_61
.LBB174_59:                             ;   in Loop: Header=BB174_61 Depth=2
	s_or_b32 exec_lo, exec_lo, s50
	s_delay_alu instid0(SALU_CYCLE_1)
	s_or_b32 s12, s12, exec_lo
.LBB174_60:                             ;   in Loop: Header=BB174_61 Depth=2
	s_or_b32 exec_lo, exec_lo, s13
	v_cmp_le_i64_e32 vcc_lo, s[14:15], v[13:14]
	s_xor_b32 s13, s12, -1
	v_add_co_u32 v11, s12, 0x100, v11
	s_delay_alu instid0(VALU_DEP_1)
	v_add_co_ci_u32_e64 v12, s12, 0, v12, s12
	s_or_b32 s12, s13, vcc_lo
	v_add_co_u32 v9, vcc_lo, v9, s26
	v_add_co_ci_u32_e32 v10, vcc_lo, s27, v10, vcc_lo
	v_add_co_u32 v13, vcc_lo, v13, 64
	v_add_co_ci_u32_e32 v14, vcc_lo, 0, v14, vcc_lo
	s_and_b32 s12, exec_lo, s12
	s_delay_alu instid0(SALU_CYCLE_1) | instskip(NEXT) | instid1(SALU_CYCLE_1)
	s_or_b32 s49, s12, s49
	s_and_not1_b32 exec_lo, exec_lo, s49
	s_cbranch_execz .LBB174_66
.LBB174_61:                             ;   Parent Loop BB174_14 Depth=1
                                        ; =>  This Inner Loop Header: Depth=2
	global_load_b32 v15, v[11:12], off
	s_waitcnt vmcnt(0)
	v_subrev_nc_u32_e32 v15, s39, v15
	s_delay_alu instid0(VALU_DEP_1) | instskip(SKIP_2) | instid1(VALU_DEP_2)
	v_cmp_lt_i32_e64 s12, v15, v53
	v_cmp_ge_i32_e64 s13, v15, v54
	v_cmp_lt_i32_e32 vcc_lo, v15, v54
	s_or_b32 s13, s12, s13
                                        ; implicit-def: $sgpr12
	s_delay_alu instid0(SALU_CYCLE_1) | instskip(NEXT) | instid1(SALU_CYCLE_1)
	s_and_saveexec_b32 s50, s13
	s_xor_b32 s13, exec_lo, s50
; %bb.62:                               ;   in Loop: Header=BB174_61 Depth=2
	v_min_i32_e32 v15, v15, v55
	s_and_b32 s12, vcc_lo, exec_lo
	s_delay_alu instid0(VALU_DEP_1)
	v_cndmask_b32_e32 v55, v15, v55, vcc_lo
                                        ; implicit-def: $vgpr15
; %bb.63:                               ;   in Loop: Header=BB174_61 Depth=2
	s_and_not1_saveexec_b32 s13, s13
	s_cbranch_execz .LBB174_60
; %bb.64:                               ;   in Loop: Header=BB174_61 Depth=2
	v_sub_nc_u32_e32 v15, v15, v53
	s_delay_alu instid0(VALU_DEP_1)
	v_lshlrev_b32_e32 v15, 2, v15
	ds_store_b32 v15, v52 offset:4096
	s_and_saveexec_b32 s50, s2
	s_cbranch_execz .LBB174_59
; %bb.65:                               ;   in Loop: Header=BB174_61 Depth=2
	global_load_b32 v16, v[9:10], off
	v_or3_b32 v15, v15, v31, v26
	s_waitcnt vmcnt(0)
	s_delay_alu instid0(VALU_DEP_1)
	v_dual_mul_f32 v16, v24, v16 :: v_dual_lshlrev_b32 v15, 2, v15
	ds_add_f32 v15, v16
	s_branch .LBB174_59
.LBB174_66:                             ;   in Loop: Header=BB174_14 Depth=1
	s_or_b32 exec_lo, exec_lo, s49
.LBB174_67:                             ;   in Loop: Header=BB174_14 Depth=1
	s_delay_alu instid0(SALU_CYCLE_1)
	s_or_b32 exec_lo, exec_lo, s43
.LBB174_68:                             ;   in Loop: Header=BB174_14 Depth=1
	s_and_saveexec_b32 s12, s3
	s_cbranch_execz .LBB174_73
; %bb.69:                               ;   in Loop: Header=BB174_14 Depth=1
	s_mov_b32 s14, exec_lo
	s_brev_b32 s13, -2
.LBB174_70:                             ;   Parent Loop BB174_14 Depth=1
                                        ; =>  This Inner Loop Header: Depth=2
	s_ctz_i32_b32 s15, s14
	s_delay_alu instid0(SALU_CYCLE_1) | instskip(SKIP_1) | instid1(SALU_CYCLE_1)
	v_readlane_b32 s43, v55, s15
	s_lshl_b32 s15, 1, s15
	s_and_not1_b32 s14, s14, s15
	s_delay_alu instid0(VALU_DEP_1)
	s_min_i32 s13, s13, s43
	s_cmp_lg_u32 s14, 0
	s_cbranch_scc1 .LBB174_70
; %bb.71:                               ;   in Loop: Header=BB174_14 Depth=1
	v_mbcnt_lo_u32_b32 v9, exec_lo, 0
	s_mov_b32 s14, exec_lo
	s_delay_alu instid0(VALU_DEP_1)
	v_cmpx_eq_u32_e32 0, v9
	s_xor_b32 s14, exec_lo, s14
	s_cbranch_execz .LBB174_73
; %bb.72:                               ;   in Loop: Header=BB174_14 Depth=1
	v_mov_b32_e32 v9, s13
	ds_min_i32 v2, v9 offset:6144
.LBB174_73:                             ;   in Loop: Header=BB174_14 Depth=1
	s_or_b32 exec_lo, exec_lo, s12
	s_waitcnt lgkmcnt(0)
	s_waitcnt_vscnt null, 0x0
	s_barrier
	buffer_gl0_inv
	ds_load_b32 v9, v34
	s_waitcnt lgkmcnt(0)
	s_barrier
	buffer_gl0_inv
	s_and_saveexec_b32 s12, s4
	s_cbranch_execz .LBB174_75
; %bb.74:                               ;   in Loop: Header=BB174_14 Depth=1
	ds_load_b32 v10, v35
	s_waitcnt lgkmcnt(0)
	v_add_nc_u32_e32 v9, v10, v9
.LBB174_75:                             ;   in Loop: Header=BB174_14 Depth=1
	s_or_b32 exec_lo, exec_lo, s12
	s_barrier
	buffer_gl0_inv
	ds_store_b32 v34, v9
	s_waitcnt lgkmcnt(0)
	s_barrier
	buffer_gl0_inv
	s_and_saveexec_b32 s12, s5
	s_cbranch_execz .LBB174_77
; %bb.76:                               ;   in Loop: Header=BB174_14 Depth=1
	ds_load_b32 v10, v36
	s_waitcnt lgkmcnt(0)
	v_add_nc_u32_e32 v9, v10, v9
.LBB174_77:                             ;   in Loop: Header=BB174_14 Depth=1
	s_or_b32 exec_lo, exec_lo, s12
	s_barrier
	buffer_gl0_inv
	ds_store_b32 v34, v9
	;; [unrolled: 14-line block ×8, first 2 shown]
	s_waitcnt lgkmcnt(0)
	s_barrier
	buffer_gl0_inv
	ds_load_b32 v10, v2 offset:5116
	v_mov_b32_e32 v11, 0
	s_and_saveexec_b32 s12, s55
	s_cbranch_execz .LBB174_91
; %bb.90:                               ;   in Loop: Header=BB174_14 Depth=1
	ds_load_b32 v11, v35
.LBB174_91:                             ;   in Loop: Header=BB174_14 Depth=1
	s_or_b32 exec_lo, exec_lo, s12
	s_waitcnt lgkmcnt(0)
	v_cmp_eq_u32_e32 vcc_lo, v9, v11
	s_barrier
	buffer_gl0_inv
	s_and_b32 s13, s55, vcc_lo
	s_delay_alu instid0(SALU_CYCLE_1)
	s_and_saveexec_b32 s12, s13
	s_cbranch_execz .LBB174_93
; %bb.92:                               ;   in Loop: Header=BB174_14 Depth=1
	ds_store_b32 v34, v2
.LBB174_93:                             ;   in Loop: Header=BB174_14 Depth=1
	s_or_b32 exec_lo, exec_lo, s12
	v_add_co_u32 v9, vcc_lo, v7, -1
	v_add_co_ci_u32_e32 v11, vcc_lo, -1, v8, vcc_lo
	v_dual_mov_b32 v13, v51 :: v_dual_add_nc_u32 v12, s38, v53
	v_dual_mov_b32 v14, v50 :: v_dual_mov_b32 v15, v25
	s_mov_b32 s12, 0
	s_waitcnt lgkmcnt(0)
	s_barrier
	buffer_gl0_inv
	s_branch .LBB174_95
.LBB174_94:                             ;   in Loop: Header=BB174_95 Depth=2
	s_or_b32 exec_lo, exec_lo, s13
	v_add_nc_u32_e32 v16, 64, v15
	v_cmp_lt_u32_e32 vcc_lo, 0xbf, v15
	v_add_nc_u32_e32 v14, 0x400, v14
	v_add_nc_u32_e32 v13, 0x100, v13
	s_delay_alu instid0(VALU_DEP_4) | instskip(SKIP_1) | instid1(SALU_CYCLE_1)
	v_mov_b32_e32 v15, v16
	s_or_b32 s12, vcc_lo, s12
	s_and_not1_b32 exec_lo, exec_lo, s12
	s_cbranch_execz .LBB174_13
.LBB174_95:                             ;   Parent Loop BB174_14 Depth=1
                                        ; =>  This Inner Loop Header: Depth=2
	ds_load_b32 v16, v13
	s_mov_b32 s13, exec_lo
	s_waitcnt lgkmcnt(0)
	v_cmpx_ne_u32_e32 0, v16
	s_cbranch_execz .LBB174_94
; %bb.96:                               ;   in Loop: Header=BB174_95 Depth=2
	v_ashrrev_i32_e32 v17, 31, v16
	v_add_co_u32 v18, vcc_lo, v7, v16
	v_add_nc_u32_e32 v20, v12, v15
	s_delay_alu instid0(VALU_DEP_3) | instskip(NEXT) | instid1(VALU_DEP_1)
	v_add_co_ci_u32_e32 v19, vcc_lo, v8, v17, vcc_lo
	v_lshlrev_b64 v[18:19], 2, v[18:19]
	s_delay_alu instid0(VALU_DEP_1) | instskip(NEXT) | instid1(VALU_DEP_2)
	v_add_co_u32 v18, vcc_lo, s59, v18
	v_add_co_ci_u32_e32 v19, vcc_lo, s60, v19, vcc_lo
	global_store_b32 v[18:19], v20, off
	s_and_b32 exec_lo, exec_lo, s2
	s_cbranch_execz .LBB174_94
; %bb.97:                               ;   in Loop: Header=BB174_95 Depth=2
	v_add_co_u32 v18, vcc_lo, v9, v16
	v_add_co_ci_u32_e32 v20, vcc_lo, v11, v17, vcc_lo
	s_delay_alu instid0(VALU_DEP_2) | instskip(NEXT) | instid1(VALU_DEP_1)
	v_mad_u64_u32 v[16:17], null, v18, s48, 0
	v_mad_u64_u32 v[18:19], null, v20, s48, v[17:18]
	ds_load_b32 v19, v14
	v_mov_b32_e32 v17, v18
	s_delay_alu instid0(VALU_DEP_1) | instskip(NEXT) | instid1(VALU_DEP_1)
	v_lshlrev_b64 v[16:17], 2, v[16:17]
	v_add_co_u32 v16, vcc_lo, v44, v16
	s_delay_alu instid0(VALU_DEP_2)
	v_add_co_ci_u32_e32 v17, vcc_lo, v43, v17, vcc_lo
	s_waitcnt lgkmcnt(0)
	global_store_b32 v[16:17], v19, off
	s_branch .LBB174_94
.LBB174_98:
	s_endpgm
	.section	.rodata,"a",@progbits
	.p2align	6, 0x0
	.amdhsa_kernel _ZN9rocsparseL38bsrgemm_block_per_row_atomic_multipassILj256ELj256ELj2ElifEEv20rocsparse_direction_T3_S2_PKS2_S4_NS_24const_host_device_scalarIT4_EEPKT2_S4_PKS6_SA_S4_SC_S7_SA_S4_SC_SA_PS2_PS6_PS8_21rocsparse_index_base_SG_SG_SG_bbb
		.amdhsa_group_segment_fixed_size 6148
		.amdhsa_private_segment_fixed_size 0
		.amdhsa_kernarg_size 172
		.amdhsa_user_sgpr_count 15
		.amdhsa_user_sgpr_dispatch_ptr 0
		.amdhsa_user_sgpr_queue_ptr 0
		.amdhsa_user_sgpr_kernarg_segment_ptr 1
		.amdhsa_user_sgpr_dispatch_id 0
		.amdhsa_user_sgpr_private_segment_size 0
		.amdhsa_wavefront_size32 1
		.amdhsa_uses_dynamic_stack 0
		.amdhsa_enable_private_segment 0
		.amdhsa_system_sgpr_workgroup_id_x 1
		.amdhsa_system_sgpr_workgroup_id_y 0
		.amdhsa_system_sgpr_workgroup_id_z 0
		.amdhsa_system_sgpr_workgroup_info 0
		.amdhsa_system_vgpr_workitem_id 0
		.amdhsa_next_free_vgpr 61
		.amdhsa_next_free_sgpr 64
		.amdhsa_reserve_vcc 1
		.amdhsa_float_round_mode_32 0
		.amdhsa_float_round_mode_16_64 0
		.amdhsa_float_denorm_mode_32 3
		.amdhsa_float_denorm_mode_16_64 3
		.amdhsa_dx10_clamp 1
		.amdhsa_ieee_mode 1
		.amdhsa_fp16_overflow 0
		.amdhsa_workgroup_processor_mode 1
		.amdhsa_memory_ordered 1
		.amdhsa_forward_progress 0
		.amdhsa_shared_vgpr_count 0
		.amdhsa_exception_fp_ieee_invalid_op 0
		.amdhsa_exception_fp_denorm_src 0
		.amdhsa_exception_fp_ieee_div_zero 0
		.amdhsa_exception_fp_ieee_overflow 0
		.amdhsa_exception_fp_ieee_underflow 0
		.amdhsa_exception_fp_ieee_inexact 0
		.amdhsa_exception_int_div_zero 0
	.end_amdhsa_kernel
	.section	.text._ZN9rocsparseL38bsrgemm_block_per_row_atomic_multipassILj256ELj256ELj2ElifEEv20rocsparse_direction_T3_S2_PKS2_S4_NS_24const_host_device_scalarIT4_EEPKT2_S4_PKS6_SA_S4_SC_S7_SA_S4_SC_SA_PS2_PS6_PS8_21rocsparse_index_base_SG_SG_SG_bbb,"axG",@progbits,_ZN9rocsparseL38bsrgemm_block_per_row_atomic_multipassILj256ELj256ELj2ElifEEv20rocsparse_direction_T3_S2_PKS2_S4_NS_24const_host_device_scalarIT4_EEPKT2_S4_PKS6_SA_S4_SC_S7_SA_S4_SC_SA_PS2_PS6_PS8_21rocsparse_index_base_SG_SG_SG_bbb,comdat
.Lfunc_end174:
	.size	_ZN9rocsparseL38bsrgemm_block_per_row_atomic_multipassILj256ELj256ELj2ElifEEv20rocsparse_direction_T3_S2_PKS2_S4_NS_24const_host_device_scalarIT4_EEPKT2_S4_PKS6_SA_S4_SC_S7_SA_S4_SC_SA_PS2_PS6_PS8_21rocsparse_index_base_SG_SG_SG_bbb, .Lfunc_end174-_ZN9rocsparseL38bsrgemm_block_per_row_atomic_multipassILj256ELj256ELj2ElifEEv20rocsparse_direction_T3_S2_PKS2_S4_NS_24const_host_device_scalarIT4_EEPKT2_S4_PKS6_SA_S4_SC_S7_SA_S4_SC_SA_PS2_PS6_PS8_21rocsparse_index_base_SG_SG_SG_bbb
                                        ; -- End function
	.section	.AMDGPU.csdata,"",@progbits
; Kernel info:
; codeLenInByte = 3944
; NumSgprs: 66
; NumVgprs: 61
; ScratchSize: 0
; MemoryBound: 0
; FloatMode: 240
; IeeeMode: 1
; LDSByteSize: 6148 bytes/workgroup (compile time only)
; SGPRBlocks: 8
; VGPRBlocks: 7
; NumSGPRsForWavesPerEU: 66
; NumVGPRsForWavesPerEU: 61
; Occupancy: 16
; WaveLimiterHint : 1
; COMPUTE_PGM_RSRC2:SCRATCH_EN: 0
; COMPUTE_PGM_RSRC2:USER_SGPR: 15
; COMPUTE_PGM_RSRC2:TRAP_HANDLER: 0
; COMPUTE_PGM_RSRC2:TGID_X_EN: 1
; COMPUTE_PGM_RSRC2:TGID_Y_EN: 0
; COMPUTE_PGM_RSRC2:TGID_Z_EN: 0
; COMPUTE_PGM_RSRC2:TIDIG_COMP_CNT: 0
	.section	.text._ZN9rocsparseL23bsrgemm_fill_wf_per_rowILj256ELj64ELj8ELj137ELj4ElifEEv20rocsparse_direction_T5_S2_S2_PKS2_S4_NS_24const_host_device_scalarIT6_EEPKT4_S4_PKS6_SA_S4_SC_S7_SA_S4_SC_SA_PS2_PS6_21rocsparse_index_base_SF_SF_SF_bbb,"axG",@progbits,_ZN9rocsparseL23bsrgemm_fill_wf_per_rowILj256ELj64ELj8ELj137ELj4ElifEEv20rocsparse_direction_T5_S2_S2_PKS2_S4_NS_24const_host_device_scalarIT6_EEPKT4_S4_PKS6_SA_S4_SC_S7_SA_S4_SC_SA_PS2_PS6_21rocsparse_index_base_SF_SF_SF_bbb,comdat
	.globl	_ZN9rocsparseL23bsrgemm_fill_wf_per_rowILj256ELj64ELj8ELj137ELj4ElifEEv20rocsparse_direction_T5_S2_S2_PKS2_S4_NS_24const_host_device_scalarIT6_EEPKT4_S4_PKS6_SA_S4_SC_S7_SA_S4_SC_SA_PS2_PS6_21rocsparse_index_base_SF_SF_SF_bbb ; -- Begin function _ZN9rocsparseL23bsrgemm_fill_wf_per_rowILj256ELj64ELj8ELj137ELj4ElifEEv20rocsparse_direction_T5_S2_S2_PKS2_S4_NS_24const_host_device_scalarIT6_EEPKT4_S4_PKS6_SA_S4_SC_S7_SA_S4_SC_SA_PS2_PS6_21rocsparse_index_base_SF_SF_SF_bbb
	.p2align	8
	.type	_ZN9rocsparseL23bsrgemm_fill_wf_per_rowILj256ELj64ELj8ELj137ELj4ElifEEv20rocsparse_direction_T5_S2_S2_PKS2_S4_NS_24const_host_device_scalarIT6_EEPKT4_S4_PKS6_SA_S4_SC_S7_SA_S4_SC_SA_PS2_PS6_21rocsparse_index_base_SF_SF_SF_bbb,@function
_ZN9rocsparseL23bsrgemm_fill_wf_per_rowILj256ELj64ELj8ELj137ELj4ElifEEv20rocsparse_direction_T5_S2_S2_PKS2_S4_NS_24const_host_device_scalarIT6_EEPKT4_S4_PKS6_SA_S4_SC_S7_SA_S4_SC_SA_PS2_PS6_21rocsparse_index_base_SF_SF_SF_bbb: ; @_ZN9rocsparseL23bsrgemm_fill_wf_per_rowILj256ELj64ELj8ELj137ELj4ElifEEv20rocsparse_direction_T5_S2_S2_PKS2_S4_NS_24const_host_device_scalarIT6_EEPKT4_S4_PKS6_SA_S4_SC_S7_SA_S4_SC_SA_PS2_PS6_21rocsparse_index_base_SF_SF_SF_bbb
; %bb.0:
	s_clause 0x2
	s_load_b32 s6, s[0:1], 0xa0
	s_load_b64 s[4:5], s[0:1], 0x20
	s_load_b64 s[2:3], s[0:1], 0x58
	s_waitcnt lgkmcnt(0)
	s_bitcmp1_b32 s6, 0
	s_cselect_b32 s12, -1, 0
	s_bitcmp1_b32 s6, 16
	s_cselect_b32 s7, -1, 0
	s_xor_b32 s8, s12, -1
	s_delay_alu instid0(SALU_CYCLE_1) | instskip(NEXT) | instid1(SALU_CYCLE_1)
	s_or_b32 s8, s8, s7
	s_and_b32 vcc_lo, exec_lo, s8
	s_cbranch_vccnz .LBB175_2
; %bb.1:
	s_load_b32 s4, s[4:5], 0x0
	s_waitcnt lgkmcnt(0)
	v_mov_b32_e32 v34, s4
	s_branch .LBB175_3
.LBB175_2:
	v_cndmask_b32_e64 v34, 0, s4, s12
.LBB175_3:
	s_load_b128 s[36:39], s[0:1], 0x90
	s_bitcmp1_b32 s6, 8
	s_cselect_b32 s14, -1, 0
	s_delay_alu instid0(SALU_CYCLE_1) | instskip(NEXT) | instid1(SALU_CYCLE_1)
	s_xor_b32 s4, s14, -1
	s_or_b32 s4, s4, s7
	s_delay_alu instid0(SALU_CYCLE_1)
	s_and_b32 vcc_lo, exec_lo, s4
	s_cbranch_vccnz .LBB175_5
; %bb.4:
	s_load_b32 s2, s[2:3], 0x0
	s_waitcnt lgkmcnt(0)
	v_mov_b32_e32 v30, s2
	s_branch .LBB175_6
.LBB175_5:
	v_cndmask_b32_e64 v30, 0, s2, s14
.LBB175_6:
	s_clause 0x4
	s_load_b128 s[40:43], s[0:1], 0x80
	s_load_b256 s[16:23], s[0:1], 0x60
	s_load_b128 s[44:47], s[0:1], 0x48
	s_load_b256 s[4:11], s[0:1], 0x0
	s_load_b256 s[24:31], s[0:1], 0x28
	v_lshrrev_b32_e32 v28, 6, v0
	v_and_b32_e32 v3, 63, v0
	s_mov_b32 s0, exec_lo
	s_delay_alu instid0(VALU_DEP_2) | instskip(NEXT) | instid1(VALU_DEP_2)
	v_lshl_or_b32 v27, v28, 5, 0x800
	v_cmpx_gt_u32_e32 8, v3
	s_cbranch_execz .LBB175_8
; %bb.7:
	s_delay_alu instid0(VALU_DEP_2)
	v_lshl_add_u32 v1, v3, 2, v27
	s_waitcnt lgkmcnt(0)
	v_mov_b32_e32 v2, s6
	ds_store_b32 v1, v2
.LBB175_8:
	s_or_b32 exec_lo, exec_lo, s0
	v_dual_mov_b32 v4, 0 :: v_dual_lshlrev_b32 v29, 9, v28
	v_or_b32_e32 v1, 0xffffffc0, v3
	s_mov_b32 s0, 0
	s_delay_alu instid0(VALU_DEP_2)
	v_lshl_or_b32 v2, v3, 2, v29
.LBB175_9:                              ; =>This Inner Loop Header: Depth=1
	s_delay_alu instid0(VALU_DEP_2) | instskip(NEXT) | instid1(VALU_DEP_1)
	v_add_co_u32 v1, s1, v1, 64
	s_xor_b32 s1, s1, -1
	ds_store_b32 v2, v4
	v_add_nc_u32_e32 v2, 0x100, v2
	s_and_b32 s1, exec_lo, s1
	s_delay_alu instid0(SALU_CYCLE_1) | instskip(NEXT) | instid1(SALU_CYCLE_1)
	s_or_b32 s0, s1, s0
	s_and_not1_b32 exec_lo, exec_lo, s0
	s_cbranch_execnz .LBB175_9
; %bb.10:
	s_or_b32 exec_lo, exec_lo, s0
	v_lshl_or_b32 v1, s15, 2, v28
	s_waitcnt lgkmcnt(0)
	s_barrier
	buffer_gl0_inv
	s_mov_b32 s0, exec_lo
	v_cmpx_gt_i32_e64 s5, v1
	s_cbranch_execz .LBB175_66
; %bb.11:
	s_cmp_eq_u64 s[10:11], 0
	s_cbranch_scc1 .LBB175_13
; %bb.12:
	s_load_b32 s0, s[8:9], 0x0
	s_waitcnt lgkmcnt(0)
	v_add_nc_u32_e32 v1, s0, v1
	s_delay_alu instid0(VALU_DEP_1) | instskip(NEXT) | instid1(VALU_DEP_1)
	v_ashrrev_i32_e32 v2, 31, v1
	v_lshlrev_b64 v[1:2], 2, v[1:2]
	s_delay_alu instid0(VALU_DEP_1) | instskip(NEXT) | instid1(VALU_DEP_2)
	v_add_co_u32 v1, vcc_lo, s10, v1
	v_add_co_ci_u32_e32 v2, vcc_lo, s11, v2, vcc_lo
	global_load_b32 v1, v[1:2], off
.LBB175_13:
	s_waitcnt vmcnt(0)
	v_ashrrev_i32_e32 v2, 31, v1
	v_lshrrev_b32_e32 v31, 4, v3
	v_and_b32_e32 v32, 3, v0
	v_bfe_u32 v33, v0, 2, 2
	s_and_not1_b32 vcc_lo, exec_lo, s12
	v_lshlrev_b64 v[5:6], 3, v[1:2]
	s_mul_i32 s2, s7, s7
	s_cbranch_vccnz .LBB175_43
; %bb.14:
	s_delay_alu instid0(VALU_DEP_1) | instskip(NEXT) | instid1(VALU_DEP_2)
	v_add_co_u32 v1, vcc_lo, s24, v5
	v_add_co_ci_u32_e32 v2, vcc_lo, s25, v6, vcc_lo
	v_sub_co_u32 v9, s0, v31, s36
	s_delay_alu instid0(VALU_DEP_1)
	v_sub_co_ci_u32_e64 v10, null, 0, 0, s0
	global_load_b128 v[1:4], v[1:2], off
	s_mov_b32 s3, 0
	s_mov_b32 s5, exec_lo
	s_waitcnt vmcnt(0)
	v_sub_co_u32 v7, vcc_lo, v3, s36
	v_subrev_co_ci_u32_e32 v8, vcc_lo, 0, v4, vcc_lo
	v_add_co_u32 v9, vcc_lo, v1, v9
	v_add_co_ci_u32_e32 v10, vcc_lo, v2, v10, vcc_lo
	s_delay_alu instid0(VALU_DEP_1)
	v_cmpx_lt_i64_e64 v[9:10], v[7:8]
	s_cbranch_execz .LBB175_42
; %bb.15:
	v_mad_u64_u32 v[1:2], null, v9, s2, 0
	v_mul_lo_u32 v11, v32, s7
	v_dual_mov_b32 v12, 0 :: v_dual_and_b32 v35, 15, v0
	v_mul_lo_u32 v13, v33, s7
	v_max_i32_e32 v15, v32, v33
	v_lshlrev_b32_e32 v18, 2, v32
	v_mad_u64_u32 v[3:4], null, v10, s2, v[2:3]
	v_dual_mov_b32 v14, v12 :: v_dual_lshlrev_b32 v17, 2, v33
	s_delay_alu instid0(VALU_DEP_4) | instskip(SKIP_3) | instid1(VALU_DEP_3)
	v_cmp_gt_i32_e64 s0, s7, v15
	s_cmp_lg_u32 s4, 0
	s_mov_b32 s12, s7
	s_cselect_b32 s24, -1, 0
	v_mov_b32_e32 v2, v3
	v_lshlrev_b64 v[3:4], 2, v[11:12]
	v_lshlrev_b64 v[15:16], 2, v[13:14]
	s_cmp_gt_i32 s7, 0
	s_mov_b32 s13, s3
	v_lshlrev_b64 v[1:2], 2, v[1:2]
	s_mov_b32 s15, s37
	s_cselect_b32 s25, -1, 0
	s_lshl_b64 s[8:9], s[2:3], 2
	s_lshl_b64 s[10:11], s[2:3], 4
	;; [unrolled: 1-line block ×3, first 2 shown]
	v_add_co_u32 v13, vcc_lo, v1, v17
	v_add_co_ci_u32_e32 v14, vcc_lo, 0, v2, vcc_lo
	v_add_co_u32 v11, vcc_lo, s46, v3
	v_add_co_ci_u32_e32 v12, vcc_lo, s47, v4, vcc_lo
	s_delay_alu instid0(VALU_DEP_4) | instskip(NEXT) | instid1(VALU_DEP_4)
	v_add_co_u32 v13, vcc_lo, s28, v13
	v_add_co_ci_u32_e32 v14, vcc_lo, s29, v14, vcc_lo
	v_add_co_u32 v1, vcc_lo, v1, v15
	v_add_co_ci_u32_e32 v2, vcc_lo, v2, v16, vcc_lo
	v_add_co_u32 v15, s1, s46, v18
	s_delay_alu instid0(VALU_DEP_3) | instskip(SKIP_1) | instid1(VALU_DEP_4)
	v_add_co_u32 v17, vcc_lo, s28, v1
	v_add_co_ci_u32_e64 v16, null, s47, 0, s1
	v_add_co_ci_u32_e32 v18, vcc_lo, s29, v2, vcc_lo
	s_branch .LBB175_17
.LBB175_16:                             ;   in Loop: Header=BB175_17 Depth=1
	s_or_b32 exec_lo, exec_lo, s28
	v_add_co_u32 v9, vcc_lo, v9, 4
	v_add_co_ci_u32_e32 v10, vcc_lo, 0, v10, vcc_lo
	v_add_co_u32 v13, vcc_lo, v13, s10
	v_add_co_ci_u32_e32 v14, vcc_lo, s11, v14, vcc_lo
	s_delay_alu instid0(VALU_DEP_3) | instskip(SKIP_1) | instid1(VALU_DEP_1)
	v_cmp_ge_i64_e32 vcc_lo, v[9:10], v[7:8]
	v_add_co_u32 v17, s1, v17, s10
	v_add_co_ci_u32_e64 v18, s1, s11, v18, s1
	s_or_b32 s3, vcc_lo, s3
	s_delay_alu instid0(SALU_CYCLE_1)
	s_and_not1_b32 exec_lo, exec_lo, s3
	s_cbranch_execz .LBB175_42
.LBB175_17:                             ; =>This Loop Header: Depth=1
                                        ;     Child Loop BB175_20 Depth 2
                                        ;       Child Loop BB175_24 Depth 3
                                        ;       Child Loop BB175_29 Depth 3
	;; [unrolled: 1-line block ×3, first 2 shown]
	v_lshlrev_b64 v[1:2], 2, v[9:10]
	s_mov_b32 s28, exec_lo
	s_delay_alu instid0(VALU_DEP_1) | instskip(NEXT) | instid1(VALU_DEP_2)
	v_add_co_u32 v1, vcc_lo, s26, v1
	v_add_co_ci_u32_e32 v2, vcc_lo, s27, v2, vcc_lo
	global_load_b32 v1, v[1:2], off
	s_waitcnt vmcnt(0)
	v_subrev_nc_u32_e32 v1, s36, v1
	s_delay_alu instid0(VALU_DEP_1) | instskip(NEXT) | instid1(VALU_DEP_1)
	v_ashrrev_i32_e32 v2, 31, v1
	v_lshlrev_b64 v[1:2], 3, v[1:2]
	s_delay_alu instid0(VALU_DEP_1) | instskip(NEXT) | instid1(VALU_DEP_2)
	v_add_co_u32 v1, vcc_lo, s30, v1
	v_add_co_ci_u32_e32 v2, vcc_lo, s31, v2, vcc_lo
	global_load_b128 v[1:4], v[1:2], off
	s_waitcnt vmcnt(0)
	v_cmpx_lt_i64_e64 v[1:2], v[3:4]
	s_cbranch_execz .LBB175_16
; %bb.18:                               ;   in Loop: Header=BB175_17 Depth=1
	v_sub_co_u32 v1, vcc_lo, v1, s15
	v_subrev_co_ci_u32_e32 v2, vcc_lo, 0, v2, vcc_lo
	v_sub_co_u32 v3, vcc_lo, v3, s15
	s_delay_alu instid0(VALU_DEP_3) | instskip(NEXT) | instid1(VALU_DEP_3)
	v_mad_u64_u32 v[19:20], null, s8, v1, v[11:12]
	v_mul_lo_u32 v23, s8, v2
	v_mul_lo_u32 v24, s9, v1
	v_mad_u64_u32 v[21:22], null, s8, v1, v[15:16]
	v_subrev_co_ci_u32_e32 v4, vcc_lo, 0, v4, vcc_lo
	s_mov_b32 s29, 0
	s_delay_alu instid0(VALU_DEP_3) | instskip(NEXT) | instid1(VALU_DEP_3)
	v_add3_u32 v20, v24, v20, v23
	v_add3_u32 v22, v24, v22, v23
	s_branch .LBB175_20
.LBB175_19:                             ;   in Loop: Header=BB175_20 Depth=2
	s_or_b32 exec_lo, exec_lo, s33
	v_add_co_u32 v1, vcc_lo, v1, 1
	v_add_co_ci_u32_e32 v2, vcc_lo, 0, v2, vcc_lo
	v_add_co_u32 v19, vcc_lo, v19, s8
	v_add_co_ci_u32_e32 v20, vcc_lo, s9, v20, vcc_lo
	s_delay_alu instid0(VALU_DEP_3) | instskip(SKIP_1) | instid1(VALU_DEP_1)
	v_cmp_ge_i64_e32 vcc_lo, v[1:2], v[3:4]
	v_add_co_u32 v21, s1, v21, s8
	v_add_co_ci_u32_e64 v22, s1, s9, v22, s1
	s_or_b32 s29, vcc_lo, s29
	s_delay_alu instid0(SALU_CYCLE_1)
	s_and_not1_b32 exec_lo, exec_lo, s29
	s_cbranch_execz .LBB175_16
.LBB175_20:                             ;   Parent Loop BB175_17 Depth=1
                                        ; =>  This Loop Header: Depth=2
                                        ;       Child Loop BB175_24 Depth 3
                                        ;       Child Loop BB175_29 Depth 3
	;; [unrolled: 1-line block ×3, first 2 shown]
	s_and_saveexec_b32 s33, s0
	s_cbranch_execz .LBB175_19
; %bb.21:                               ;   in Loop: Header=BB175_20 Depth=2
	v_lshlrev_b64 v[23:24], 2, v[1:2]
	s_delay_alu instid0(VALU_DEP_1) | instskip(NEXT) | instid1(VALU_DEP_2)
	v_add_co_u32 v23, vcc_lo, s44, v23
	v_add_co_ci_u32_e32 v24, vcc_lo, s45, v24, vcc_lo
	s_and_not1_b32 vcc_lo, exec_lo, s24
	global_load_b32 v36, v[23:24], off
	v_cndmask_b32_e64 v23, 0, 1, s25
	s_delay_alu instid0(VALU_DEP_1)
	v_cmp_ne_u32_e64 s1, 1, v23
	s_cbranch_vccnz .LBB175_26
; %bb.22:                               ;   in Loop: Header=BB175_20 Depth=2
	v_mov_b32_e32 v37, 0
	s_delay_alu instid0(VALU_DEP_2)
	s_and_b32 vcc_lo, exec_lo, s1
	s_cbranch_vccnz .LBB175_25
; %bb.23:                               ;   in Loop: Header=BB175_20 Depth=2
	v_dual_mov_b32 v24, v14 :: v_dual_mov_b32 v23, v13
	v_dual_mov_b32 v26, v20 :: v_dual_mov_b32 v25, v19
	s_mov_b32 s1, s7
.LBB175_24:                             ;   Parent Loop BB175_17 Depth=1
                                        ;     Parent Loop BB175_20 Depth=2
                                        ; =>    This Inner Loop Header: Depth=3
	global_load_b32 v38, v[23:24], off
	global_load_b32 v39, v[25:26], off
	v_add_co_u32 v25, vcc_lo, v25, 4
	v_add_co_ci_u32_e32 v26, vcc_lo, 0, v26, vcc_lo
	v_add_co_u32 v23, vcc_lo, v23, s12
	v_add_co_ci_u32_e32 v24, vcc_lo, s13, v24, vcc_lo
	s_add_i32 s1, s1, -1
	s_delay_alu instid0(SALU_CYCLE_1)
	s_cmp_lg_u32 s1, 0
	s_waitcnt vmcnt(0)
	v_fmac_f32_e32 v37, v38, v39
	s_cbranch_scc1 .LBB175_24
.LBB175_25:                             ;   in Loop: Header=BB175_20 Depth=2
	s_cbranch_execz .LBB175_27
	s_branch .LBB175_30
.LBB175_26:                             ;   in Loop: Header=BB175_20 Depth=2
                                        ; implicit-def: $vgpr37
.LBB175_27:                             ;   in Loop: Header=BB175_20 Depth=2
	v_mov_b32_e32 v37, 0
	s_and_not1_b32 vcc_lo, exec_lo, s25
	s_cbranch_vccnz .LBB175_30
; %bb.28:                               ;   in Loop: Header=BB175_20 Depth=2
	v_dual_mov_b32 v24, v18 :: v_dual_mov_b32 v23, v17
	v_dual_mov_b32 v26, v22 :: v_dual_mov_b32 v25, v21
	s_mov_b32 s1, s7
.LBB175_29:                             ;   Parent Loop BB175_17 Depth=1
                                        ;     Parent Loop BB175_20 Depth=2
                                        ; =>    This Inner Loop Header: Depth=3
	global_load_b32 v38, v[23:24], off
	global_load_b32 v39, v[25:26], off
	v_add_co_u32 v25, vcc_lo, v25, s12
	v_add_co_ci_u32_e32 v26, vcc_lo, s13, v26, vcc_lo
	v_add_co_u32 v23, vcc_lo, v23, 4
	v_add_co_ci_u32_e32 v24, vcc_lo, 0, v24, vcc_lo
	s_add_i32 s1, s1, -1
	s_delay_alu instid0(SALU_CYCLE_1)
	s_cmp_eq_u32 s1, 0
	s_waitcnt vmcnt(0)
	v_fmac_f32_e32 v37, v38, v39
	s_cbranch_scc0 .LBB175_29
.LBB175_30:                             ;   in Loop: Header=BB175_20 Depth=2
	s_waitcnt vmcnt(0)
	v_subrev_nc_u32_e32 v23, s37, v36
	s_delay_alu instid0(VALU_DEP_2) | instskip(SKIP_1) | instid1(VALU_DEP_2)
	v_mul_f32_e32 v24, v34, v37
	s_mov_b32 s1, 0
	v_and_b32_e32 v25, 7, v23
	s_branch .LBB175_32
.LBB175_31:                             ;   in Loop: Header=BB175_32 Depth=3
	s_or_b32 exec_lo, exec_lo, s34
	s_xor_b32 s34, s35, -1
	s_delay_alu instid0(SALU_CYCLE_1) | instskip(NEXT) | instid1(SALU_CYCLE_1)
	s_and_b32 s34, exec_lo, s34
	s_or_b32 s1, s34, s1
	s_delay_alu instid0(SALU_CYCLE_1)
	s_and_not1_b32 exec_lo, exec_lo, s1
	s_cbranch_execz .LBB175_19
.LBB175_32:                             ;   Parent Loop BB175_17 Depth=1
                                        ;     Parent Loop BB175_20 Depth=2
                                        ; =>    This Inner Loop Header: Depth=3
	s_delay_alu instid0(VALU_DEP_1)
	v_lshl_add_u32 v26, v25, 2, v27
	s_mov_b32 s34, exec_lo
                                        ; implicit-def: $sgpr35
	ds_load_b32 v36, v26
	s_waitcnt lgkmcnt(0)
	v_cmpx_ne_u32_e64 v36, v23
	s_xor_b32 s34, exec_lo, s34
	s_cbranch_execz .LBB175_40
; %bb.33:                               ;   in Loop: Header=BB175_32 Depth=3
	s_mov_b32 s46, exec_lo
                                        ; implicit-def: $sgpr35
	v_cmpx_ne_u32_e64 s6, v36
	s_xor_b32 s46, exec_lo, s46
; %bb.34:                               ;   in Loop: Header=BB175_32 Depth=3
	v_add_nc_u32_e32 v25, 1, v25
	s_mov_b32 s35, -1
                                        ; implicit-def: $vgpr26
	s_delay_alu instid0(VALU_DEP_1)
	v_and_b32_e32 v25, 7, v25
; %bb.35:                               ;   in Loop: Header=BB175_32 Depth=3
	s_and_not1_saveexec_b32 s46, s46
	s_cbranch_execz .LBB175_39
; %bb.36:                               ;   in Loop: Header=BB175_32 Depth=3
	v_mov_b32_e32 v36, s6
	s_mov_b32 s48, -1
	s_mov_b32 s47, exec_lo
	ds_cmpstore_rtn_b32 v26, v26, v23, v36
	s_waitcnt lgkmcnt(0)
	v_cmpx_eq_u32_e64 s6, v26
	s_cbranch_execz .LBB175_38
; %bb.37:                               ;   in Loop: Header=BB175_32 Depth=3
	v_lshlrev_b32_e32 v26, 2, v35
	s_xor_b32 s48, exec_lo, -1
	s_delay_alu instid0(VALU_DEP_1) | instskip(NEXT) | instid1(VALU_DEP_1)
	v_lshl_or_b32 v26, v25, 6, v26
	v_add_nc_u32_e32 v26, v29, v26
	ds_add_f32 v26, v24
.LBB175_38:                             ;   in Loop: Header=BB175_32 Depth=3
	s_or_b32 exec_lo, exec_lo, s47
	s_delay_alu instid0(SALU_CYCLE_1) | instskip(SKIP_1) | instid1(SALU_CYCLE_1)
	s_and_not1_b32 s35, s35, exec_lo
	s_and_b32 s47, s48, exec_lo
	s_or_b32 s35, s35, s47
.LBB175_39:                             ;   in Loop: Header=BB175_32 Depth=3
	s_or_b32 exec_lo, exec_lo, s46
	s_delay_alu instid0(SALU_CYCLE_1)
	s_and_b32 s35, s35, exec_lo
.LBB175_40:                             ;   in Loop: Header=BB175_32 Depth=3
	s_and_not1_saveexec_b32 s34, s34
	s_cbranch_execz .LBB175_31
; %bb.41:                               ;   in Loop: Header=BB175_32 Depth=3
	v_lshlrev_b32_e32 v26, 2, v35
	s_and_not1_b32 s35, s35, exec_lo
	s_delay_alu instid0(VALU_DEP_1) | instskip(NEXT) | instid1(VALU_DEP_1)
	v_lshl_or_b32 v26, v25, 6, v26
	v_add_nc_u32_e32 v26, v29, v26
	ds_add_f32 v26, v24
	s_branch .LBB175_31
.LBB175_42:
	s_or_b32 exec_lo, exec_lo, s5
.LBB175_43:
	s_delay_alu instid0(SALU_CYCLE_1)
	s_and_not1_b32 vcc_lo, exec_lo, s14
	s_waitcnt lgkmcnt(0)
	s_barrier
	buffer_gl0_inv
	s_cbranch_vccnz .LBB175_61
; %bb.44:
	v_add_co_u32 v1, vcc_lo, s16, v5
	v_add_co_ci_u32_e32 v2, vcc_lo, s17, v6, vcc_lo
	v_sub_co_u32 v3, s0, v31, s39
	s_delay_alu instid0(VALU_DEP_1)
	v_sub_co_ci_u32_e64 v4, null, 0, 0, s0
	global_load_b128 v[7:10], v[1:2], off
	s_mov_b32 s3, 0
	s_mov_b32 s1, exec_lo
	s_waitcnt vmcnt(0)
	v_sub_co_u32 v1, vcc_lo, v9, s39
	v_subrev_co_ci_u32_e32 v2, vcc_lo, 0, v10, vcc_lo
	v_add_co_u32 v3, vcc_lo, v7, v3
	v_add_co_ci_u32_e32 v4, vcc_lo, v8, v4, vcc_lo
	s_delay_alu instid0(VALU_DEP_1)
	v_cmpx_lt_i64_e64 v[3:4], v[1:2]
	s_cbranch_execz .LBB175_60
; %bb.45:
	v_mul_lo_u32 v7, v32, s7
	v_dual_mov_b32 v8, 0 :: v_dual_lshlrev_b32 v13, 2, v32
	v_lshlrev_b32_e32 v12, 2, v33
	v_max_i32_e32 v11, v32, v33
	s_cmp_eq_u32 s4, 0
	s_cselect_b32 s0, -1, 0
	s_delay_alu instid0(VALU_DEP_4) | instskip(SKIP_1) | instid1(VALU_DEP_2)
	v_lshlrev_b64 v[9:10], 2, v[7:8]
	v_mul_lo_u32 v7, v33, s7
	v_add_co_u32 v9, vcc_lo, s20, v9
	s_delay_alu instid0(VALU_DEP_3) | instskip(NEXT) | instid1(VALU_DEP_3)
	v_add_co_ci_u32_e32 v10, vcc_lo, s21, v10, vcc_lo
	v_lshlrev_b64 v[7:8], 2, v[7:8]
	s_delay_alu instid0(VALU_DEP_1) | instskip(NEXT) | instid1(VALU_DEP_2)
	v_add_co_u32 v7, vcc_lo, s20, v7
	v_add_co_ci_u32_e32 v8, vcc_lo, s21, v8, vcc_lo
	v_add_co_u32 v9, vcc_lo, v9, v12
	v_add_co_ci_u32_e32 v10, vcc_lo, 0, v10, vcc_lo
	s_delay_alu instid0(VALU_DEP_4) | instskip(NEXT) | instid1(VALU_DEP_4)
	v_add_co_u32 v7, vcc_lo, v7, v13
	v_add_co_ci_u32_e32 v8, vcc_lo, 0, v8, vcc_lo
	v_and_b32_e32 v12, 15, v0
	v_cmp_gt_i32_e32 vcc_lo, s7, v11
	s_delay_alu instid0(VALU_DEP_4) | instskip(NEXT) | instid1(VALU_DEP_4)
	v_cndmask_b32_e64 v7, v9, v7, s0
	v_cndmask_b32_e64 v0, v10, v8, s0
	s_delay_alu instid0(VALU_DEP_4)
	v_lshlrev_b32_e32 v8, 2, v12
	s_branch .LBB175_47
.LBB175_46:                             ;   in Loop: Header=BB175_47 Depth=1
	s_or_b32 exec_lo, exec_lo, s5
	v_add_co_u32 v3, s0, v3, 4
	s_delay_alu instid0(VALU_DEP_1) | instskip(NEXT) | instid1(VALU_DEP_1)
	v_add_co_ci_u32_e64 v4, s0, 0, v4, s0
	v_cmp_ge_i64_e64 s0, v[3:4], v[1:2]
	s_delay_alu instid0(VALU_DEP_1) | instskip(NEXT) | instid1(SALU_CYCLE_1)
	s_or_b32 s3, s0, s3
	s_and_not1_b32 exec_lo, exec_lo, s3
	s_cbranch_execz .LBB175_60
.LBB175_47:                             ; =>This Loop Header: Depth=1
                                        ;     Child Loop BB175_50 Depth 2
	s_and_saveexec_b32 s5, vcc_lo
	s_cbranch_execz .LBB175_46
; %bb.48:                               ;   in Loop: Header=BB175_47 Depth=1
	v_mad_u64_u32 v[9:10], null, v3, s2, 0
	s_mov_b32 s8, 0
	s_delay_alu instid0(VALU_DEP_1) | instskip(NEXT) | instid1(VALU_DEP_1)
	v_mad_u64_u32 v[11:12], null, v4, s2, v[10:11]
	v_mov_b32_e32 v10, v11
	v_lshlrev_b64 v[11:12], 2, v[3:4]
	s_delay_alu instid0(VALU_DEP_2) | instskip(NEXT) | instid1(VALU_DEP_2)
	v_lshlrev_b64 v[9:10], 2, v[9:10]
	v_add_co_u32 v11, s0, s18, v11
	s_delay_alu instid0(VALU_DEP_1) | instskip(NEXT) | instid1(VALU_DEP_3)
	v_add_co_ci_u32_e64 v12, s0, s19, v12, s0
	v_add_co_u32 v9, s0, v7, v9
	s_delay_alu instid0(VALU_DEP_1)
	v_add_co_ci_u32_e64 v10, s0, v0, v10, s0
	global_load_b32 v11, v[11:12], off
	global_load_b32 v10, v[9:10], off
	s_waitcnt vmcnt(1)
	v_subrev_nc_u32_e32 v9, s39, v11
	s_waitcnt vmcnt(0)
	s_delay_alu instid0(VALU_DEP_1)
	v_dual_mul_f32 v10, v30, v10 :: v_dual_and_b32 v11, 7, v9
	s_branch .LBB175_50
.LBB175_49:                             ;   in Loop: Header=BB175_50 Depth=2
	s_or_b32 exec_lo, exec_lo, s0
	s_xor_b32 s0, s10, -1
	s_delay_alu instid0(SALU_CYCLE_1) | instskip(NEXT) | instid1(SALU_CYCLE_1)
	s_and_b32 s0, exec_lo, s0
	s_or_b32 s8, s0, s8
	s_delay_alu instid0(SALU_CYCLE_1)
	s_and_not1_b32 exec_lo, exec_lo, s8
	s_cbranch_execz .LBB175_46
.LBB175_50:                             ;   Parent Loop BB175_47 Depth=1
                                        ; =>  This Inner Loop Header: Depth=2
	s_delay_alu instid0(VALU_DEP_1)
	v_lshl_add_u32 v12, v11, 2, v27
	s_mov_b32 s9, exec_lo
                                        ; implicit-def: $sgpr10
	ds_load_b32 v13, v12
	s_waitcnt lgkmcnt(0)
	v_cmpx_ne_u32_e64 v13, v9
	s_xor_b32 s9, exec_lo, s9
	s_cbranch_execz .LBB175_58
; %bb.51:                               ;   in Loop: Header=BB175_50 Depth=2
	v_cmp_ne_u32_e64 s0, s6, v13
                                        ; implicit-def: $sgpr10
	s_delay_alu instid0(VALU_DEP_1) | instskip(NEXT) | instid1(SALU_CYCLE_1)
	s_and_saveexec_b32 s11, s0
	s_xor_b32 s0, exec_lo, s11
; %bb.52:                               ;   in Loop: Header=BB175_50 Depth=2
	v_add_nc_u32_e32 v11, 1, v11
	s_mov_b32 s10, -1
                                        ; implicit-def: $vgpr12
	s_delay_alu instid0(VALU_DEP_1)
	v_and_b32_e32 v11, 7, v11
; %bb.53:                               ;   in Loop: Header=BB175_50 Depth=2
	s_and_not1_saveexec_b32 s11, s0
	s_cbranch_execz .LBB175_57
; %bb.54:                               ;   in Loop: Header=BB175_50 Depth=2
	v_mov_b32_e32 v13, s6
	s_mov_b32 s12, -1
	s_mov_b32 s13, exec_lo
	ds_cmpstore_rtn_b32 v12, v12, v9, v13
	s_waitcnt lgkmcnt(0)
	v_cmpx_eq_u32_e64 s6, v12
	s_cbranch_execz .LBB175_56
; %bb.55:                               ;   in Loop: Header=BB175_50 Depth=2
	v_lshl_or_b32 v12, v11, 6, v8
	s_xor_b32 s12, exec_lo, -1
	s_delay_alu instid0(VALU_DEP_1)
	v_add_nc_u32_e32 v12, v29, v12
	ds_add_f32 v12, v10
.LBB175_56:                             ;   in Loop: Header=BB175_50 Depth=2
	s_or_b32 exec_lo, exec_lo, s13
	s_delay_alu instid0(SALU_CYCLE_1) | instskip(SKIP_1) | instid1(SALU_CYCLE_1)
	s_and_not1_b32 s0, s10, exec_lo
	s_and_b32 s10, s12, exec_lo
	s_or_b32 s10, s0, s10
.LBB175_57:                             ;   in Loop: Header=BB175_50 Depth=2
	s_or_b32 exec_lo, exec_lo, s11
	s_delay_alu instid0(SALU_CYCLE_1)
	s_and_b32 s10, s10, exec_lo
.LBB175_58:                             ;   in Loop: Header=BB175_50 Depth=2
	s_and_not1_saveexec_b32 s0, s9
	s_cbranch_execz .LBB175_49
; %bb.59:                               ;   in Loop: Header=BB175_50 Depth=2
	v_lshl_or_b32 v12, v11, 6, v8
	s_and_not1_b32 s10, s10, exec_lo
	s_delay_alu instid0(VALU_DEP_1)
	v_add_nc_u32_e32 v12, v29, v12
	ds_add_f32 v12, v10
	s_branch .LBB175_49
.LBB175_60:
	s_or_b32 exec_lo, exec_lo, s1
.LBB175_61:
	v_add_co_u32 v0, vcc_lo, s22, v5
	v_add_co_ci_u32_e32 v1, vcc_lo, s23, v6, vcc_lo
	s_waitcnt lgkmcnt(0)
	s_barrier
	buffer_gl0_inv
	global_load_b64 v[0:1], v[0:1], off
	s_cmp_eq_u32 s4, 0
	v_mul_lo_u32 v3, v33, s7
	s_cselect_b32 vcc_lo, -1, 0
	v_dual_mov_b32 v4, 0 :: v_dual_lshlrev_b32 v9, 5, v28
	v_dual_cndmask_b32 v5, v32, v33 :: v_dual_cndmask_b32 v6, v33, v32
	v_lshlrev_b32_e32 v8, 2, v32
	v_max_i32_e32 v7, v32, v33
	s_delay_alu instid0(VALU_DEP_4)
	v_lshlrev_b64 v[3:4], 2, v[3:4]
	v_lshlrev_b32_e32 v10, 2, v31
	v_lshlrev_b32_e32 v6, 2, v6
	v_or_b32_e32 v2, -4, v31
	v_cmp_gt_i32_e32 vcc_lo, s7, v7
	s_mov_b32 s1, 0
	v_add_co_u32 v3, s0, s42, v3
	v_lshl_or_b32 v6, v31, 6, v6
	v_add_co_ci_u32_e64 v4, s0, s43, v4, s0
	s_delay_alu instid0(VALU_DEP_3) | instskip(NEXT) | instid1(VALU_DEP_3)
	v_add_co_u32 v3, s0, v3, v8
	v_lshl_or_b32 v5, v5, 4, v6
	s_delay_alu instid0(VALU_DEP_3) | instskip(SKIP_1) | instid1(VALU_DEP_3)
	v_add_co_ci_u32_e64 v4, s0, 0, v4, s0
	v_or3_b32 v8, v9, v10, 0x800
	v_add_nc_u32_e32 v5, v29, v5
	s_waitcnt vmcnt(0)
	v_sub_co_u32 v6, s0, v0, s38
	s_delay_alu instid0(VALU_DEP_1)
	v_subrev_co_ci_u32_e64 v7, s0, 0, v1, s0
	s_branch .LBB175_63
.LBB175_62:                             ;   in Loop: Header=BB175_63 Depth=1
	s_or_b32 exec_lo, exec_lo, s3
	v_add_co_u32 v2, s0, v2, 4
	s_delay_alu instid0(VALU_DEP_1) | instskip(SKIP_3) | instid1(SALU_CYCLE_1)
	s_xor_b32 s0, s0, -1
	v_add_nc_u32_e32 v5, 0x100, v5
	v_add_nc_u32_e32 v8, 16, v8
	s_and_b32 s0, exec_lo, s0
	s_or_b32 s1, s0, s1
	s_delay_alu instid0(SALU_CYCLE_1)
	s_and_not1_b32 exec_lo, exec_lo, s1
	s_cbranch_execz .LBB175_66
.LBB175_63:                             ; =>This Inner Loop Header: Depth=1
	ds_load_b32 v9, v8
	s_mov_b32 s3, exec_lo
	s_waitcnt lgkmcnt(0)
	v_cmpx_gt_i32_e64 s6, v9
	s_cbranch_execz .LBB175_62
; %bb.64:                               ;   in Loop: Header=BB175_63 Depth=1
	ds_load_b128 v[10:13], v27
	ds_load_b128 v[14:17], v27 offset:16
	s_waitcnt lgkmcnt(1)
	v_cmp_gt_i32_e64 s0, v9, v10
	s_delay_alu instid0(VALU_DEP_1) | instskip(SKIP_1) | instid1(VALU_DEP_1)
	v_cndmask_b32_e64 v0, 0, 1, s0
	v_cmp_gt_i32_e64 s0, v9, v11
	v_cndmask_b32_e64 v1, 0, 1, s0
	s_delay_alu instid0(VALU_DEP_3) | instskip(NEXT) | instid1(VALU_DEP_1)
	v_add_co_u32 v0, s0, v6, v0
	v_add_co_ci_u32_e64 v10, s0, 0, v7, s0
	v_cmp_gt_i32_e64 s0, v9, v12
	v_add_nc_u32_e32 v12, s38, v9
	s_delay_alu instid0(VALU_DEP_2) | instskip(SKIP_1) | instid1(VALU_DEP_1)
	v_cndmask_b32_e64 v11, 0, 1, s0
	v_add_co_u32 v0, s0, v0, v1
	v_add_co_ci_u32_e64 v1, s0, 0, v10, s0
	v_cmp_gt_i32_e64 s0, v9, v13
	s_delay_alu instid0(VALU_DEP_1) | instskip(NEXT) | instid1(VALU_DEP_4)
	v_cndmask_b32_e64 v10, 0, 1, s0
	v_add_co_u32 v0, s0, v0, v11
	s_delay_alu instid0(VALU_DEP_1) | instskip(SKIP_2) | instid1(VALU_DEP_1)
	v_add_co_ci_u32_e64 v1, s0, 0, v1, s0
	s_waitcnt lgkmcnt(0)
	v_cmp_gt_i32_e64 s0, v9, v14
	v_cndmask_b32_e64 v11, 0, 1, s0
	v_add_co_u32 v0, s0, v0, v10
	s_delay_alu instid0(VALU_DEP_1) | instskip(SKIP_1) | instid1(VALU_DEP_1)
	v_add_co_ci_u32_e64 v1, s0, 0, v1, s0
	v_cmp_gt_i32_e64 s0, v9, v15
	v_cndmask_b32_e64 v10, 0, 1, s0
	s_delay_alu instid0(VALU_DEP_4) | instskip(NEXT) | instid1(VALU_DEP_1)
	v_add_co_u32 v0, s0, v0, v11
	v_add_co_ci_u32_e64 v1, s0, 0, v1, s0
	v_cmp_gt_i32_e64 s0, v9, v16
	s_delay_alu instid0(VALU_DEP_1) | instskip(NEXT) | instid1(VALU_DEP_4)
	v_cndmask_b32_e64 v11, 0, 1, s0
	v_add_co_u32 v0, s0, v0, v10
	s_delay_alu instid0(VALU_DEP_1) | instskip(SKIP_1) | instid1(VALU_DEP_1)
	v_add_co_ci_u32_e64 v1, s0, 0, v1, s0
	v_cmp_gt_i32_e64 s0, v9, v17
	v_cndmask_b32_e64 v10, 0, 1, s0
	s_delay_alu instid0(VALU_DEP_4) | instskip(NEXT) | instid1(VALU_DEP_1)
	v_add_co_u32 v0, s0, v0, v11
	v_add_co_ci_u32_e64 v1, s0, 0, v1, s0
	s_delay_alu instid0(VALU_DEP_2) | instskip(NEXT) | instid1(VALU_DEP_1)
	v_add_co_u32 v0, s0, v0, v10
	v_add_co_ci_u32_e64 v1, s0, 0, v1, s0
	s_delay_alu instid0(VALU_DEP_1) | instskip(NEXT) | instid1(VALU_DEP_1)
	v_lshlrev_b64 v[10:11], 2, v[0:1]
	v_add_co_u32 v9, s0, s40, v10
	s_delay_alu instid0(VALU_DEP_1)
	v_add_co_ci_u32_e64 v10, s0, s41, v11, s0
	global_store_b32 v[9:10], v12, off
	s_and_b32 exec_lo, exec_lo, vcc_lo
	s_cbranch_execz .LBB175_62
; %bb.65:                               ;   in Loop: Header=BB175_63 Depth=1
	v_mad_u64_u32 v[9:10], null, v0, s2, 0
	s_delay_alu instid0(VALU_DEP_1) | instskip(NEXT) | instid1(VALU_DEP_1)
	v_mov_b32_e32 v0, v10
	v_mad_u64_u32 v[10:11], null, v1, s2, v[0:1]
	ds_load_b32 v11, v5
	v_lshlrev_b64 v[0:1], 2, v[9:10]
	s_delay_alu instid0(VALU_DEP_1) | instskip(NEXT) | instid1(VALU_DEP_1)
	v_add_co_u32 v0, s0, v3, v0
	v_add_co_ci_u32_e64 v1, s0, v4, v1, s0
	s_waitcnt lgkmcnt(0)
	global_store_b32 v[0:1], v11, off
	s_branch .LBB175_62
.LBB175_66:
	s_nop 0
	s_sendmsg sendmsg(MSG_DEALLOC_VGPRS)
	s_endpgm
	.section	.rodata,"a",@progbits
	.p2align	6, 0x0
	.amdhsa_kernel _ZN9rocsparseL23bsrgemm_fill_wf_per_rowILj256ELj64ELj8ELj137ELj4ElifEEv20rocsparse_direction_T5_S2_S2_PKS2_S4_NS_24const_host_device_scalarIT6_EEPKT4_S4_PKS6_SA_S4_SC_S7_SA_S4_SC_SA_PS2_PS6_21rocsparse_index_base_SF_SF_SF_bbb
		.amdhsa_group_segment_fixed_size 2176
		.amdhsa_private_segment_fixed_size 0
		.amdhsa_kernarg_size 164
		.amdhsa_user_sgpr_count 15
		.amdhsa_user_sgpr_dispatch_ptr 0
		.amdhsa_user_sgpr_queue_ptr 0
		.amdhsa_user_sgpr_kernarg_segment_ptr 1
		.amdhsa_user_sgpr_dispatch_id 0
		.amdhsa_user_sgpr_private_segment_size 0
		.amdhsa_wavefront_size32 1
		.amdhsa_uses_dynamic_stack 0
		.amdhsa_enable_private_segment 0
		.amdhsa_system_sgpr_workgroup_id_x 1
		.amdhsa_system_sgpr_workgroup_id_y 0
		.amdhsa_system_sgpr_workgroup_id_z 0
		.amdhsa_system_sgpr_workgroup_info 0
		.amdhsa_system_vgpr_workitem_id 0
		.amdhsa_next_free_vgpr 40
		.amdhsa_next_free_sgpr 49
		.amdhsa_reserve_vcc 1
		.amdhsa_float_round_mode_32 0
		.amdhsa_float_round_mode_16_64 0
		.amdhsa_float_denorm_mode_32 3
		.amdhsa_float_denorm_mode_16_64 3
		.amdhsa_dx10_clamp 1
		.amdhsa_ieee_mode 1
		.amdhsa_fp16_overflow 0
		.amdhsa_workgroup_processor_mode 1
		.amdhsa_memory_ordered 1
		.amdhsa_forward_progress 0
		.amdhsa_shared_vgpr_count 0
		.amdhsa_exception_fp_ieee_invalid_op 0
		.amdhsa_exception_fp_denorm_src 0
		.amdhsa_exception_fp_ieee_div_zero 0
		.amdhsa_exception_fp_ieee_overflow 0
		.amdhsa_exception_fp_ieee_underflow 0
		.amdhsa_exception_fp_ieee_inexact 0
		.amdhsa_exception_int_div_zero 0
	.end_amdhsa_kernel
	.section	.text._ZN9rocsparseL23bsrgemm_fill_wf_per_rowILj256ELj64ELj8ELj137ELj4ElifEEv20rocsparse_direction_T5_S2_S2_PKS2_S4_NS_24const_host_device_scalarIT6_EEPKT4_S4_PKS6_SA_S4_SC_S7_SA_S4_SC_SA_PS2_PS6_21rocsparse_index_base_SF_SF_SF_bbb,"axG",@progbits,_ZN9rocsparseL23bsrgemm_fill_wf_per_rowILj256ELj64ELj8ELj137ELj4ElifEEv20rocsparse_direction_T5_S2_S2_PKS2_S4_NS_24const_host_device_scalarIT6_EEPKT4_S4_PKS6_SA_S4_SC_S7_SA_S4_SC_SA_PS2_PS6_21rocsparse_index_base_SF_SF_SF_bbb,comdat
.Lfunc_end175:
	.size	_ZN9rocsparseL23bsrgemm_fill_wf_per_rowILj256ELj64ELj8ELj137ELj4ElifEEv20rocsparse_direction_T5_S2_S2_PKS2_S4_NS_24const_host_device_scalarIT6_EEPKT4_S4_PKS6_SA_S4_SC_S7_SA_S4_SC_SA_PS2_PS6_21rocsparse_index_base_SF_SF_SF_bbb, .Lfunc_end175-_ZN9rocsparseL23bsrgemm_fill_wf_per_rowILj256ELj64ELj8ELj137ELj4ElifEEv20rocsparse_direction_T5_S2_S2_PKS2_S4_NS_24const_host_device_scalarIT6_EEPKT4_S4_PKS6_SA_S4_SC_S7_SA_S4_SC_SA_PS2_PS6_21rocsparse_index_base_SF_SF_SF_bbb
                                        ; -- End function
	.section	.AMDGPU.csdata,"",@progbits
; Kernel info:
; codeLenInByte = 3200
; NumSgprs: 51
; NumVgprs: 40
; ScratchSize: 0
; MemoryBound: 0
; FloatMode: 240
; IeeeMode: 1
; LDSByteSize: 2176 bytes/workgroup (compile time only)
; SGPRBlocks: 6
; VGPRBlocks: 4
; NumSGPRsForWavesPerEU: 51
; NumVGPRsForWavesPerEU: 40
; Occupancy: 16
; WaveLimiterHint : 1
; COMPUTE_PGM_RSRC2:SCRATCH_EN: 0
; COMPUTE_PGM_RSRC2:USER_SGPR: 15
; COMPUTE_PGM_RSRC2:TRAP_HANDLER: 0
; COMPUTE_PGM_RSRC2:TGID_X_EN: 1
; COMPUTE_PGM_RSRC2:TGID_Y_EN: 0
; COMPUTE_PGM_RSRC2:TGID_Z_EN: 0
; COMPUTE_PGM_RSRC2:TIDIG_COMP_CNT: 0
	.section	.text._ZN9rocsparseL23bsrgemm_fill_wf_per_rowILj256ELj64ELj16ELj137ELj4ElifEEv20rocsparse_direction_T5_S2_S2_PKS2_S4_NS_24const_host_device_scalarIT6_EEPKT4_S4_PKS6_SA_S4_SC_S7_SA_S4_SC_SA_PS2_PS6_21rocsparse_index_base_SF_SF_SF_bbb,"axG",@progbits,_ZN9rocsparseL23bsrgemm_fill_wf_per_rowILj256ELj64ELj16ELj137ELj4ElifEEv20rocsparse_direction_T5_S2_S2_PKS2_S4_NS_24const_host_device_scalarIT6_EEPKT4_S4_PKS6_SA_S4_SC_S7_SA_S4_SC_SA_PS2_PS6_21rocsparse_index_base_SF_SF_SF_bbb,comdat
	.globl	_ZN9rocsparseL23bsrgemm_fill_wf_per_rowILj256ELj64ELj16ELj137ELj4ElifEEv20rocsparse_direction_T5_S2_S2_PKS2_S4_NS_24const_host_device_scalarIT6_EEPKT4_S4_PKS6_SA_S4_SC_S7_SA_S4_SC_SA_PS2_PS6_21rocsparse_index_base_SF_SF_SF_bbb ; -- Begin function _ZN9rocsparseL23bsrgemm_fill_wf_per_rowILj256ELj64ELj16ELj137ELj4ElifEEv20rocsparse_direction_T5_S2_S2_PKS2_S4_NS_24const_host_device_scalarIT6_EEPKT4_S4_PKS6_SA_S4_SC_S7_SA_S4_SC_SA_PS2_PS6_21rocsparse_index_base_SF_SF_SF_bbb
	.p2align	8
	.type	_ZN9rocsparseL23bsrgemm_fill_wf_per_rowILj256ELj64ELj16ELj137ELj4ElifEEv20rocsparse_direction_T5_S2_S2_PKS2_S4_NS_24const_host_device_scalarIT6_EEPKT4_S4_PKS6_SA_S4_SC_S7_SA_S4_SC_SA_PS2_PS6_21rocsparse_index_base_SF_SF_SF_bbb,@function
_ZN9rocsparseL23bsrgemm_fill_wf_per_rowILj256ELj64ELj16ELj137ELj4ElifEEv20rocsparse_direction_T5_S2_S2_PKS2_S4_NS_24const_host_device_scalarIT6_EEPKT4_S4_PKS6_SA_S4_SC_S7_SA_S4_SC_SA_PS2_PS6_21rocsparse_index_base_SF_SF_SF_bbb: ; @_ZN9rocsparseL23bsrgemm_fill_wf_per_rowILj256ELj64ELj16ELj137ELj4ElifEEv20rocsparse_direction_T5_S2_S2_PKS2_S4_NS_24const_host_device_scalarIT6_EEPKT4_S4_PKS6_SA_S4_SC_S7_SA_S4_SC_SA_PS2_PS6_21rocsparse_index_base_SF_SF_SF_bbb
; %bb.0:
	s_clause 0x2
	s_load_b32 s6, s[0:1], 0xa0
	s_load_b64 s[4:5], s[0:1], 0x20
	s_load_b64 s[2:3], s[0:1], 0x58
	s_waitcnt lgkmcnt(0)
	s_bitcmp1_b32 s6, 0
	s_cselect_b32 s12, -1, 0
	s_bitcmp1_b32 s6, 16
	s_cselect_b32 s7, -1, 0
	s_xor_b32 s8, s12, -1
	s_delay_alu instid0(SALU_CYCLE_1) | instskip(NEXT) | instid1(SALU_CYCLE_1)
	s_or_b32 s8, s8, s7
	s_and_b32 vcc_lo, exec_lo, s8
	s_cbranch_vccnz .LBB176_2
; %bb.1:
	s_load_b32 s4, s[4:5], 0x0
	s_waitcnt lgkmcnt(0)
	v_mov_b32_e32 v34, s4
	s_branch .LBB176_3
.LBB176_2:
	v_cndmask_b32_e64 v34, 0, s4, s12
.LBB176_3:
	s_load_b128 s[36:39], s[0:1], 0x90
	s_bitcmp1_b32 s6, 8
	s_cselect_b32 s14, -1, 0
	s_delay_alu instid0(SALU_CYCLE_1) | instskip(NEXT) | instid1(SALU_CYCLE_1)
	s_xor_b32 s4, s14, -1
	s_or_b32 s4, s4, s7
	s_delay_alu instid0(SALU_CYCLE_1)
	s_and_b32 vcc_lo, exec_lo, s4
	s_cbranch_vccnz .LBB176_5
; %bb.4:
	s_load_b32 s2, s[2:3], 0x0
	s_waitcnt lgkmcnt(0)
	v_mov_b32_e32 v30, s2
	s_branch .LBB176_6
.LBB176_5:
	v_cndmask_b32_e64 v30, 0, s2, s14
.LBB176_6:
	s_clause 0x4
	s_load_b128 s[40:43], s[0:1], 0x80
	s_load_b256 s[16:23], s[0:1], 0x60
	s_load_b128 s[44:47], s[0:1], 0x48
	s_load_b256 s[4:11], s[0:1], 0x0
	s_load_b256 s[24:31], s[0:1], 0x28
	s_movk_i32 s0, 0xc0
	v_and_b32_e32 v3, 63, v0
	v_lshrrev_b32_e32 v28, 6, v0
	v_and_or_b32 v27, v0, s0, 0x1000
	s_mov_b32 s0, exec_lo
	s_delay_alu instid0(VALU_DEP_3)
	v_cmpx_gt_u32_e32 16, v3
	s_cbranch_execz .LBB176_8
; %bb.7:
	s_delay_alu instid0(VALU_DEP_2)
	v_lshl_add_u32 v1, v3, 2, v27
	s_waitcnt lgkmcnt(0)
	v_mov_b32_e32 v2, s6
	ds_store_b32 v1, v2
.LBB176_8:
	s_or_b32 exec_lo, exec_lo, s0
	v_dual_mov_b32 v4, 0 :: v_dual_lshlrev_b32 v29, 10, v28
	v_or_b32_e32 v1, 0xffffffc0, v3
	s_mov_b32 s0, 0
	s_delay_alu instid0(VALU_DEP_2)
	v_lshl_or_b32 v2, v3, 2, v29
.LBB176_9:                              ; =>This Inner Loop Header: Depth=1
	s_delay_alu instid0(VALU_DEP_2) | instskip(SKIP_4) | instid1(SALU_CYCLE_1)
	v_add_nc_u32_e32 v1, 64, v1
	ds_store_b32 v2, v4
	v_add_nc_u32_e32 v2, 0x100, v2
	v_cmp_lt_u32_e32 vcc_lo, 0xbf, v1
	s_or_b32 s0, vcc_lo, s0
	s_and_not1_b32 exec_lo, exec_lo, s0
	s_cbranch_execnz .LBB176_9
; %bb.10:
	s_or_b32 exec_lo, exec_lo, s0
	v_lshl_or_b32 v1, s15, 2, v28
	s_waitcnt lgkmcnt(0)
	s_barrier
	buffer_gl0_inv
	s_mov_b32 s0, exec_lo
	v_cmpx_gt_i32_e64 s5, v1
	s_cbranch_execz .LBB176_66
; %bb.11:
	s_cmp_eq_u64 s[10:11], 0
	s_cbranch_scc1 .LBB176_13
; %bb.12:
	s_load_b32 s0, s[8:9], 0x0
	s_waitcnt lgkmcnt(0)
	v_add_nc_u32_e32 v1, s0, v1
	s_delay_alu instid0(VALU_DEP_1) | instskip(NEXT) | instid1(VALU_DEP_1)
	v_ashrrev_i32_e32 v2, 31, v1
	v_lshlrev_b64 v[1:2], 2, v[1:2]
	s_delay_alu instid0(VALU_DEP_1) | instskip(NEXT) | instid1(VALU_DEP_2)
	v_add_co_u32 v1, vcc_lo, s10, v1
	v_add_co_ci_u32_e32 v2, vcc_lo, s11, v2, vcc_lo
	global_load_b32 v1, v[1:2], off
.LBB176_13:
	s_waitcnt vmcnt(0)
	v_ashrrev_i32_e32 v2, 31, v1
	v_lshrrev_b32_e32 v31, 4, v3
	v_and_b32_e32 v32, 3, v0
	v_bfe_u32 v33, v0, 2, 2
	s_and_not1_b32 vcc_lo, exec_lo, s12
	v_lshlrev_b64 v[5:6], 3, v[1:2]
	s_mul_i32 s2, s7, s7
	s_cbranch_vccnz .LBB176_43
; %bb.14:
	s_delay_alu instid0(VALU_DEP_1) | instskip(NEXT) | instid1(VALU_DEP_2)
	v_add_co_u32 v1, vcc_lo, s24, v5
	v_add_co_ci_u32_e32 v2, vcc_lo, s25, v6, vcc_lo
	v_sub_co_u32 v9, s0, v31, s36
	s_delay_alu instid0(VALU_DEP_1)
	v_sub_co_ci_u32_e64 v10, null, 0, 0, s0
	global_load_b128 v[1:4], v[1:2], off
	s_mov_b32 s3, 0
	s_mov_b32 s5, exec_lo
	s_waitcnt vmcnt(0)
	v_sub_co_u32 v7, vcc_lo, v3, s36
	v_subrev_co_ci_u32_e32 v8, vcc_lo, 0, v4, vcc_lo
	v_add_co_u32 v9, vcc_lo, v1, v9
	v_add_co_ci_u32_e32 v10, vcc_lo, v2, v10, vcc_lo
	s_delay_alu instid0(VALU_DEP_1)
	v_cmpx_lt_i64_e64 v[9:10], v[7:8]
	s_cbranch_execz .LBB176_42
; %bb.15:
	v_mad_u64_u32 v[1:2], null, v9, s2, 0
	v_mul_lo_u32 v11, v32, s7
	v_dual_mov_b32 v12, 0 :: v_dual_and_b32 v35, 15, v0
	v_mul_lo_u32 v13, v33, s7
	v_max_i32_e32 v15, v32, v33
	v_lshlrev_b32_e32 v18, 2, v32
	v_mad_u64_u32 v[3:4], null, v10, s2, v[2:3]
	v_dual_mov_b32 v14, v12 :: v_dual_lshlrev_b32 v17, 2, v33
	s_delay_alu instid0(VALU_DEP_4) | instskip(SKIP_3) | instid1(VALU_DEP_3)
	v_cmp_gt_i32_e64 s0, s7, v15
	s_cmp_lg_u32 s4, 0
	s_mov_b32 s12, s7
	s_cselect_b32 s24, -1, 0
	v_mov_b32_e32 v2, v3
	v_lshlrev_b64 v[3:4], 2, v[11:12]
	v_lshlrev_b64 v[15:16], 2, v[13:14]
	s_cmp_gt_i32 s7, 0
	s_mov_b32 s13, s3
	v_lshlrev_b64 v[1:2], 2, v[1:2]
	s_mov_b32 s15, s37
	s_cselect_b32 s25, -1, 0
	s_lshl_b64 s[8:9], s[2:3], 2
	s_lshl_b64 s[10:11], s[2:3], 4
	s_lshl_b64 s[12:13], s[12:13], 2
	v_add_co_u32 v13, vcc_lo, v1, v17
	v_add_co_ci_u32_e32 v14, vcc_lo, 0, v2, vcc_lo
	v_add_co_u32 v11, vcc_lo, s46, v3
	v_add_co_ci_u32_e32 v12, vcc_lo, s47, v4, vcc_lo
	s_delay_alu instid0(VALU_DEP_4) | instskip(NEXT) | instid1(VALU_DEP_4)
	v_add_co_u32 v13, vcc_lo, s28, v13
	v_add_co_ci_u32_e32 v14, vcc_lo, s29, v14, vcc_lo
	v_add_co_u32 v1, vcc_lo, v1, v15
	v_add_co_ci_u32_e32 v2, vcc_lo, v2, v16, vcc_lo
	v_add_co_u32 v15, s1, s46, v18
	s_delay_alu instid0(VALU_DEP_3) | instskip(SKIP_1) | instid1(VALU_DEP_4)
	v_add_co_u32 v17, vcc_lo, s28, v1
	v_add_co_ci_u32_e64 v16, null, s47, 0, s1
	v_add_co_ci_u32_e32 v18, vcc_lo, s29, v2, vcc_lo
	s_branch .LBB176_17
.LBB176_16:                             ;   in Loop: Header=BB176_17 Depth=1
	s_or_b32 exec_lo, exec_lo, s28
	v_add_co_u32 v9, vcc_lo, v9, 4
	v_add_co_ci_u32_e32 v10, vcc_lo, 0, v10, vcc_lo
	v_add_co_u32 v13, vcc_lo, v13, s10
	v_add_co_ci_u32_e32 v14, vcc_lo, s11, v14, vcc_lo
	s_delay_alu instid0(VALU_DEP_3) | instskip(SKIP_1) | instid1(VALU_DEP_1)
	v_cmp_ge_i64_e32 vcc_lo, v[9:10], v[7:8]
	v_add_co_u32 v17, s1, v17, s10
	v_add_co_ci_u32_e64 v18, s1, s11, v18, s1
	s_or_b32 s3, vcc_lo, s3
	s_delay_alu instid0(SALU_CYCLE_1)
	s_and_not1_b32 exec_lo, exec_lo, s3
	s_cbranch_execz .LBB176_42
.LBB176_17:                             ; =>This Loop Header: Depth=1
                                        ;     Child Loop BB176_20 Depth 2
                                        ;       Child Loop BB176_24 Depth 3
                                        ;       Child Loop BB176_29 Depth 3
                                        ;       Child Loop BB176_32 Depth 3
	v_lshlrev_b64 v[1:2], 2, v[9:10]
	s_mov_b32 s28, exec_lo
	s_delay_alu instid0(VALU_DEP_1) | instskip(NEXT) | instid1(VALU_DEP_2)
	v_add_co_u32 v1, vcc_lo, s26, v1
	v_add_co_ci_u32_e32 v2, vcc_lo, s27, v2, vcc_lo
	global_load_b32 v1, v[1:2], off
	s_waitcnt vmcnt(0)
	v_subrev_nc_u32_e32 v1, s36, v1
	s_delay_alu instid0(VALU_DEP_1) | instskip(NEXT) | instid1(VALU_DEP_1)
	v_ashrrev_i32_e32 v2, 31, v1
	v_lshlrev_b64 v[1:2], 3, v[1:2]
	s_delay_alu instid0(VALU_DEP_1) | instskip(NEXT) | instid1(VALU_DEP_2)
	v_add_co_u32 v1, vcc_lo, s30, v1
	v_add_co_ci_u32_e32 v2, vcc_lo, s31, v2, vcc_lo
	global_load_b128 v[1:4], v[1:2], off
	s_waitcnt vmcnt(0)
	v_cmpx_lt_i64_e64 v[1:2], v[3:4]
	s_cbranch_execz .LBB176_16
; %bb.18:                               ;   in Loop: Header=BB176_17 Depth=1
	v_sub_co_u32 v1, vcc_lo, v1, s15
	v_subrev_co_ci_u32_e32 v2, vcc_lo, 0, v2, vcc_lo
	v_sub_co_u32 v3, vcc_lo, v3, s15
	s_delay_alu instid0(VALU_DEP_3) | instskip(NEXT) | instid1(VALU_DEP_3)
	v_mad_u64_u32 v[19:20], null, s8, v1, v[11:12]
	v_mul_lo_u32 v23, s8, v2
	v_mul_lo_u32 v24, s9, v1
	v_mad_u64_u32 v[21:22], null, s8, v1, v[15:16]
	v_subrev_co_ci_u32_e32 v4, vcc_lo, 0, v4, vcc_lo
	s_mov_b32 s29, 0
	s_delay_alu instid0(VALU_DEP_3) | instskip(NEXT) | instid1(VALU_DEP_3)
	v_add3_u32 v20, v24, v20, v23
	v_add3_u32 v22, v24, v22, v23
	s_branch .LBB176_20
.LBB176_19:                             ;   in Loop: Header=BB176_20 Depth=2
	s_or_b32 exec_lo, exec_lo, s33
	v_add_co_u32 v1, vcc_lo, v1, 1
	v_add_co_ci_u32_e32 v2, vcc_lo, 0, v2, vcc_lo
	v_add_co_u32 v19, vcc_lo, v19, s8
	v_add_co_ci_u32_e32 v20, vcc_lo, s9, v20, vcc_lo
	s_delay_alu instid0(VALU_DEP_3) | instskip(SKIP_1) | instid1(VALU_DEP_1)
	v_cmp_ge_i64_e32 vcc_lo, v[1:2], v[3:4]
	v_add_co_u32 v21, s1, v21, s8
	v_add_co_ci_u32_e64 v22, s1, s9, v22, s1
	s_or_b32 s29, vcc_lo, s29
	s_delay_alu instid0(SALU_CYCLE_1)
	s_and_not1_b32 exec_lo, exec_lo, s29
	s_cbranch_execz .LBB176_16
.LBB176_20:                             ;   Parent Loop BB176_17 Depth=1
                                        ; =>  This Loop Header: Depth=2
                                        ;       Child Loop BB176_24 Depth 3
                                        ;       Child Loop BB176_29 Depth 3
                                        ;       Child Loop BB176_32 Depth 3
	s_and_saveexec_b32 s33, s0
	s_cbranch_execz .LBB176_19
; %bb.21:                               ;   in Loop: Header=BB176_20 Depth=2
	v_lshlrev_b64 v[23:24], 2, v[1:2]
	s_delay_alu instid0(VALU_DEP_1) | instskip(NEXT) | instid1(VALU_DEP_2)
	v_add_co_u32 v23, vcc_lo, s44, v23
	v_add_co_ci_u32_e32 v24, vcc_lo, s45, v24, vcc_lo
	s_and_not1_b32 vcc_lo, exec_lo, s24
	global_load_b32 v36, v[23:24], off
	v_cndmask_b32_e64 v23, 0, 1, s25
	s_delay_alu instid0(VALU_DEP_1)
	v_cmp_ne_u32_e64 s1, 1, v23
	s_cbranch_vccnz .LBB176_26
; %bb.22:                               ;   in Loop: Header=BB176_20 Depth=2
	v_mov_b32_e32 v37, 0
	s_delay_alu instid0(VALU_DEP_2)
	s_and_b32 vcc_lo, exec_lo, s1
	s_cbranch_vccnz .LBB176_25
; %bb.23:                               ;   in Loop: Header=BB176_20 Depth=2
	v_dual_mov_b32 v24, v14 :: v_dual_mov_b32 v23, v13
	v_dual_mov_b32 v26, v20 :: v_dual_mov_b32 v25, v19
	s_mov_b32 s1, s7
.LBB176_24:                             ;   Parent Loop BB176_17 Depth=1
                                        ;     Parent Loop BB176_20 Depth=2
                                        ; =>    This Inner Loop Header: Depth=3
	global_load_b32 v38, v[23:24], off
	global_load_b32 v39, v[25:26], off
	v_add_co_u32 v25, vcc_lo, v25, 4
	v_add_co_ci_u32_e32 v26, vcc_lo, 0, v26, vcc_lo
	v_add_co_u32 v23, vcc_lo, v23, s12
	v_add_co_ci_u32_e32 v24, vcc_lo, s13, v24, vcc_lo
	s_add_i32 s1, s1, -1
	s_delay_alu instid0(SALU_CYCLE_1)
	s_cmp_lg_u32 s1, 0
	s_waitcnt vmcnt(0)
	v_fmac_f32_e32 v37, v38, v39
	s_cbranch_scc1 .LBB176_24
.LBB176_25:                             ;   in Loop: Header=BB176_20 Depth=2
	s_cbranch_execz .LBB176_27
	s_branch .LBB176_30
.LBB176_26:                             ;   in Loop: Header=BB176_20 Depth=2
                                        ; implicit-def: $vgpr37
.LBB176_27:                             ;   in Loop: Header=BB176_20 Depth=2
	v_mov_b32_e32 v37, 0
	s_and_not1_b32 vcc_lo, exec_lo, s25
	s_cbranch_vccnz .LBB176_30
; %bb.28:                               ;   in Loop: Header=BB176_20 Depth=2
	v_dual_mov_b32 v24, v18 :: v_dual_mov_b32 v23, v17
	v_dual_mov_b32 v26, v22 :: v_dual_mov_b32 v25, v21
	s_mov_b32 s1, s7
.LBB176_29:                             ;   Parent Loop BB176_17 Depth=1
                                        ;     Parent Loop BB176_20 Depth=2
                                        ; =>    This Inner Loop Header: Depth=3
	global_load_b32 v38, v[23:24], off
	global_load_b32 v39, v[25:26], off
	v_add_co_u32 v25, vcc_lo, v25, s12
	v_add_co_ci_u32_e32 v26, vcc_lo, s13, v26, vcc_lo
	v_add_co_u32 v23, vcc_lo, v23, 4
	v_add_co_ci_u32_e32 v24, vcc_lo, 0, v24, vcc_lo
	s_add_i32 s1, s1, -1
	s_delay_alu instid0(SALU_CYCLE_1)
	s_cmp_eq_u32 s1, 0
	s_waitcnt vmcnt(0)
	v_fmac_f32_e32 v37, v38, v39
	s_cbranch_scc0 .LBB176_29
.LBB176_30:                             ;   in Loop: Header=BB176_20 Depth=2
	s_waitcnt vmcnt(0)
	v_subrev_nc_u32_e32 v23, s37, v36
	s_delay_alu instid0(VALU_DEP_2) | instskip(SKIP_1) | instid1(VALU_DEP_2)
	v_mul_f32_e32 v24, v34, v37
	s_mov_b32 s1, 0
	v_lshl_add_u32 v25, v23, 3, v23
	s_delay_alu instid0(VALU_DEP_1)
	v_and_b32_e32 v25, 15, v25
	s_branch .LBB176_32
.LBB176_31:                             ;   in Loop: Header=BB176_32 Depth=3
	s_or_b32 exec_lo, exec_lo, s34
	s_xor_b32 s34, s35, -1
	s_delay_alu instid0(SALU_CYCLE_1) | instskip(NEXT) | instid1(SALU_CYCLE_1)
	s_and_b32 s34, exec_lo, s34
	s_or_b32 s1, s34, s1
	s_delay_alu instid0(SALU_CYCLE_1)
	s_and_not1_b32 exec_lo, exec_lo, s1
	s_cbranch_execz .LBB176_19
.LBB176_32:                             ;   Parent Loop BB176_17 Depth=1
                                        ;     Parent Loop BB176_20 Depth=2
                                        ; =>    This Inner Loop Header: Depth=3
	s_delay_alu instid0(VALU_DEP_1)
	v_lshl_add_u32 v26, v25, 2, v27
	s_mov_b32 s34, exec_lo
                                        ; implicit-def: $sgpr35
	ds_load_b32 v36, v26
	s_waitcnt lgkmcnt(0)
	v_cmpx_ne_u32_e64 v36, v23
	s_xor_b32 s34, exec_lo, s34
	s_cbranch_execz .LBB176_40
; %bb.33:                               ;   in Loop: Header=BB176_32 Depth=3
	s_mov_b32 s46, exec_lo
                                        ; implicit-def: $sgpr35
	v_cmpx_ne_u32_e64 s6, v36
	s_xor_b32 s46, exec_lo, s46
; %bb.34:                               ;   in Loop: Header=BB176_32 Depth=3
	v_add_nc_u32_e32 v25, 1, v25
	s_mov_b32 s35, -1
                                        ; implicit-def: $vgpr26
	s_delay_alu instid0(VALU_DEP_1)
	v_and_b32_e32 v25, 15, v25
; %bb.35:                               ;   in Loop: Header=BB176_32 Depth=3
	s_and_not1_saveexec_b32 s46, s46
	s_cbranch_execz .LBB176_39
; %bb.36:                               ;   in Loop: Header=BB176_32 Depth=3
	v_mov_b32_e32 v36, s6
	s_mov_b32 s48, -1
	s_mov_b32 s47, exec_lo
	ds_cmpstore_rtn_b32 v26, v26, v23, v36
	s_waitcnt lgkmcnt(0)
	v_cmpx_eq_u32_e64 s6, v26
	s_cbranch_execz .LBB176_38
; %bb.37:                               ;   in Loop: Header=BB176_32 Depth=3
	v_lshlrev_b32_e32 v26, 2, v35
	s_xor_b32 s48, exec_lo, -1
	s_delay_alu instid0(VALU_DEP_1) | instskip(NEXT) | instid1(VALU_DEP_1)
	v_lshl_or_b32 v26, v25, 6, v26
	v_add_nc_u32_e32 v26, v29, v26
	ds_add_f32 v26, v24
.LBB176_38:                             ;   in Loop: Header=BB176_32 Depth=3
	s_or_b32 exec_lo, exec_lo, s47
	s_delay_alu instid0(SALU_CYCLE_1) | instskip(SKIP_1) | instid1(SALU_CYCLE_1)
	s_and_not1_b32 s35, s35, exec_lo
	s_and_b32 s47, s48, exec_lo
	s_or_b32 s35, s35, s47
.LBB176_39:                             ;   in Loop: Header=BB176_32 Depth=3
	s_or_b32 exec_lo, exec_lo, s46
	s_delay_alu instid0(SALU_CYCLE_1)
	s_and_b32 s35, s35, exec_lo
.LBB176_40:                             ;   in Loop: Header=BB176_32 Depth=3
	s_and_not1_saveexec_b32 s34, s34
	s_cbranch_execz .LBB176_31
; %bb.41:                               ;   in Loop: Header=BB176_32 Depth=3
	v_lshlrev_b32_e32 v26, 2, v35
	s_and_not1_b32 s35, s35, exec_lo
	s_delay_alu instid0(VALU_DEP_1) | instskip(NEXT) | instid1(VALU_DEP_1)
	v_lshl_or_b32 v26, v25, 6, v26
	v_add_nc_u32_e32 v26, v29, v26
	ds_add_f32 v26, v24
	s_branch .LBB176_31
.LBB176_42:
	s_or_b32 exec_lo, exec_lo, s5
.LBB176_43:
	s_delay_alu instid0(SALU_CYCLE_1)
	s_and_not1_b32 vcc_lo, exec_lo, s14
	s_waitcnt lgkmcnt(0)
	s_barrier
	buffer_gl0_inv
	s_cbranch_vccnz .LBB176_61
; %bb.44:
	v_add_co_u32 v1, vcc_lo, s16, v5
	v_add_co_ci_u32_e32 v2, vcc_lo, s17, v6, vcc_lo
	v_sub_co_u32 v3, s0, v31, s39
	s_delay_alu instid0(VALU_DEP_1)
	v_sub_co_ci_u32_e64 v4, null, 0, 0, s0
	global_load_b128 v[7:10], v[1:2], off
	s_mov_b32 s3, 0
	s_mov_b32 s1, exec_lo
	s_waitcnt vmcnt(0)
	v_sub_co_u32 v1, vcc_lo, v9, s39
	v_subrev_co_ci_u32_e32 v2, vcc_lo, 0, v10, vcc_lo
	v_add_co_u32 v3, vcc_lo, v7, v3
	v_add_co_ci_u32_e32 v4, vcc_lo, v8, v4, vcc_lo
	s_delay_alu instid0(VALU_DEP_1)
	v_cmpx_lt_i64_e64 v[3:4], v[1:2]
	s_cbranch_execz .LBB176_60
; %bb.45:
	v_mul_lo_u32 v7, v32, s7
	v_dual_mov_b32 v8, 0 :: v_dual_lshlrev_b32 v13, 2, v32
	v_lshlrev_b32_e32 v12, 2, v33
	v_max_i32_e32 v11, v32, v33
	s_cmp_eq_u32 s4, 0
	s_cselect_b32 s0, -1, 0
	s_delay_alu instid0(VALU_DEP_4) | instskip(SKIP_1) | instid1(VALU_DEP_2)
	v_lshlrev_b64 v[9:10], 2, v[7:8]
	v_mul_lo_u32 v7, v33, s7
	v_add_co_u32 v9, vcc_lo, s20, v9
	s_delay_alu instid0(VALU_DEP_3) | instskip(NEXT) | instid1(VALU_DEP_3)
	v_add_co_ci_u32_e32 v10, vcc_lo, s21, v10, vcc_lo
	v_lshlrev_b64 v[7:8], 2, v[7:8]
	s_delay_alu instid0(VALU_DEP_1) | instskip(NEXT) | instid1(VALU_DEP_2)
	v_add_co_u32 v7, vcc_lo, s20, v7
	v_add_co_ci_u32_e32 v8, vcc_lo, s21, v8, vcc_lo
	v_add_co_u32 v9, vcc_lo, v9, v12
	v_add_co_ci_u32_e32 v10, vcc_lo, 0, v10, vcc_lo
	s_delay_alu instid0(VALU_DEP_4) | instskip(NEXT) | instid1(VALU_DEP_4)
	v_add_co_u32 v7, vcc_lo, v7, v13
	v_add_co_ci_u32_e32 v8, vcc_lo, 0, v8, vcc_lo
	v_and_b32_e32 v12, 15, v0
	v_cmp_gt_i32_e32 vcc_lo, s7, v11
	s_delay_alu instid0(VALU_DEP_4) | instskip(NEXT) | instid1(VALU_DEP_4)
	v_cndmask_b32_e64 v7, v9, v7, s0
	v_cndmask_b32_e64 v0, v10, v8, s0
	s_delay_alu instid0(VALU_DEP_4)
	v_lshlrev_b32_e32 v8, 2, v12
	s_branch .LBB176_47
.LBB176_46:                             ;   in Loop: Header=BB176_47 Depth=1
	s_or_b32 exec_lo, exec_lo, s5
	v_add_co_u32 v3, s0, v3, 4
	s_delay_alu instid0(VALU_DEP_1) | instskip(NEXT) | instid1(VALU_DEP_1)
	v_add_co_ci_u32_e64 v4, s0, 0, v4, s0
	v_cmp_ge_i64_e64 s0, v[3:4], v[1:2]
	s_delay_alu instid0(VALU_DEP_1) | instskip(NEXT) | instid1(SALU_CYCLE_1)
	s_or_b32 s3, s0, s3
	s_and_not1_b32 exec_lo, exec_lo, s3
	s_cbranch_execz .LBB176_60
.LBB176_47:                             ; =>This Loop Header: Depth=1
                                        ;     Child Loop BB176_50 Depth 2
	s_and_saveexec_b32 s5, vcc_lo
	s_cbranch_execz .LBB176_46
; %bb.48:                               ;   in Loop: Header=BB176_47 Depth=1
	v_mad_u64_u32 v[9:10], null, v3, s2, 0
	s_mov_b32 s8, 0
	s_delay_alu instid0(VALU_DEP_1) | instskip(SKIP_1) | instid1(VALU_DEP_2)
	v_mad_u64_u32 v[11:12], null, v4, s2, v[10:11]
	v_lshlrev_b64 v[12:13], 2, v[3:4]
	v_mov_b32_e32 v10, v11
	s_delay_alu instid0(VALU_DEP_2) | instskip(NEXT) | instid1(VALU_DEP_1)
	v_add_co_u32 v11, s0, s18, v12
	v_add_co_ci_u32_e64 v12, s0, s19, v13, s0
	s_delay_alu instid0(VALU_DEP_3) | instskip(SKIP_2) | instid1(VALU_DEP_1)
	v_lshlrev_b64 v[9:10], 2, v[9:10]
	global_load_b32 v11, v[11:12], off
	v_add_co_u32 v9, s0, v7, v9
	v_add_co_ci_u32_e64 v10, s0, v0, v10, s0
	global_load_b32 v10, v[9:10], off
	s_waitcnt vmcnt(1)
	v_subrev_nc_u32_e32 v9, s39, v11
	s_delay_alu instid0(VALU_DEP_1) | instskip(SKIP_1) | instid1(VALU_DEP_1)
	v_lshl_add_u32 v11, v9, 3, v9
	s_waitcnt vmcnt(0)
	v_dual_mul_f32 v10, v30, v10 :: v_dual_and_b32 v11, 15, v11
	s_branch .LBB176_50
.LBB176_49:                             ;   in Loop: Header=BB176_50 Depth=2
	s_or_b32 exec_lo, exec_lo, s0
	s_xor_b32 s0, s10, -1
	s_delay_alu instid0(SALU_CYCLE_1) | instskip(NEXT) | instid1(SALU_CYCLE_1)
	s_and_b32 s0, exec_lo, s0
	s_or_b32 s8, s0, s8
	s_delay_alu instid0(SALU_CYCLE_1)
	s_and_not1_b32 exec_lo, exec_lo, s8
	s_cbranch_execz .LBB176_46
.LBB176_50:                             ;   Parent Loop BB176_47 Depth=1
                                        ; =>  This Inner Loop Header: Depth=2
	s_delay_alu instid0(VALU_DEP_1)
	v_lshl_add_u32 v12, v11, 2, v27
	s_mov_b32 s9, exec_lo
                                        ; implicit-def: $sgpr10
	ds_load_b32 v13, v12
	s_waitcnt lgkmcnt(0)
	v_cmpx_ne_u32_e64 v13, v9
	s_xor_b32 s9, exec_lo, s9
	s_cbranch_execz .LBB176_58
; %bb.51:                               ;   in Loop: Header=BB176_50 Depth=2
	v_cmp_ne_u32_e64 s0, s6, v13
                                        ; implicit-def: $sgpr10
	s_delay_alu instid0(VALU_DEP_1) | instskip(NEXT) | instid1(SALU_CYCLE_1)
	s_and_saveexec_b32 s11, s0
	s_xor_b32 s0, exec_lo, s11
; %bb.52:                               ;   in Loop: Header=BB176_50 Depth=2
	v_add_nc_u32_e32 v11, 1, v11
	s_mov_b32 s10, -1
                                        ; implicit-def: $vgpr12
	s_delay_alu instid0(VALU_DEP_1)
	v_and_b32_e32 v11, 15, v11
; %bb.53:                               ;   in Loop: Header=BB176_50 Depth=2
	s_and_not1_saveexec_b32 s11, s0
	s_cbranch_execz .LBB176_57
; %bb.54:                               ;   in Loop: Header=BB176_50 Depth=2
	v_mov_b32_e32 v13, s6
	s_mov_b32 s12, -1
	s_mov_b32 s13, exec_lo
	ds_cmpstore_rtn_b32 v12, v12, v9, v13
	s_waitcnt lgkmcnt(0)
	v_cmpx_eq_u32_e64 s6, v12
	s_cbranch_execz .LBB176_56
; %bb.55:                               ;   in Loop: Header=BB176_50 Depth=2
	v_lshl_or_b32 v12, v11, 6, v8
	s_xor_b32 s12, exec_lo, -1
	s_delay_alu instid0(VALU_DEP_1)
	v_add_nc_u32_e32 v12, v29, v12
	ds_add_f32 v12, v10
.LBB176_56:                             ;   in Loop: Header=BB176_50 Depth=2
	s_or_b32 exec_lo, exec_lo, s13
	s_delay_alu instid0(SALU_CYCLE_1) | instskip(SKIP_1) | instid1(SALU_CYCLE_1)
	s_and_not1_b32 s0, s10, exec_lo
	s_and_b32 s10, s12, exec_lo
	s_or_b32 s10, s0, s10
.LBB176_57:                             ;   in Loop: Header=BB176_50 Depth=2
	s_or_b32 exec_lo, exec_lo, s11
	s_delay_alu instid0(SALU_CYCLE_1)
	s_and_b32 s10, s10, exec_lo
.LBB176_58:                             ;   in Loop: Header=BB176_50 Depth=2
	s_and_not1_saveexec_b32 s0, s9
	s_cbranch_execz .LBB176_49
; %bb.59:                               ;   in Loop: Header=BB176_50 Depth=2
	v_lshl_or_b32 v12, v11, 6, v8
	s_and_not1_b32 s10, s10, exec_lo
	s_delay_alu instid0(VALU_DEP_1)
	v_add_nc_u32_e32 v12, v29, v12
	ds_add_f32 v12, v10
	s_branch .LBB176_49
.LBB176_60:
	s_or_b32 exec_lo, exec_lo, s1
.LBB176_61:
	v_add_co_u32 v0, vcc_lo, s22, v5
	v_add_co_ci_u32_e32 v1, vcc_lo, s23, v6, vcc_lo
	s_waitcnt lgkmcnt(0)
	s_barrier
	buffer_gl0_inv
	global_load_b64 v[0:1], v[0:1], off
	s_cmp_eq_u32 s4, 0
	v_mul_lo_u32 v3, v33, s7
	s_cselect_b32 vcc_lo, -1, 0
	v_dual_mov_b32 v4, 0 :: v_dual_lshlrev_b32 v9, 6, v28
	v_dual_cndmask_b32 v5, v32, v33 :: v_dual_cndmask_b32 v6, v33, v32
	v_lshlrev_b32_e32 v8, 2, v32
	v_max_i32_e32 v7, v32, v33
	s_delay_alu instid0(VALU_DEP_4)
	v_lshlrev_b64 v[3:4], 2, v[3:4]
	v_lshlrev_b32_e32 v10, 2, v31
	v_lshlrev_b32_e32 v6, 2, v6
	v_or_b32_e32 v2, -4, v31
	v_cmp_gt_i32_e32 vcc_lo, s7, v7
	s_mov_b32 s1, 0
	v_add_co_u32 v3, s0, s42, v3
	v_lshl_or_b32 v6, v31, 6, v6
	v_add_co_ci_u32_e64 v4, s0, s43, v4, s0
	s_delay_alu instid0(VALU_DEP_3) | instskip(NEXT) | instid1(VALU_DEP_3)
	v_add_co_u32 v3, s0, v3, v8
	v_lshl_or_b32 v5, v5, 4, v6
	s_delay_alu instid0(VALU_DEP_3) | instskip(SKIP_1) | instid1(VALU_DEP_3)
	v_add_co_ci_u32_e64 v4, s0, 0, v4, s0
	v_or3_b32 v8, v9, v10, 0x1000
	v_add_nc_u32_e32 v5, v29, v5
	s_waitcnt vmcnt(0)
	v_sub_co_u32 v6, s0, v0, s38
	s_delay_alu instid0(VALU_DEP_1)
	v_subrev_co_ci_u32_e64 v7, s0, 0, v1, s0
	s_branch .LBB176_63
.LBB176_62:                             ;   in Loop: Header=BB176_63 Depth=1
	s_or_b32 exec_lo, exec_lo, s3
	v_add_nc_u32_e32 v2, 4, v2
	v_add_nc_u32_e32 v5, 0x100, v5
	;; [unrolled: 1-line block ×3, first 2 shown]
	s_delay_alu instid0(VALU_DEP_3) | instskip(NEXT) | instid1(VALU_DEP_1)
	v_cmp_lt_u32_e64 s0, 11, v2
	s_or_b32 s1, s0, s1
	s_delay_alu instid0(SALU_CYCLE_1)
	s_and_not1_b32 exec_lo, exec_lo, s1
	s_cbranch_execz .LBB176_66
.LBB176_63:                             ; =>This Inner Loop Header: Depth=1
	ds_load_b32 v9, v8
	s_mov_b32 s3, exec_lo
	s_waitcnt lgkmcnt(0)
	v_cmpx_gt_i32_e64 s6, v9
	s_cbranch_execz .LBB176_62
; %bb.64:                               ;   in Loop: Header=BB176_63 Depth=1
	ds_load_b128 v[10:13], v27
	ds_load_b128 v[14:17], v27 offset:16
	ds_load_b128 v[18:21], v27 offset:32
	ds_load_b128 v[22:25], v27 offset:48
	s_waitcnt lgkmcnt(3)
	v_cmp_gt_i32_e64 s0, v9, v10
	s_delay_alu instid0(VALU_DEP_1) | instskip(SKIP_1) | instid1(VALU_DEP_1)
	v_cndmask_b32_e64 v0, 0, 1, s0
	v_cmp_gt_i32_e64 s0, v9, v11
	v_cndmask_b32_e64 v1, 0, 1, s0
	s_delay_alu instid0(VALU_DEP_3) | instskip(NEXT) | instid1(VALU_DEP_1)
	v_add_co_u32 v0, s0, v6, v0
	v_add_co_ci_u32_e64 v10, s0, 0, v7, s0
	v_cmp_gt_i32_e64 s0, v9, v12
	v_add_nc_u32_e32 v12, s38, v9
	s_delay_alu instid0(VALU_DEP_2) | instskip(SKIP_1) | instid1(VALU_DEP_1)
	v_cndmask_b32_e64 v11, 0, 1, s0
	v_add_co_u32 v0, s0, v0, v1
	v_add_co_ci_u32_e64 v1, s0, 0, v10, s0
	v_cmp_gt_i32_e64 s0, v9, v13
	s_delay_alu instid0(VALU_DEP_1) | instskip(NEXT) | instid1(VALU_DEP_4)
	v_cndmask_b32_e64 v10, 0, 1, s0
	v_add_co_u32 v0, s0, v0, v11
	s_delay_alu instid0(VALU_DEP_1) | instskip(SKIP_2) | instid1(VALU_DEP_1)
	v_add_co_ci_u32_e64 v1, s0, 0, v1, s0
	s_waitcnt lgkmcnt(2)
	v_cmp_gt_i32_e64 s0, v9, v14
	v_cndmask_b32_e64 v11, 0, 1, s0
	v_add_co_u32 v0, s0, v0, v10
	s_delay_alu instid0(VALU_DEP_1) | instskip(SKIP_1) | instid1(VALU_DEP_1)
	v_add_co_ci_u32_e64 v1, s0, 0, v1, s0
	v_cmp_gt_i32_e64 s0, v9, v15
	v_cndmask_b32_e64 v10, 0, 1, s0
	s_delay_alu instid0(VALU_DEP_4) | instskip(NEXT) | instid1(VALU_DEP_1)
	v_add_co_u32 v0, s0, v0, v11
	v_add_co_ci_u32_e64 v1, s0, 0, v1, s0
	v_cmp_gt_i32_e64 s0, v9, v16
	s_delay_alu instid0(VALU_DEP_1) | instskip(NEXT) | instid1(VALU_DEP_4)
	v_cndmask_b32_e64 v11, 0, 1, s0
	v_add_co_u32 v0, s0, v0, v10
	s_delay_alu instid0(VALU_DEP_1) | instskip(SKIP_1) | instid1(VALU_DEP_1)
	v_add_co_ci_u32_e64 v1, s0, 0, v1, s0
	v_cmp_gt_i32_e64 s0, v9, v17
	v_cndmask_b32_e64 v10, 0, 1, s0
	s_delay_alu instid0(VALU_DEP_4) | instskip(NEXT) | instid1(VALU_DEP_1)
	v_add_co_u32 v0, s0, v0, v11
	v_add_co_ci_u32_e64 v1, s0, 0, v1, s0
	s_waitcnt lgkmcnt(1)
	v_cmp_gt_i32_e64 s0, v9, v18
	s_delay_alu instid0(VALU_DEP_1) | instskip(SKIP_1) | instid1(VALU_DEP_1)
	v_cndmask_b32_e64 v11, 0, 1, s0
	v_add_co_u32 v0, s0, v0, v10
	v_add_co_ci_u32_e64 v1, s0, 0, v1, s0
	v_cmp_gt_i32_e64 s0, v9, v19
	s_delay_alu instid0(VALU_DEP_1) | instskip(NEXT) | instid1(VALU_DEP_4)
	v_cndmask_b32_e64 v10, 0, 1, s0
	v_add_co_u32 v0, s0, v0, v11
	s_delay_alu instid0(VALU_DEP_1) | instskip(SKIP_1) | instid1(VALU_DEP_1)
	v_add_co_ci_u32_e64 v1, s0, 0, v1, s0
	v_cmp_gt_i32_e64 s0, v9, v20
	v_cndmask_b32_e64 v11, 0, 1, s0
	s_delay_alu instid0(VALU_DEP_4) | instskip(NEXT) | instid1(VALU_DEP_1)
	v_add_co_u32 v0, s0, v0, v10
	v_add_co_ci_u32_e64 v1, s0, 0, v1, s0
	v_cmp_gt_i32_e64 s0, v9, v21
	s_delay_alu instid0(VALU_DEP_1) | instskip(NEXT) | instid1(VALU_DEP_4)
	v_cndmask_b32_e64 v10, 0, 1, s0
	v_add_co_u32 v0, s0, v0, v11
	s_delay_alu instid0(VALU_DEP_1) | instskip(SKIP_2) | instid1(VALU_DEP_1)
	v_add_co_ci_u32_e64 v1, s0, 0, v1, s0
	s_waitcnt lgkmcnt(0)
	v_cmp_gt_i32_e64 s0, v9, v22
	v_cndmask_b32_e64 v11, 0, 1, s0
	v_add_co_u32 v0, s0, v0, v10
	s_delay_alu instid0(VALU_DEP_1) | instskip(SKIP_1) | instid1(VALU_DEP_1)
	v_add_co_ci_u32_e64 v1, s0, 0, v1, s0
	v_cmp_gt_i32_e64 s0, v9, v23
	v_cndmask_b32_e64 v10, 0, 1, s0
	s_delay_alu instid0(VALU_DEP_4) | instskip(NEXT) | instid1(VALU_DEP_1)
	v_add_co_u32 v0, s0, v0, v11
	v_add_co_ci_u32_e64 v1, s0, 0, v1, s0
	v_cmp_gt_i32_e64 s0, v9, v24
	s_delay_alu instid0(VALU_DEP_1) | instskip(NEXT) | instid1(VALU_DEP_4)
	v_cndmask_b32_e64 v11, 0, 1, s0
	v_add_co_u32 v0, s0, v0, v10
	s_delay_alu instid0(VALU_DEP_1) | instskip(SKIP_1) | instid1(VALU_DEP_1)
	v_add_co_ci_u32_e64 v1, s0, 0, v1, s0
	v_cmp_gt_i32_e64 s0, v9, v25
	v_cndmask_b32_e64 v10, 0, 1, s0
	s_delay_alu instid0(VALU_DEP_4) | instskip(NEXT) | instid1(VALU_DEP_1)
	v_add_co_u32 v0, s0, v0, v11
	v_add_co_ci_u32_e64 v1, s0, 0, v1, s0
	s_delay_alu instid0(VALU_DEP_2) | instskip(NEXT) | instid1(VALU_DEP_1)
	v_add_co_u32 v0, s0, v0, v10
	v_add_co_ci_u32_e64 v1, s0, 0, v1, s0
	s_delay_alu instid0(VALU_DEP_1) | instskip(NEXT) | instid1(VALU_DEP_1)
	v_lshlrev_b64 v[10:11], 2, v[0:1]
	v_add_co_u32 v9, s0, s40, v10
	s_delay_alu instid0(VALU_DEP_1)
	v_add_co_ci_u32_e64 v10, s0, s41, v11, s0
	global_store_b32 v[9:10], v12, off
	s_and_b32 exec_lo, exec_lo, vcc_lo
	s_cbranch_execz .LBB176_62
; %bb.65:                               ;   in Loop: Header=BB176_63 Depth=1
	v_mad_u64_u32 v[9:10], null, v0, s2, 0
	s_delay_alu instid0(VALU_DEP_1) | instskip(NEXT) | instid1(VALU_DEP_1)
	v_mov_b32_e32 v0, v10
	v_mad_u64_u32 v[10:11], null, v1, s2, v[0:1]
	ds_load_b32 v11, v5
	v_lshlrev_b64 v[0:1], 2, v[9:10]
	s_delay_alu instid0(VALU_DEP_1) | instskip(NEXT) | instid1(VALU_DEP_1)
	v_add_co_u32 v0, s0, v3, v0
	v_add_co_ci_u32_e64 v1, s0, v4, v1, s0
	s_waitcnt lgkmcnt(0)
	global_store_b32 v[0:1], v11, off
	s_branch .LBB176_62
.LBB176_66:
	s_nop 0
	s_sendmsg sendmsg(MSG_DEALLOC_VGPRS)
	s_endpgm
	.section	.rodata,"a",@progbits
	.p2align	6, 0x0
	.amdhsa_kernel _ZN9rocsparseL23bsrgemm_fill_wf_per_rowILj256ELj64ELj16ELj137ELj4ElifEEv20rocsparse_direction_T5_S2_S2_PKS2_S4_NS_24const_host_device_scalarIT6_EEPKT4_S4_PKS6_SA_S4_SC_S7_SA_S4_SC_SA_PS2_PS6_21rocsparse_index_base_SF_SF_SF_bbb
		.amdhsa_group_segment_fixed_size 4352
		.amdhsa_private_segment_fixed_size 0
		.amdhsa_kernarg_size 164
		.amdhsa_user_sgpr_count 15
		.amdhsa_user_sgpr_dispatch_ptr 0
		.amdhsa_user_sgpr_queue_ptr 0
		.amdhsa_user_sgpr_kernarg_segment_ptr 1
		.amdhsa_user_sgpr_dispatch_id 0
		.amdhsa_user_sgpr_private_segment_size 0
		.amdhsa_wavefront_size32 1
		.amdhsa_uses_dynamic_stack 0
		.amdhsa_enable_private_segment 0
		.amdhsa_system_sgpr_workgroup_id_x 1
		.amdhsa_system_sgpr_workgroup_id_y 0
		.amdhsa_system_sgpr_workgroup_id_z 0
		.amdhsa_system_sgpr_workgroup_info 0
		.amdhsa_system_vgpr_workitem_id 0
		.amdhsa_next_free_vgpr 40
		.amdhsa_next_free_sgpr 49
		.amdhsa_reserve_vcc 1
		.amdhsa_float_round_mode_32 0
		.amdhsa_float_round_mode_16_64 0
		.amdhsa_float_denorm_mode_32 3
		.amdhsa_float_denorm_mode_16_64 3
		.amdhsa_dx10_clamp 1
		.amdhsa_ieee_mode 1
		.amdhsa_fp16_overflow 0
		.amdhsa_workgroup_processor_mode 1
		.amdhsa_memory_ordered 1
		.amdhsa_forward_progress 0
		.amdhsa_shared_vgpr_count 0
		.amdhsa_exception_fp_ieee_invalid_op 0
		.amdhsa_exception_fp_denorm_src 0
		.amdhsa_exception_fp_ieee_div_zero 0
		.amdhsa_exception_fp_ieee_overflow 0
		.amdhsa_exception_fp_ieee_underflow 0
		.amdhsa_exception_fp_ieee_inexact 0
		.amdhsa_exception_int_div_zero 0
	.end_amdhsa_kernel
	.section	.text._ZN9rocsparseL23bsrgemm_fill_wf_per_rowILj256ELj64ELj16ELj137ELj4ElifEEv20rocsparse_direction_T5_S2_S2_PKS2_S4_NS_24const_host_device_scalarIT6_EEPKT4_S4_PKS6_SA_S4_SC_S7_SA_S4_SC_SA_PS2_PS6_21rocsparse_index_base_SF_SF_SF_bbb,"axG",@progbits,_ZN9rocsparseL23bsrgemm_fill_wf_per_rowILj256ELj64ELj16ELj137ELj4ElifEEv20rocsparse_direction_T5_S2_S2_PKS2_S4_NS_24const_host_device_scalarIT6_EEPKT4_S4_PKS6_SA_S4_SC_S7_SA_S4_SC_SA_PS2_PS6_21rocsparse_index_base_SF_SF_SF_bbb,comdat
.Lfunc_end176:
	.size	_ZN9rocsparseL23bsrgemm_fill_wf_per_rowILj256ELj64ELj16ELj137ELj4ElifEEv20rocsparse_direction_T5_S2_S2_PKS2_S4_NS_24const_host_device_scalarIT6_EEPKT4_S4_PKS6_SA_S4_SC_S7_SA_S4_SC_SA_PS2_PS6_21rocsparse_index_base_SF_SF_SF_bbb, .Lfunc_end176-_ZN9rocsparseL23bsrgemm_fill_wf_per_rowILj256ELj64ELj16ELj137ELj4ElifEEv20rocsparse_direction_T5_S2_S2_PKS2_S4_NS_24const_host_device_scalarIT6_EEPKT4_S4_PKS6_SA_S4_SC_S7_SA_S4_SC_SA_PS2_PS6_21rocsparse_index_base_SF_SF_SF_bbb
                                        ; -- End function
	.section	.AMDGPU.csdata,"",@progbits
; Kernel info:
; codeLenInByte = 3532
; NumSgprs: 51
; NumVgprs: 40
; ScratchSize: 0
; MemoryBound: 0
; FloatMode: 240
; IeeeMode: 1
; LDSByteSize: 4352 bytes/workgroup (compile time only)
; SGPRBlocks: 6
; VGPRBlocks: 4
; NumSGPRsForWavesPerEU: 51
; NumVGPRsForWavesPerEU: 40
; Occupancy: 16
; WaveLimiterHint : 1
; COMPUTE_PGM_RSRC2:SCRATCH_EN: 0
; COMPUTE_PGM_RSRC2:USER_SGPR: 15
; COMPUTE_PGM_RSRC2:TRAP_HANDLER: 0
; COMPUTE_PGM_RSRC2:TGID_X_EN: 1
; COMPUTE_PGM_RSRC2:TGID_Y_EN: 0
; COMPUTE_PGM_RSRC2:TGID_Z_EN: 0
; COMPUTE_PGM_RSRC2:TIDIG_COMP_CNT: 0
	.section	.text._ZN9rocsparseL38bsrgemm_block_per_row_atomic_multipassILj256ELj32ELj4ElifEEv20rocsparse_direction_T3_S2_PKS2_S4_NS_24const_host_device_scalarIT4_EEPKT2_S4_PKS6_SA_S4_SC_S7_SA_S4_SC_SA_PS2_PS6_PS8_21rocsparse_index_base_SG_SG_SG_bbb,"axG",@progbits,_ZN9rocsparseL38bsrgemm_block_per_row_atomic_multipassILj256ELj32ELj4ElifEEv20rocsparse_direction_T3_S2_PKS2_S4_NS_24const_host_device_scalarIT4_EEPKT2_S4_PKS6_SA_S4_SC_S7_SA_S4_SC_SA_PS2_PS6_PS8_21rocsparse_index_base_SG_SG_SG_bbb,comdat
	.globl	_ZN9rocsparseL38bsrgemm_block_per_row_atomic_multipassILj256ELj32ELj4ElifEEv20rocsparse_direction_T3_S2_PKS2_S4_NS_24const_host_device_scalarIT4_EEPKT2_S4_PKS6_SA_S4_SC_S7_SA_S4_SC_SA_PS2_PS6_PS8_21rocsparse_index_base_SG_SG_SG_bbb ; -- Begin function _ZN9rocsparseL38bsrgemm_block_per_row_atomic_multipassILj256ELj32ELj4ElifEEv20rocsparse_direction_T3_S2_PKS2_S4_NS_24const_host_device_scalarIT4_EEPKT2_S4_PKS6_SA_S4_SC_S7_SA_S4_SC_SA_PS2_PS6_PS8_21rocsparse_index_base_SG_SG_SG_bbb
	.p2align	8
	.type	_ZN9rocsparseL38bsrgemm_block_per_row_atomic_multipassILj256ELj32ELj4ElifEEv20rocsparse_direction_T3_S2_PKS2_S4_NS_24const_host_device_scalarIT4_EEPKT2_S4_PKS6_SA_S4_SC_S7_SA_S4_SC_SA_PS2_PS6_PS8_21rocsparse_index_base_SG_SG_SG_bbb,@function
_ZN9rocsparseL38bsrgemm_block_per_row_atomic_multipassILj256ELj32ELj4ElifEEv20rocsparse_direction_T3_S2_PKS2_S4_NS_24const_host_device_scalarIT4_EEPKT2_S4_PKS6_SA_S4_SC_S7_SA_S4_SC_SA_PS2_PS6_PS8_21rocsparse_index_base_SG_SG_SG_bbb: ; @_ZN9rocsparseL38bsrgemm_block_per_row_atomic_multipassILj256ELj32ELj4ElifEEv20rocsparse_direction_T3_S2_PKS2_S4_NS_24const_host_device_scalarIT4_EEPKT2_S4_PKS6_SA_S4_SC_S7_SA_S4_SC_SA_PS2_PS6_PS8_21rocsparse_index_base_SG_SG_SG_bbb
; %bb.0:
	s_clause 0x3
	s_load_b32 s5, s[0:1], 0xa8
	s_load_b128 s[28:31], s[0:1], 0x98
	s_load_b64 s[6:7], s[0:1], 0x20
	s_load_b64 s[2:3], s[0:1], 0x58
	s_mov_b32 s4, s15
	s_waitcnt lgkmcnt(0)
	s_bitcmp1_b32 s5, 0
	s_cselect_b32 s8, -1, 0
	s_bitcmp1_b32 s5, 16
	s_cselect_b32 s9, -1, 0
	s_xor_b32 s10, s8, -1
	s_delay_alu instid0(SALU_CYCLE_1) | instskip(NEXT) | instid1(SALU_CYCLE_1)
	s_or_b32 s10, s10, s9
	s_and_b32 vcc_lo, exec_lo, s10
	s_cbranch_vccnz .LBB177_2
; %bb.1:
	s_load_b32 s6, s[6:7], 0x0
	s_waitcnt lgkmcnt(0)
	v_mov_b32_e32 v23, s6
	s_branch .LBB177_3
.LBB177_2:
	v_cndmask_b32_e64 v23, 0, s6, s8
.LBB177_3:
	s_load_b64 s[6:7], s[0:1], 0x18
	s_bitcmp1_b32 s5, 8
	s_cselect_b32 s33, -1, 0
	s_delay_alu instid0(SALU_CYCLE_1) | instskip(NEXT) | instid1(SALU_CYCLE_1)
	s_xor_b32 s5, s33, -1
	s_or_b32 s5, s5, s9
	s_delay_alu instid0(SALU_CYCLE_1)
	s_and_b32 vcc_lo, exec_lo, s5
	s_cbranch_vccnz .LBB177_5
; %bb.4:
	s_load_b32 s2, s[2:3], 0x0
	s_waitcnt lgkmcnt(0)
	v_mov_b32_e32 v24, s2
	s_load_b64 s[2:3], s[0:1], 0x28
	s_cmp_eq_u64 s[6:7], 0
	s_mov_b64 s[34:35], 0
	s_cbranch_scc0 .LBB177_6
	s_branch .LBB177_7
.LBB177_5:
	v_cndmask_b32_e64 v24, 0, s2, s33
	s_load_b64 s[2:3], s[0:1], 0x28
	s_waitcnt lgkmcnt(0)
	s_cmp_eq_u64 s[6:7], 0
	s_mov_b64 s[34:35], 0
	s_cbranch_scc1 .LBB177_7
.LBB177_6:
	s_load_b64 s[10:11], s[0:1], 0x10
	s_waitcnt lgkmcnt(0)
	s_load_b32 s5, s[10:11], 0x0
	s_waitcnt lgkmcnt(0)
	s_add_i32 s4, s5, s4
	s_mov_b32 s5, 0
	s_delay_alu instid0(SALU_CYCLE_1) | instskip(NEXT) | instid1(SALU_CYCLE_1)
	s_lshl_b64 s[4:5], s[4:5], 2
	s_add_u32 s4, s6, s4
	s_addc_u32 s5, s7, s5
	s_load_b32 s4, s[4:5], 0x0
.LBB177_7:
	s_and_not1_b32 vcc_lo, exec_lo, s8
	s_cbranch_vccz .LBB177_10
; %bb.8:
	s_and_not1_b32 vcc_lo, exec_lo, s8
	s_mov_b64 s[44:45], 0
	s_cbranch_vccz .LBB177_11
.LBB177_9:
	s_load_b128 s[36:39], s[0:1], 0x0
	s_waitcnt lgkmcnt(0)
	s_cmp_lt_i32 s37, 1
	s_cbranch_scc0 .LBB177_12
	s_branch .LBB177_94
.LBB177_10:
	s_waitcnt lgkmcnt(0)
	s_ashr_i32 s5, s4, 31
	s_delay_alu instid0(SALU_CYCLE_1) | instskip(NEXT) | instid1(SALU_CYCLE_1)
	s_lshl_b64 s[6:7], s[4:5], 3
	s_add_u32 s6, s2, s6
	s_addc_u32 s7, s3, s7
	s_load_b64 s[6:7], s[6:7], 0x0
	s_waitcnt lgkmcnt(0)
	s_sub_u32 s34, s6, s28
	s_subb_u32 s35, s7, 0
	s_and_not1_b32 vcc_lo, exec_lo, s8
	s_mov_b64 s[44:45], 0
	s_cbranch_vccnz .LBB177_9
.LBB177_11:
	s_waitcnt lgkmcnt(0)
	s_ashr_i32 s5, s4, 31
	s_delay_alu instid0(SALU_CYCLE_1) | instskip(NEXT) | instid1(SALU_CYCLE_1)
	s_lshl_b64 s[6:7], s[4:5], 3
	s_add_u32 s2, s2, s6
	s_addc_u32 s3, s3, s7
	s_load_b64 s[2:3], s[2:3], 0x8
	s_waitcnt lgkmcnt(0)
	s_sub_u32 s44, s2, s28
	s_subb_u32 s45, s3, 0
	s_load_b128 s[36:39], s[0:1], 0x0
	s_waitcnt lgkmcnt(0)
	s_cmp_lt_i32 s37, 1
	s_cbranch_scc1 .LBB177_94
.LBB177_12:
	s_clause 0x4
	s_load_b256 s[12:19], s[0:1], 0x60
	s_load_b64 s[46:47], s[0:1], 0x90
	s_load_b128 s[40:43], s[0:1], 0x80
	s_load_b64 s[10:11], s[0:1], 0x50
	s_load_b256 s[20:27], s[0:1], 0x30
	v_bfe_u32 v3, v0, 2, 2
	v_dual_mov_b32 v2, 0 :: v_dual_and_b32 v7, 15, v0
	v_and_b32_e32 v26, 3, v0
	s_ashr_i32 s5, s4, 31
	s_delay_alu instid0(VALU_DEP_3)
	v_mul_lo_u32 v1, v3, s38
	s_lshl_b64 s[4:5], s[4:5], 3
	v_dual_mov_b32 v51, 32 :: v_dual_and_b32 v28, 12, v0
	v_max_i32_e32 v5, v26, v3
	v_lshlrev_b32_e32 v8, 2, v26
	v_lshrrev_b32_e32 v25, 4, v0
	v_cmp_lt_i64_e64 s9, s[34:35], s[44:45]
	v_lshlrev_b64 v[3:4], 2, v[1:2]
	v_mul_lo_u32 v1, v26, s38
	s_waitcnt lgkmcnt(0)
	s_add_u32 s6, s18, s4
	s_addc_u32 s7, s19, s5
	v_cmp_gt_i32_e64 s3, s38, v5
	s_load_b64 s[6:7], s[6:7], 0x0
	v_add_co_u32 v9, vcc_lo, s22, v3
	v_add_co_ci_u32_e32 v10, vcc_lo, s23, v4, vcc_lo
	v_lshlrev_b64 v[5:6], 2, v[1:2]
	s_delay_alu instid0(VALU_DEP_3) | instskip(NEXT) | instid1(VALU_DEP_3)
	v_add_co_u32 v30, vcc_lo, v9, v8
	v_add_co_ci_u32_e32 v31, vcc_lo, 0, v10, vcc_lo
	v_cmp_gt_u32_e64 s0, 32, v0
	s_delay_alu instid0(VALU_DEP_4) | instskip(SKIP_3) | instid1(VALU_DEP_4)
	v_add_co_u32 v1, vcc_lo, s16, v5
	v_add_co_ci_u32_e32 v9, vcc_lo, s17, v6, vcc_lo
	v_add_co_u32 v10, vcc_lo, s16, v3
	v_add_co_ci_u32_e32 v11, vcc_lo, s17, v4, vcc_lo
	v_add_co_u32 v1, vcc_lo, v1, v28
	s_waitcnt lgkmcnt(0)
	s_sub_u32 s18, s6, s30
	v_add_co_ci_u32_e32 v9, vcc_lo, 0, v9, vcc_lo
	s_subb_u32 s19, s7, 0
	v_add_co_u32 v10, vcc_lo, v10, v8
	s_cmp_eq_u32 s36, 0
	v_and_b32_e32 v12, 31, v0
	v_add_co_ci_u32_e32 v11, vcc_lo, 0, v11, vcc_lo
	s_cselect_b32 vcc_lo, -1, 0
	s_cmp_lg_u32 s36, 0
	s_delay_alu instid0(VALU_DEP_2)
	v_add_co_u32 v14, s55, v12, -1
	s_cselect_b32 s52, -1, 0
	s_cmp_gt_i32 s38, 0
	v_cmp_gt_u32_e64 s1, 0x200, v0
	s_cselect_b32 s53, -1, 0
	s_add_u32 s22, s12, s4
	v_sub_co_u32 v32, s4, v25, s31
	s_addc_u32 s23, s13, s5
	v_sub_co_ci_u32_e64 v33, null, 0, 0, s4
	v_cmp_eq_u32_e64 s4, 15, v7
	v_add_co_u32 v7, s5, s42, v5
	v_lshl_add_u32 v35, v14, 2, 0xc00
	v_add_co_ci_u32_e64 v14, s5, s43, v6, s5
	v_add_co_u32 v3, s5, s42, v3
	s_delay_alu instid0(VALU_DEP_1) | instskip(SKIP_1) | instid1(VALU_DEP_1)
	v_add_co_ci_u32_e64 v4, s5, s43, v4, s5
	v_add_co_u32 v7, s5, v7, v28
	v_add_co_ci_u32_e64 v14, s5, 0, v14, s5
	s_delay_alu instid0(VALU_DEP_4) | instskip(NEXT) | instid1(VALU_DEP_1)
	v_add_co_u32 v15, s5, v3, v8
	v_add_co_ci_u32_e64 v16, s5, 0, v4, s5
	s_delay_alu instid0(VALU_DEP_2)
	v_dual_cndmask_b32 v3, v1, v10 :: v_dual_cndmask_b32 v42, v7, v15
	v_lshlrev_b32_e32 v1, 6, v25
	v_cmp_eq_u32_e64 s2, 0, v0
	v_dual_cndmask_b32 v4, v9, v11 :: v_dual_lshlrev_b32 v27, 2, v0
	v_cndmask_b32_e32 v41, v14, v16, vcc_lo
	v_or_b32_e32 v43, 0xffffff00, v0
	v_add_co_u32 v0, vcc_lo, s10, v5
	v_add_co_u32 v5, s10, s10, v8
	v_mov_b32_e32 v7, s18
	v_dual_mov_b32 v8, s19 :: v_dual_lshlrev_b32 v13, 2, v12
	v_or3_b32 v44, v1, v28, 0x800
	v_add_co_ci_u32_e32 v1, vcc_lo, s11, v6, vcc_lo
	v_add_co_ci_u32_e64 v6, null, s11, 0, s10
	s_movk_i32 s10, 0x3f0
	v_add_co_u32 v46, vcc_lo, v32, 16
	s_mov_b32 s49, 0
	s_and_b32 s56, s8, s9
	v_or_b32_e32 v29, 0x800, v27
	v_or_b32_e32 v34, 0xc00, v13
	;; [unrolled: 1-line block ×3, first 2 shown]
	v_cmp_ne_u32_e64 s5, 0, v12
	v_cmp_lt_u32_e64 s6, 1, v12
	v_dual_mov_b32 v50, 0 :: v_dual_add_nc_u32 v37, 0xbf8, v13
	v_cmp_lt_u32_e64 s7, 3, v12
	v_dual_mov_b32 v49, 1 :: v_dual_add_nc_u32 v38, 0xbf0, v13
	v_cmp_lt_u32_e64 s8, 7, v12
	v_add_nc_u32_e32 v39, 0xbe0, v13
	v_cmp_lt_u32_e64 s9, 15, v12
	v_add_nc_u32_e32 v40, 0xbc0, v13
	s_add_u32 s57, s24, 8
	v_and_or_b32 v45, v27, s10, 0x800
	v_add_co_ci_u32_e32 v47, vcc_lo, 0, v33, vcc_lo
	v_lshl_or_b32 v48, v25, 2, 0xc00
	s_mul_i32 s48, s38, s38
	s_addc_u32 s58, s25, 0
	s_mov_b32 s39, s49
	s_add_u32 s59, s40, -4
	s_mov_b32 s36, s29
	s_mov_b32 s54, s31
	s_addc_u32 s60, s41, -1
	s_lshl_b64 s[40:41], s[48:49], 2
	s_lshl_b64 s[42:43], s[38:39], 2
	;; [unrolled: 1-line block ×3, first 2 shown]
	s_branch .LBB177_14
.LBB177_13:                             ;   in Loop: Header=BB177_14 Depth=1
	s_set_inst_prefetch_distance 0x2
	s_or_b32 exec_lo, exec_lo, s10
	s_waitcnt_vscnt null, 0x0
	s_barrier
	buffer_gl0_inv
	ds_load_b32 v50, v2 offset:3200
	v_ashrrev_i32_e32 v10, 31, v9
	v_add_co_u32 v7, s10, v7, v9
	s_waitcnt lgkmcnt(0)
	s_barrier
	s_delay_alu instid0(VALU_DEP_2)
	v_add_co_ci_u32_e64 v8, s10, v8, v10, s10
	buffer_gl0_inv
	v_cmp_le_i32_e32 vcc_lo, s37, v50
	v_add_nc_u32_e32 v51, 32, v50
	s_cbranch_vccnz .LBB177_94
.LBB177_14:                             ; =>This Loop Header: Depth=1
                                        ;     Child Loop BB177_18 Depth 2
                                        ;     Child Loop BB177_24 Depth 2
                                        ;       Child Loop BB177_37 Depth 3
                                        ;         Child Loop BB177_46 Depth 4
                                        ;         Child Loop BB177_51 Depth 4
                                        ;     Child Loop BB177_62 Depth 2
                                        ;     Child Loop BB177_71 Depth 2
	;; [unrolled: 1-line block ×3, first 2 shown]
	s_and_saveexec_b32 s10, s0
	s_cbranch_execz .LBB177_16
; %bb.15:                               ;   in Loop: Header=BB177_14 Depth=1
	ds_store_b32 v36, v2
.LBB177_16:                             ;   in Loop: Header=BB177_14 Depth=1
	s_or_b32 exec_lo, exec_lo, s10
	s_and_saveexec_b32 s10, s1
	s_cbranch_execz .LBB177_19
; %bb.17:                               ;   in Loop: Header=BB177_14 Depth=1
	v_mov_b32_e32 v9, v27
	v_mov_b32_e32 v10, v43
	s_mov_b32 s11, 0
.LBB177_18:                             ;   Parent Loop BB177_14 Depth=1
                                        ; =>  This Inner Loop Header: Depth=2
	s_delay_alu instid0(VALU_DEP_1) | instskip(NEXT) | instid1(VALU_DEP_1)
	v_add_co_u32 v10, s12, 0x100, v10
	s_xor_b32 s12, s12, -1
	ds_store_b32 v9, v2
	v_add_nc_u32_e32 v9, 0x400, v9
	s_and_b32 s12, exec_lo, s12
	s_delay_alu instid0(SALU_CYCLE_1) | instskip(NEXT) | instid1(SALU_CYCLE_1)
	s_or_b32 s11, s12, s11
	s_and_not1_b32 exec_lo, exec_lo, s11
	s_cbranch_execnz .LBB177_18
.LBB177_19:                             ;   in Loop: Header=BB177_14 Depth=1
	s_or_b32 exec_lo, exec_lo, s10
	s_and_saveexec_b32 s10, s2
	s_cbranch_execz .LBB177_21
; %bb.20:                               ;   in Loop: Header=BB177_14 Depth=1
	v_mov_b32_e32 v9, s37
	ds_store_b32 v2, v9 offset:3200
.LBB177_21:                             ;   in Loop: Header=BB177_14 Depth=1
	s_or_b32 exec_lo, exec_lo, s10
	v_mov_b32_e32 v52, s37
	s_and_not1_b32 vcc_lo, exec_lo, s56
	s_waitcnt lgkmcnt(0)
	s_barrier
	buffer_gl0_inv
	s_cbranch_vccnz .LBB177_57
; %bb.22:                               ;   in Loop: Header=BB177_14 Depth=1
	v_cmp_ne_u32_e64 s10, 0, v50
	v_mov_b32_e32 v52, s37
	s_mov_b64 s[16:17], s[34:35]
	s_branch .LBB177_24
.LBB177_23:                             ;   in Loop: Header=BB177_24 Depth=2
	s_or_b32 exec_lo, exec_lo, s12
	s_add_u32 s16, s16, 16
	s_addc_u32 s17, s17, 0
	s_delay_alu instid0(SALU_CYCLE_1) | instskip(NEXT) | instid1(VALU_DEP_1)
	v_cmp_lt_i64_e64 s11, s[16:17], s[44:45]
	s_and_b32 vcc_lo, exec_lo, s11
	s_cbranch_vccz .LBB177_57
.LBB177_24:                             ;   Parent Loop BB177_14 Depth=1
                                        ; =>  This Loop Header: Depth=2
                                        ;       Child Loop BB177_37 Depth 3
                                        ;         Child Loop BB177_46 Depth 4
                                        ;         Child Loop BB177_51 Depth 4
	v_add_co_u32 v9, s11, s16, v25
	s_delay_alu instid0(VALU_DEP_1) | instskip(NEXT) | instid1(VALU_DEP_1)
	v_add_co_ci_u32_e64 v10, null, s17, 0, s11
	s_waitcnt_vscnt null, 0x0
	s_barrier
	buffer_gl0_inv
	v_cmp_gt_i64_e64 s11, s[44:45], v[9:10]
	s_delay_alu instid0(VALU_DEP_1)
	s_and_saveexec_b32 s12, s11
	s_cbranch_execz .LBB177_28
; %bb.25:                               ;   in Loop: Header=BB177_24 Depth=2
	v_mov_b32_e32 v11, 0
	s_and_saveexec_b32 s13, s3
	s_cbranch_execz .LBB177_27
; %bb.26:                               ;   in Loop: Header=BB177_24 Depth=2
	v_mad_u64_u32 v[11:12], null, v9, s48, 0
	s_delay_alu instid0(VALU_DEP_1) | instskip(NEXT) | instid1(VALU_DEP_1)
	v_mad_u64_u32 v[13:14], null, v10, s48, v[12:13]
	v_mov_b32_e32 v12, v13
	s_delay_alu instid0(VALU_DEP_1) | instskip(NEXT) | instid1(VALU_DEP_1)
	v_lshlrev_b64 v[11:12], 2, v[11:12]
	v_add_co_u32 v11, vcc_lo, v30, v11
	s_delay_alu instid0(VALU_DEP_2)
	v_add_co_ci_u32_e32 v12, vcc_lo, v31, v12, vcc_lo
	global_load_b32 v11, v[11:12], off
.LBB177_27:                             ;   in Loop: Header=BB177_24 Depth=2
	s_or_b32 exec_lo, exec_lo, s13
	s_waitcnt vmcnt(0)
	ds_store_b32 v29, v11
.LBB177_28:                             ;   in Loop: Header=BB177_24 Depth=2
	s_or_b32 exec_lo, exec_lo, s12
	v_mov_b32_e32 v11, 0
	v_mov_b32_e32 v12, 0
	s_waitcnt lgkmcnt(0)
	s_barrier
	buffer_gl0_inv
	s_and_saveexec_b32 s13, s11
	s_cbranch_execz .LBB177_54
; %bb.29:                               ;   in Loop: Header=BB177_24 Depth=2
	v_lshlrev_b64 v[11:12], 2, v[9:10]
	s_delay_alu instid0(VALU_DEP_1) | instskip(NEXT) | instid1(VALU_DEP_2)
	v_add_co_u32 v11, vcc_lo, s20, v11
	v_add_co_ci_u32_e32 v12, vcc_lo, s21, v12, vcc_lo
	s_and_b32 vcc_lo, exec_lo, s10
	global_load_b32 v11, v[11:12], off
	s_waitcnt vmcnt(0)
	v_subrev_nc_u32_e32 v13, s28, v11
	s_delay_alu instid0(VALU_DEP_1)
	v_ashrrev_i32_e32 v14, 31, v13
	s_cbranch_vccz .LBB177_56
; %bb.30:                               ;   in Loop: Header=BB177_24 Depth=2
	v_lshlrev_b64 v[11:12], 3, v[9:10]
	s_delay_alu instid0(VALU_DEP_1) | instskip(NEXT) | instid1(VALU_DEP_2)
	v_add_co_u32 v11, vcc_lo, s46, v11
	v_add_co_ci_u32_e32 v12, vcc_lo, s47, v12, vcc_lo
	global_load_b64 v[11:12], v[11:12], off
	s_cbranch_execnz .LBB177_32
.LBB177_31:                             ;   in Loop: Header=BB177_24 Depth=2
	s_waitcnt vmcnt(0)
	s_delay_alu instid0(VALU_DEP_1) | instskip(NEXT) | instid1(VALU_DEP_1)
	v_lshlrev_b64 v[11:12], 3, v[13:14]
	v_add_co_u32 v11, vcc_lo, s24, v11
	s_delay_alu instid0(VALU_DEP_2)
	v_add_co_ci_u32_e32 v12, vcc_lo, s25, v12, vcc_lo
	global_load_b64 v[11:12], v[11:12], off
	s_waitcnt vmcnt(0)
	v_sub_co_u32 v11, vcc_lo, v11, s36
	v_subrev_co_ci_u32_e32 v12, vcc_lo, 0, v12, vcc_lo
.LBB177_32:                             ;   in Loop: Header=BB177_24 Depth=2
	v_lshlrev_b64 v[13:14], 3, v[13:14]
	s_mov_b32 s18, exec_lo
	s_delay_alu instid0(VALU_DEP_1) | instskip(NEXT) | instid1(VALU_DEP_2)
	v_add_co_u32 v13, vcc_lo, s57, v13
	v_add_co_ci_u32_e32 v14, vcc_lo, s58, v14, vcc_lo
	global_load_b64 v[13:14], v[13:14], off
	s_waitcnt vmcnt(0)
	v_sub_co_u32 v13, vcc_lo, v13, s36
	v_subrev_co_ci_u32_e32 v14, vcc_lo, 0, v14, vcc_lo
	s_delay_alu instid0(VALU_DEP_1)
	v_cmpx_lt_i64_e64 v[11:12], v[13:14]
	s_cbranch_execz .LBB177_53
; %bb.33:                               ;   in Loop: Header=BB177_24 Depth=2
	v_mad_u64_u32 v[15:16], null, s40, v11, v[0:1]
	v_mul_lo_u32 v19, s40, v12
	v_mul_lo_u32 v20, s41, v11
	v_mad_u64_u32 v[17:18], null, s40, v11, v[5:6]
	s_mov_b32 s19, 0
	s_delay_alu instid0(VALU_DEP_2) | instskip(NEXT) | instid1(VALU_DEP_2)
	v_add3_u32 v16, v20, v16, v19
	v_add3_u32 v18, v20, v18, v19
	v_dual_mov_b32 v20, v12 :: v_dual_mov_b32 v19, v11
	s_branch .LBB177_37
.LBB177_34:                             ;   in Loop: Header=BB177_37 Depth=3
	s_delay_alu instid0(VALU_DEP_1) | instskip(NEXT) | instid1(VALU_DEP_1)
	v_dual_mul_f32 v22, v23, v54 :: v_dual_lshlrev_b32 v21, 4, v53
	v_or3_b32 v21, v21, v28, v26
	s_delay_alu instid0(VALU_DEP_1)
	v_lshlrev_b32_e32 v21, 2, v21
	ds_add_f32 v21, v22
.LBB177_35:                             ;   in Loop: Header=BB177_37 Depth=3
	s_or_b32 exec_lo, exec_lo, s61
	s_delay_alu instid0(SALU_CYCLE_1)
	s_or_b32 s39, s39, exec_lo
.LBB177_36:                             ;   in Loop: Header=BB177_37 Depth=3
	s_or_b32 exec_lo, exec_lo, s49
	v_add_co_u32 v11, vcc_lo, v11, 1
	v_add_co_ci_u32_e32 v12, vcc_lo, 0, v12, vcc_lo
	v_add_co_u32 v15, s12, v15, s40
	s_xor_b32 s39, s39, -1
	s_delay_alu instid0(VALU_DEP_2)
	v_cmp_ge_i64_e32 vcc_lo, v[11:12], v[13:14]
	v_add_co_ci_u32_e64 v16, s12, s41, v16, s12
	s_or_b32 s12, s39, vcc_lo
	v_add_co_u32 v17, vcc_lo, v17, s40
	v_add_co_ci_u32_e32 v18, vcc_lo, s41, v18, vcc_lo
	s_and_b32 s12, exec_lo, s12
	s_delay_alu instid0(SALU_CYCLE_1) | instskip(NEXT) | instid1(SALU_CYCLE_1)
	s_or_b32 s19, s12, s19
	s_and_not1_b32 exec_lo, exec_lo, s19
	s_cbranch_execz .LBB177_52
.LBB177_37:                             ;   Parent Loop BB177_14 Depth=1
                                        ;     Parent Loop BB177_24 Depth=2
                                        ; =>    This Loop Header: Depth=3
                                        ;         Child Loop BB177_46 Depth 4
                                        ;         Child Loop BB177_51 Depth 4
	v_lshlrev_b64 v[21:22], 2, v[11:12]
                                        ; implicit-def: $sgpr39
	s_delay_alu instid0(VALU_DEP_1) | instskip(NEXT) | instid1(VALU_DEP_2)
	v_add_co_u32 v21, vcc_lo, s26, v21
	v_add_co_ci_u32_e32 v22, vcc_lo, s27, v22, vcc_lo
	global_load_b32 v21, v[21:22], off
	s_waitcnt vmcnt(0)
	v_subrev_nc_u32_e32 v21, s29, v21
	s_delay_alu instid0(VALU_DEP_1) | instskip(SKIP_1) | instid1(VALU_DEP_2)
	v_cmp_lt_i32_e64 s12, v21, v50
	v_cmp_ge_i32_e32 vcc_lo, v21, v51
	s_or_b32 s12, s12, vcc_lo
	s_delay_alu instid0(SALU_CYCLE_1) | instskip(NEXT) | instid1(SALU_CYCLE_1)
	s_and_saveexec_b32 s49, s12
	s_xor_b32 s12, exec_lo, s49
	s_cbranch_execz .LBB177_41
; %bb.38:                               ;   in Loop: Header=BB177_37 Depth=3
	s_mov_b32 s39, -1
	s_and_saveexec_b32 s49, vcc_lo
; %bb.39:                               ;   in Loop: Header=BB177_37 Depth=3
	v_min_i32_e32 v52, v21, v52
	v_dual_mov_b32 v20, v12 :: v_dual_mov_b32 v19, v11
	s_xor_b32 s39, exec_lo, -1
; %bb.40:                               ;   in Loop: Header=BB177_37 Depth=3
	s_or_b32 exec_lo, exec_lo, s49
	s_delay_alu instid0(SALU_CYCLE_1)
	s_and_b32 s39, s39, exec_lo
                                        ; implicit-def: $vgpr21
.LBB177_41:                             ;   in Loop: Header=BB177_37 Depth=3
	s_and_not1_saveexec_b32 s49, s12
	s_cbranch_execz .LBB177_36
; %bb.42:                               ;   in Loop: Header=BB177_37 Depth=3
	v_sub_nc_u32_e32 v53, v21, v50
	s_delay_alu instid0(VALU_DEP_1)
	v_lshlrev_b32_e32 v21, 2, v53
	ds_store_b32 v21, v49 offset:3072
	s_and_saveexec_b32 s61, s3
	s_cbranch_execz .LBB177_35
; %bb.43:                               ;   in Loop: Header=BB177_37 Depth=3
	v_cndmask_b32_e64 v21, 0, 1, s53
	s_and_not1_b32 vcc_lo, exec_lo, s52
	s_delay_alu instid0(VALU_DEP_1)
	v_cmp_ne_u32_e64 s12, 1, v21
	s_cbranch_vccnz .LBB177_48
; %bb.44:                               ;   in Loop: Header=BB177_37 Depth=3
	v_mov_b32_e32 v54, 0
	s_delay_alu instid0(VALU_DEP_2)
	s_and_b32 vcc_lo, exec_lo, s12
	s_cbranch_vccnz .LBB177_47
; %bb.45:                               ;   in Loop: Header=BB177_37 Depth=3
	v_dual_mov_b32 v22, v16 :: v_dual_mov_b32 v21, v15
	v_mov_b32_e32 v55, v44
	s_mov_b32 s12, s38
.LBB177_46:                             ;   Parent Loop BB177_14 Depth=1
                                        ;     Parent Loop BB177_24 Depth=2
                                        ;       Parent Loop BB177_37 Depth=3
                                        ; =>      This Inner Loop Header: Depth=4
	global_load_b32 v56, v[21:22], off
	ds_load_b32 v57, v55
	v_add_co_u32 v21, vcc_lo, v21, 4
	v_add_nc_u32_e32 v55, 16, v55
	v_add_co_ci_u32_e32 v22, vcc_lo, 0, v22, vcc_lo
	s_add_i32 s12, s12, -1
	s_delay_alu instid0(SALU_CYCLE_1)
	s_cmp_lg_u32 s12, 0
	s_waitcnt vmcnt(0) lgkmcnt(0)
	v_fmac_f32_e32 v54, v57, v56
	s_cbranch_scc1 .LBB177_46
.LBB177_47:                             ;   in Loop: Header=BB177_37 Depth=3
	s_cbranch_execnz .LBB177_34
	s_branch .LBB177_49
.LBB177_48:                             ;   in Loop: Header=BB177_37 Depth=3
                                        ; implicit-def: $vgpr54
.LBB177_49:                             ;   in Loop: Header=BB177_37 Depth=3
	v_mov_b32_e32 v54, 0
	s_and_not1_b32 vcc_lo, exec_lo, s53
	s_cbranch_vccnz .LBB177_34
; %bb.50:                               ;   in Loop: Header=BB177_37 Depth=3
	v_dual_mov_b32 v55, v45 :: v_dual_mov_b32 v22, v18
	v_mov_b32_e32 v21, v17
	s_mov_b32 s12, s38
.LBB177_51:                             ;   Parent Loop BB177_14 Depth=1
                                        ;     Parent Loop BB177_24 Depth=2
                                        ;       Parent Loop BB177_37 Depth=3
                                        ; =>      This Inner Loop Header: Depth=4
	global_load_b32 v56, v[21:22], off
	ds_load_b32 v57, v55
	v_add_co_u32 v21, vcc_lo, v21, s42
	v_add_co_ci_u32_e32 v22, vcc_lo, s43, v22, vcc_lo
	v_add_nc_u32_e32 v55, 4, v55
	s_add_i32 s12, s12, -1
	s_delay_alu instid0(SALU_CYCLE_1)
	s_cmp_eq_u32 s12, 0
	s_waitcnt vmcnt(0) lgkmcnt(0)
	v_fmac_f32_e32 v54, v57, v56
	s_cbranch_scc0 .LBB177_51
	s_branch .LBB177_34
.LBB177_52:                             ;   in Loop: Header=BB177_24 Depth=2
	s_or_b32 exec_lo, exec_lo, s19
	v_dual_mov_b32 v11, v19 :: v_dual_mov_b32 v12, v20
.LBB177_53:                             ;   in Loop: Header=BB177_24 Depth=2
	s_or_b32 exec_lo, exec_lo, s18
.LBB177_54:                             ;   in Loop: Header=BB177_24 Depth=2
	s_delay_alu instid0(SALU_CYCLE_1)
	s_or_b32 exec_lo, exec_lo, s13
	s_waitcnt lgkmcnt(0)
	s_barrier
	buffer_gl0_inv
	s_and_saveexec_b32 s12, s11
	s_cbranch_execz .LBB177_23
; %bb.55:                               ;   in Loop: Header=BB177_24 Depth=2
	v_lshlrev_b64 v[9:10], 3, v[9:10]
	s_delay_alu instid0(VALU_DEP_1) | instskip(NEXT) | instid1(VALU_DEP_2)
	v_add_co_u32 v9, vcc_lo, s46, v9
	v_add_co_ci_u32_e32 v10, vcc_lo, s47, v10, vcc_lo
	global_store_b64 v[9:10], v[11:12], off
	s_branch .LBB177_23
.LBB177_56:                             ;   in Loop: Header=BB177_24 Depth=2
                                        ; implicit-def: $vgpr11_vgpr12
	s_branch .LBB177_31
.LBB177_57:                             ;   in Loop: Header=BB177_14 Depth=1
	s_and_not1_b32 vcc_lo, exec_lo, s33
	s_cbranch_vccnz .LBB177_69
; %bb.58:                               ;   in Loop: Header=BB177_14 Depth=1
	s_load_b128 s[16:19], s[22:23], 0x0
	s_waitcnt lgkmcnt(0)
	v_add_co_u32 v11, vcc_lo, s16, v32
	v_add_co_ci_u32_e32 v12, vcc_lo, s17, v33, vcc_lo
	s_sub_u32 s12, s18, s54
	s_subb_u32 s13, s19, 0
	s_mov_b32 s18, exec_lo
	s_delay_alu instid0(VALU_DEP_1)
	v_cmpx_gt_i64_e64 s[12:13], v[11:12]
	s_cbranch_execz .LBB177_68
; %bb.59:                               ;   in Loop: Header=BB177_14 Depth=1
	v_lshlrev_b64 v[13:14], 2, v[11:12]
	v_mad_u64_u32 v[9:10], null, s40, v11, v[3:4]
	v_mul_lo_u32 v15, s40, v12
	v_mul_lo_u32 v16, s41, v11
	s_delay_alu instid0(VALU_DEP_4) | instskip(SKIP_2) | instid1(VALU_DEP_4)
	v_add_co_u32 v11, vcc_lo, s14, v13
	v_add_co_ci_u32_e32 v12, vcc_lo, s15, v14, vcc_lo
	v_add_co_u32 v13, vcc_lo, v46, s16
	v_add3_u32 v10, v16, v10, v15
	v_add_co_ci_u32_e32 v14, vcc_lo, s17, v47, vcc_lo
	s_mov_b32 s16, 0
	s_branch .LBB177_62
.LBB177_60:                             ;   in Loop: Header=BB177_62 Depth=2
	s_or_b32 exec_lo, exec_lo, s17
	s_delay_alu instid0(SALU_CYCLE_1)
	s_or_b32 s10, s10, exec_lo
.LBB177_61:                             ;   in Loop: Header=BB177_62 Depth=2
	s_or_b32 exec_lo, exec_lo, s11
	v_cmp_le_i64_e32 vcc_lo, s[12:13], v[13:14]
	s_xor_b32 s11, s10, -1
	v_add_co_u32 v11, s10, v11, 64
	s_delay_alu instid0(VALU_DEP_1)
	v_add_co_ci_u32_e64 v12, s10, 0, v12, s10
	s_or_b32 s10, s11, vcc_lo
	v_add_co_u32 v9, vcc_lo, v9, s50
	v_add_co_ci_u32_e32 v10, vcc_lo, s51, v10, vcc_lo
	v_add_co_u32 v13, vcc_lo, v13, 16
	v_add_co_ci_u32_e32 v14, vcc_lo, 0, v14, vcc_lo
	s_and_b32 s10, exec_lo, s10
	s_delay_alu instid0(SALU_CYCLE_1) | instskip(NEXT) | instid1(SALU_CYCLE_1)
	s_or_b32 s16, s10, s16
	s_and_not1_b32 exec_lo, exec_lo, s16
	s_cbranch_execz .LBB177_67
.LBB177_62:                             ;   Parent Loop BB177_14 Depth=1
                                        ; =>  This Inner Loop Header: Depth=2
	global_load_b32 v15, v[11:12], off
	s_waitcnt vmcnt(0)
	v_subrev_nc_u32_e32 v15, s31, v15
	s_delay_alu instid0(VALU_DEP_1) | instskip(SKIP_2) | instid1(VALU_DEP_2)
	v_cmp_lt_i32_e64 s10, v15, v50
	v_cmp_ge_i32_e64 s11, v15, v51
	v_cmp_lt_i32_e32 vcc_lo, v15, v51
	s_or_b32 s11, s10, s11
                                        ; implicit-def: $sgpr10
	s_delay_alu instid0(SALU_CYCLE_1) | instskip(NEXT) | instid1(SALU_CYCLE_1)
	s_and_saveexec_b32 s17, s11
	s_xor_b32 s11, exec_lo, s17
; %bb.63:                               ;   in Loop: Header=BB177_62 Depth=2
	v_min_i32_e32 v15, v15, v52
	s_and_b32 s10, vcc_lo, exec_lo
	s_delay_alu instid0(VALU_DEP_1)
	v_cndmask_b32_e32 v52, v15, v52, vcc_lo
                                        ; implicit-def: $vgpr15
; %bb.64:                               ;   in Loop: Header=BB177_62 Depth=2
	s_and_not1_saveexec_b32 s11, s11
	s_cbranch_execz .LBB177_61
; %bb.65:                               ;   in Loop: Header=BB177_62 Depth=2
	v_sub_nc_u32_e32 v15, v15, v50
	s_delay_alu instid0(VALU_DEP_1)
	v_lshlrev_b32_e32 v16, 2, v15
	ds_store_b32 v16, v49 offset:3072
	s_and_saveexec_b32 s17, s3
	s_cbranch_execz .LBB177_60
; %bb.66:                               ;   in Loop: Header=BB177_62 Depth=2
	global_load_b32 v16, v[9:10], off
	s_waitcnt vmcnt(0)
	v_dual_mul_f32 v16, v24, v16 :: v_dual_lshlrev_b32 v15, 4, v15
	s_delay_alu instid0(VALU_DEP_1) | instskip(NEXT) | instid1(VALU_DEP_1)
	v_or3_b32 v15, v15, v28, v26
	v_lshlrev_b32_e32 v15, 2, v15
	ds_add_f32 v15, v16
	s_branch .LBB177_60
.LBB177_67:                             ;   in Loop: Header=BB177_14 Depth=1
	s_or_b32 exec_lo, exec_lo, s16
.LBB177_68:                             ;   in Loop: Header=BB177_14 Depth=1
	s_delay_alu instid0(SALU_CYCLE_1)
	s_or_b32 exec_lo, exec_lo, s18
.LBB177_69:                             ;   in Loop: Header=BB177_14 Depth=1
	s_and_saveexec_b32 s10, s4
	s_cbranch_execz .LBB177_74
; %bb.70:                               ;   in Loop: Header=BB177_14 Depth=1
	s_mov_b32 s12, exec_lo
	s_brev_b32 s11, -2
.LBB177_71:                             ;   Parent Loop BB177_14 Depth=1
                                        ; =>  This Inner Loop Header: Depth=2
	s_ctz_i32_b32 s13, s12
	s_delay_alu instid0(SALU_CYCLE_1) | instskip(SKIP_1) | instid1(SALU_CYCLE_1)
	v_readlane_b32 s16, v52, s13
	s_lshl_b32 s13, 1, s13
	s_and_not1_b32 s12, s12, s13
	s_delay_alu instid0(VALU_DEP_1)
	s_min_i32 s11, s11, s16
	s_cmp_lg_u32 s12, 0
	s_cbranch_scc1 .LBB177_71
; %bb.72:                               ;   in Loop: Header=BB177_14 Depth=1
	v_mbcnt_lo_u32_b32 v9, exec_lo, 0
	s_mov_b32 s12, exec_lo
	s_delay_alu instid0(VALU_DEP_1)
	v_cmpx_eq_u32_e32 0, v9
	s_xor_b32 s12, exec_lo, s12
	s_cbranch_execz .LBB177_74
; %bb.73:                               ;   in Loop: Header=BB177_14 Depth=1
	v_mov_b32_e32 v9, s11
	ds_min_i32 v2, v9 offset:3200
.LBB177_74:                             ;   in Loop: Header=BB177_14 Depth=1
	s_or_b32 exec_lo, exec_lo, s10
	s_waitcnt lgkmcnt(0)
	s_waitcnt_vscnt null, 0x0
	s_barrier
	buffer_gl0_inv
	ds_load_b32 v10, v34
	s_waitcnt lgkmcnt(0)
	s_barrier
	buffer_gl0_inv
	s_and_saveexec_b32 s10, s5
	s_cbranch_execz .LBB177_76
; %bb.75:                               ;   in Loop: Header=BB177_14 Depth=1
	ds_load_b32 v9, v35
	s_waitcnt lgkmcnt(0)
	v_add_nc_u32_e32 v10, v9, v10
.LBB177_76:                             ;   in Loop: Header=BB177_14 Depth=1
	s_or_b32 exec_lo, exec_lo, s10
	s_barrier
	buffer_gl0_inv
	ds_store_b32 v34, v10
	s_waitcnt lgkmcnt(0)
	s_barrier
	buffer_gl0_inv
	s_and_saveexec_b32 s10, s6
	s_cbranch_execz .LBB177_78
; %bb.77:                               ;   in Loop: Header=BB177_14 Depth=1
	ds_load_b32 v9, v37
	s_waitcnt lgkmcnt(0)
	v_add_nc_u32_e32 v10, v9, v10
.LBB177_78:                             ;   in Loop: Header=BB177_14 Depth=1
	s_or_b32 exec_lo, exec_lo, s10
	s_barrier
	buffer_gl0_inv
	ds_store_b32 v34, v10
	;; [unrolled: 14-line block ×5, first 2 shown]
	s_waitcnt lgkmcnt(0)
	s_barrier
	buffer_gl0_inv
	ds_load_b32 v9, v2 offset:3196
	v_mov_b32_e32 v11, 0
	s_and_saveexec_b32 s10, s55
	s_cbranch_execz .LBB177_86
; %bb.85:                               ;   in Loop: Header=BB177_14 Depth=1
	ds_load_b32 v11, v35
.LBB177_86:                             ;   in Loop: Header=BB177_14 Depth=1
	s_or_b32 exec_lo, exec_lo, s10
	s_waitcnt lgkmcnt(0)
	v_cmp_eq_u32_e32 vcc_lo, v10, v11
	s_barrier
	buffer_gl0_inv
	s_and_b32 s11, s55, vcc_lo
	s_delay_alu instid0(SALU_CYCLE_1)
	s_and_saveexec_b32 s10, s11
	s_cbranch_execz .LBB177_88
; %bb.87:                               ;   in Loop: Header=BB177_14 Depth=1
	ds_store_b32 v34, v2
.LBB177_88:                             ;   in Loop: Header=BB177_14 Depth=1
	s_or_b32 exec_lo, exec_lo, s10
	s_waitcnt lgkmcnt(0)
	s_barrier
	buffer_gl0_inv
	s_and_saveexec_b32 s10, s1
	s_cbranch_execz .LBB177_13
; %bb.89:                               ;   in Loop: Header=BB177_14 Depth=1
	v_add_co_u32 v10, vcc_lo, v7, -1
	v_add_co_ci_u32_e32 v11, vcc_lo, -1, v8, vcc_lo
	v_dual_mov_b32 v13, v48 :: v_dual_add_nc_u32 v12, s30, v50
	v_dual_mov_b32 v14, v27 :: v_dual_mov_b32 v15, v25
	s_mov_b32 s11, 0
	s_set_inst_prefetch_distance 0x1
	s_branch .LBB177_91
	.p2align	6
.LBB177_90:                             ;   in Loop: Header=BB177_91 Depth=2
	s_or_b32 exec_lo, exec_lo, s12
	v_add_nc_u32_e32 v16, 16, v15
	v_cmp_lt_u32_e32 vcc_lo, 15, v15
	v_add_nc_u32_e32 v14, 0x400, v14
	v_add_nc_u32_e32 v13, 64, v13
	s_delay_alu instid0(VALU_DEP_4) | instskip(SKIP_1) | instid1(SALU_CYCLE_1)
	v_mov_b32_e32 v15, v16
	s_or_b32 s11, vcc_lo, s11
	s_and_not1_b32 exec_lo, exec_lo, s11
	s_cbranch_execz .LBB177_13
.LBB177_91:                             ;   Parent Loop BB177_14 Depth=1
                                        ; =>  This Inner Loop Header: Depth=2
	ds_load_b32 v16, v13
	s_mov_b32 s12, exec_lo
	s_waitcnt lgkmcnt(0)
	v_cmpx_ne_u32_e32 0, v16
	s_cbranch_execz .LBB177_90
; %bb.92:                               ;   in Loop: Header=BB177_91 Depth=2
	v_ashrrev_i32_e32 v17, 31, v16
	v_add_co_u32 v18, vcc_lo, v7, v16
	v_add_nc_u32_e32 v20, v12, v15
	s_delay_alu instid0(VALU_DEP_3) | instskip(NEXT) | instid1(VALU_DEP_1)
	v_add_co_ci_u32_e32 v19, vcc_lo, v8, v17, vcc_lo
	v_lshlrev_b64 v[18:19], 2, v[18:19]
	s_delay_alu instid0(VALU_DEP_1) | instskip(NEXT) | instid1(VALU_DEP_2)
	v_add_co_u32 v18, vcc_lo, s59, v18
	v_add_co_ci_u32_e32 v19, vcc_lo, s60, v19, vcc_lo
	global_store_b32 v[18:19], v20, off
	s_and_b32 exec_lo, exec_lo, s3
	s_cbranch_execz .LBB177_90
; %bb.93:                               ;   in Loop: Header=BB177_91 Depth=2
	v_add_co_u32 v18, vcc_lo, v10, v16
	v_add_co_ci_u32_e32 v20, vcc_lo, v11, v17, vcc_lo
	s_delay_alu instid0(VALU_DEP_2) | instskip(NEXT) | instid1(VALU_DEP_1)
	v_mad_u64_u32 v[16:17], null, v18, s48, 0
	v_mad_u64_u32 v[18:19], null, v20, s48, v[17:18]
	ds_load_b32 v19, v14
	v_mov_b32_e32 v17, v18
	s_delay_alu instid0(VALU_DEP_1) | instskip(NEXT) | instid1(VALU_DEP_1)
	v_lshlrev_b64 v[16:17], 2, v[16:17]
	v_add_co_u32 v16, vcc_lo, v42, v16
	s_delay_alu instid0(VALU_DEP_2)
	v_add_co_ci_u32_e32 v17, vcc_lo, v41, v17, vcc_lo
	s_waitcnt lgkmcnt(0)
	global_store_b32 v[16:17], v19, off
	s_branch .LBB177_90
.LBB177_94:
	s_endpgm
	.section	.rodata,"a",@progbits
	.p2align	6, 0x0
	.amdhsa_kernel _ZN9rocsparseL38bsrgemm_block_per_row_atomic_multipassILj256ELj32ELj4ElifEEv20rocsparse_direction_T3_S2_PKS2_S4_NS_24const_host_device_scalarIT4_EEPKT2_S4_PKS6_SA_S4_SC_S7_SA_S4_SC_SA_PS2_PS6_PS8_21rocsparse_index_base_SG_SG_SG_bbb
		.amdhsa_group_segment_fixed_size 3204
		.amdhsa_private_segment_fixed_size 0
		.amdhsa_kernarg_size 172
		.amdhsa_user_sgpr_count 15
		.amdhsa_user_sgpr_dispatch_ptr 0
		.amdhsa_user_sgpr_queue_ptr 0
		.amdhsa_user_sgpr_kernarg_segment_ptr 1
		.amdhsa_user_sgpr_dispatch_id 0
		.amdhsa_user_sgpr_private_segment_size 0
		.amdhsa_wavefront_size32 1
		.amdhsa_uses_dynamic_stack 0
		.amdhsa_enable_private_segment 0
		.amdhsa_system_sgpr_workgroup_id_x 1
		.amdhsa_system_sgpr_workgroup_id_y 0
		.amdhsa_system_sgpr_workgroup_id_z 0
		.amdhsa_system_sgpr_workgroup_info 0
		.amdhsa_system_vgpr_workitem_id 0
		.amdhsa_next_free_vgpr 58
		.amdhsa_next_free_sgpr 62
		.amdhsa_reserve_vcc 1
		.amdhsa_float_round_mode_32 0
		.amdhsa_float_round_mode_16_64 0
		.amdhsa_float_denorm_mode_32 3
		.amdhsa_float_denorm_mode_16_64 3
		.amdhsa_dx10_clamp 1
		.amdhsa_ieee_mode 1
		.amdhsa_fp16_overflow 0
		.amdhsa_workgroup_processor_mode 1
		.amdhsa_memory_ordered 1
		.amdhsa_forward_progress 0
		.amdhsa_shared_vgpr_count 0
		.amdhsa_exception_fp_ieee_invalid_op 0
		.amdhsa_exception_fp_denorm_src 0
		.amdhsa_exception_fp_ieee_div_zero 0
		.amdhsa_exception_fp_ieee_overflow 0
		.amdhsa_exception_fp_ieee_underflow 0
		.amdhsa_exception_fp_ieee_inexact 0
		.amdhsa_exception_int_div_zero 0
	.end_amdhsa_kernel
	.section	.text._ZN9rocsparseL38bsrgemm_block_per_row_atomic_multipassILj256ELj32ELj4ElifEEv20rocsparse_direction_T3_S2_PKS2_S4_NS_24const_host_device_scalarIT4_EEPKT2_S4_PKS6_SA_S4_SC_S7_SA_S4_SC_SA_PS2_PS6_PS8_21rocsparse_index_base_SG_SG_SG_bbb,"axG",@progbits,_ZN9rocsparseL38bsrgemm_block_per_row_atomic_multipassILj256ELj32ELj4ElifEEv20rocsparse_direction_T3_S2_PKS2_S4_NS_24const_host_device_scalarIT4_EEPKT2_S4_PKS6_SA_S4_SC_S7_SA_S4_SC_SA_PS2_PS6_PS8_21rocsparse_index_base_SG_SG_SG_bbb,comdat
.Lfunc_end177:
	.size	_ZN9rocsparseL38bsrgemm_block_per_row_atomic_multipassILj256ELj32ELj4ElifEEv20rocsparse_direction_T3_S2_PKS2_S4_NS_24const_host_device_scalarIT4_EEPKT2_S4_PKS6_SA_S4_SC_S7_SA_S4_SC_SA_PS2_PS6_PS8_21rocsparse_index_base_SG_SG_SG_bbb, .Lfunc_end177-_ZN9rocsparseL38bsrgemm_block_per_row_atomic_multipassILj256ELj32ELj4ElifEEv20rocsparse_direction_T3_S2_PKS2_S4_NS_24const_host_device_scalarIT4_EEPKT2_S4_PKS6_SA_S4_SC_S7_SA_S4_SC_SA_PS2_PS6_PS8_21rocsparse_index_base_SG_SG_SG_bbb
                                        ; -- End function
	.section	.AMDGPU.csdata,"",@progbits
; Kernel info:
; codeLenInByte = 3724
; NumSgprs: 64
; NumVgprs: 58
; ScratchSize: 0
; MemoryBound: 0
; FloatMode: 240
; IeeeMode: 1
; LDSByteSize: 3204 bytes/workgroup (compile time only)
; SGPRBlocks: 7
; VGPRBlocks: 7
; NumSGPRsForWavesPerEU: 64
; NumVGPRsForWavesPerEU: 58
; Occupancy: 16
; WaveLimiterHint : 1
; COMPUTE_PGM_RSRC2:SCRATCH_EN: 0
; COMPUTE_PGM_RSRC2:USER_SGPR: 15
; COMPUTE_PGM_RSRC2:TRAP_HANDLER: 0
; COMPUTE_PGM_RSRC2:TGID_X_EN: 1
; COMPUTE_PGM_RSRC2:TGID_Y_EN: 0
; COMPUTE_PGM_RSRC2:TGID_Z_EN: 0
; COMPUTE_PGM_RSRC2:TIDIG_COMP_CNT: 0
	.section	.text._ZN9rocsparseL38bsrgemm_block_per_row_atomic_multipassILj256ELj64ELj4ElifEEv20rocsparse_direction_T3_S2_PKS2_S4_NS_24const_host_device_scalarIT4_EEPKT2_S4_PKS6_SA_S4_SC_S7_SA_S4_SC_SA_PS2_PS6_PS8_21rocsparse_index_base_SG_SG_SG_bbb,"axG",@progbits,_ZN9rocsparseL38bsrgemm_block_per_row_atomic_multipassILj256ELj64ELj4ElifEEv20rocsparse_direction_T3_S2_PKS2_S4_NS_24const_host_device_scalarIT4_EEPKT2_S4_PKS6_SA_S4_SC_S7_SA_S4_SC_SA_PS2_PS6_PS8_21rocsparse_index_base_SG_SG_SG_bbb,comdat
	.globl	_ZN9rocsparseL38bsrgemm_block_per_row_atomic_multipassILj256ELj64ELj4ElifEEv20rocsparse_direction_T3_S2_PKS2_S4_NS_24const_host_device_scalarIT4_EEPKT2_S4_PKS6_SA_S4_SC_S7_SA_S4_SC_SA_PS2_PS6_PS8_21rocsparse_index_base_SG_SG_SG_bbb ; -- Begin function _ZN9rocsparseL38bsrgemm_block_per_row_atomic_multipassILj256ELj64ELj4ElifEEv20rocsparse_direction_T3_S2_PKS2_S4_NS_24const_host_device_scalarIT4_EEPKT2_S4_PKS6_SA_S4_SC_S7_SA_S4_SC_SA_PS2_PS6_PS8_21rocsparse_index_base_SG_SG_SG_bbb
	.p2align	8
	.type	_ZN9rocsparseL38bsrgemm_block_per_row_atomic_multipassILj256ELj64ELj4ElifEEv20rocsparse_direction_T3_S2_PKS2_S4_NS_24const_host_device_scalarIT4_EEPKT2_S4_PKS6_SA_S4_SC_S7_SA_S4_SC_SA_PS2_PS6_PS8_21rocsparse_index_base_SG_SG_SG_bbb,@function
_ZN9rocsparseL38bsrgemm_block_per_row_atomic_multipassILj256ELj64ELj4ElifEEv20rocsparse_direction_T3_S2_PKS2_S4_NS_24const_host_device_scalarIT4_EEPKT2_S4_PKS6_SA_S4_SC_S7_SA_S4_SC_SA_PS2_PS6_PS8_21rocsparse_index_base_SG_SG_SG_bbb: ; @_ZN9rocsparseL38bsrgemm_block_per_row_atomic_multipassILj256ELj64ELj4ElifEEv20rocsparse_direction_T3_S2_PKS2_S4_NS_24const_host_device_scalarIT4_EEPKT2_S4_PKS6_SA_S4_SC_S7_SA_S4_SC_SA_PS2_PS6_PS8_21rocsparse_index_base_SG_SG_SG_bbb
; %bb.0:
	s_clause 0x3
	s_load_b32 s3, s[0:1], 0xa8
	s_load_b128 s[28:31], s[0:1], 0x98
	s_load_b64 s[6:7], s[0:1], 0x20
	s_load_b64 s[4:5], s[0:1], 0x58
	s_mov_b32 s2, s15
	s_waitcnt lgkmcnt(0)
	s_bitcmp1_b32 s3, 0
	s_cselect_b32 s8, -1, 0
	s_bitcmp1_b32 s3, 16
	s_cselect_b32 s9, -1, 0
	s_xor_b32 s10, s8, -1
	s_delay_alu instid0(SALU_CYCLE_1) | instskip(NEXT) | instid1(SALU_CYCLE_1)
	s_or_b32 s10, s10, s9
	s_and_b32 vcc_lo, exec_lo, s10
	s_cbranch_vccnz .LBB178_2
; %bb.1:
	s_load_b32 s6, s[6:7], 0x0
	s_waitcnt lgkmcnt(0)
	v_mov_b32_e32 v23, s6
	s_branch .LBB178_3
.LBB178_2:
	v_cndmask_b32_e64 v23, 0, s6, s8
.LBB178_3:
	s_load_b64 s[6:7], s[0:1], 0x18
	s_bitcmp1_b32 s3, 8
	s_cselect_b32 s33, -1, 0
	s_delay_alu instid0(SALU_CYCLE_1) | instskip(NEXT) | instid1(SALU_CYCLE_1)
	s_xor_b32 s3, s33, -1
	s_or_b32 s3, s3, s9
	s_delay_alu instid0(SALU_CYCLE_1)
	s_and_b32 vcc_lo, exec_lo, s3
	s_cbranch_vccnz .LBB178_5
; %bb.4:
	s_load_b32 s3, s[4:5], 0x0
	s_waitcnt lgkmcnt(0)
	v_mov_b32_e32 v24, s3
	s_load_b64 s[4:5], s[0:1], 0x28
	s_cmp_eq_u64 s[6:7], 0
	s_mov_b64 s[34:35], 0
	s_cbranch_scc0 .LBB178_6
	s_branch .LBB178_7
.LBB178_5:
	v_cndmask_b32_e64 v24, 0, s4, s33
	s_load_b64 s[4:5], s[0:1], 0x28
	s_waitcnt lgkmcnt(0)
	s_cmp_eq_u64 s[6:7], 0
	s_mov_b64 s[34:35], 0
	s_cbranch_scc1 .LBB178_7
.LBB178_6:
	s_load_b64 s[10:11], s[0:1], 0x10
	s_waitcnt lgkmcnt(0)
	s_load_b32 s3, s[10:11], 0x0
	s_waitcnt lgkmcnt(0)
	s_add_i32 s2, s3, s2
	s_mov_b32 s3, 0
	s_delay_alu instid0(SALU_CYCLE_1) | instskip(NEXT) | instid1(SALU_CYCLE_1)
	s_lshl_b64 s[2:3], s[2:3], 2
	s_add_u32 s2, s6, s2
	s_addc_u32 s3, s7, s3
	s_load_b32 s2, s[2:3], 0x0
.LBB178_7:
	s_and_not1_b32 vcc_lo, exec_lo, s8
	s_cbranch_vccz .LBB178_10
; %bb.8:
	s_and_not1_b32 vcc_lo, exec_lo, s8
	s_mov_b64 s[44:45], 0
	s_cbranch_vccz .LBB178_11
.LBB178_9:
	s_load_b128 s[36:39], s[0:1], 0x0
	s_waitcnt lgkmcnt(0)
	s_cmp_lt_i32 s37, 1
	s_cbranch_scc0 .LBB178_12
	s_branch .LBB178_94
.LBB178_10:
	s_waitcnt lgkmcnt(0)
	s_ashr_i32 s3, s2, 31
	s_delay_alu instid0(SALU_CYCLE_1) | instskip(NEXT) | instid1(SALU_CYCLE_1)
	s_lshl_b64 s[6:7], s[2:3], 3
	s_add_u32 s6, s4, s6
	s_addc_u32 s7, s5, s7
	s_load_b64 s[6:7], s[6:7], 0x0
	s_waitcnt lgkmcnt(0)
	s_sub_u32 s34, s6, s28
	s_subb_u32 s35, s7, 0
	s_and_not1_b32 vcc_lo, exec_lo, s8
	s_mov_b64 s[44:45], 0
	s_cbranch_vccnz .LBB178_9
.LBB178_11:
	s_waitcnt lgkmcnt(0)
	s_ashr_i32 s3, s2, 31
	s_delay_alu instid0(SALU_CYCLE_1) | instskip(NEXT) | instid1(SALU_CYCLE_1)
	s_lshl_b64 s[6:7], s[2:3], 3
	s_add_u32 s4, s4, s6
	s_addc_u32 s5, s5, s7
	s_load_b64 s[4:5], s[4:5], 0x8
	s_waitcnt lgkmcnt(0)
	s_sub_u32 s44, s4, s28
	s_subb_u32 s45, s5, 0
	s_load_b128 s[36:39], s[0:1], 0x0
	s_waitcnt lgkmcnt(0)
	s_cmp_lt_i32 s37, 1
	s_cbranch_scc1 .LBB178_94
.LBB178_12:
	s_clause 0x4
	s_load_b256 s[12:19], s[0:1], 0x60
	s_load_b64 s[46:47], s[0:1], 0x90
	s_load_b128 s[40:43], s[0:1], 0x80
	s_load_b64 s[10:11], s[0:1], 0x50
	s_load_b256 s[20:27], s[0:1], 0x30
	v_bfe_u32 v3, v0, 2, 2
	v_dual_mov_b32 v2, 0 :: v_dual_and_b32 v7, 15, v0
	v_and_b32_e32 v26, 3, v0
	s_ashr_i32 s3, s2, 31
	s_delay_alu instid0(VALU_DEP_3)
	v_mul_lo_u32 v1, v3, s38
	s_lshl_b64 s[4:5], s[2:3], 3
	v_mov_b32_e32 v51, 0
	v_max_i32_e32 v5, v26, v3
	v_lshlrev_b32_e32 v8, 2, v26
	v_lshrrev_b32_e32 v25, 4, v0
	v_and_b32_e32 v28, 12, v0
	v_cmp_lt_i64_e64 s9, s[34:35], s[44:45]
	v_lshlrev_b64 v[3:4], 2, v[1:2]
	v_mul_lo_u32 v1, v26, s38
	s_waitcnt lgkmcnt(0)
	s_add_u32 s2, s18, s4
	s_addc_u32 s3, s19, s5
	v_cmp_gt_u32_e64 s0, 64, v0
	s_load_b64 s[6:7], s[2:3], 0x0
	v_add_co_u32 v9, vcc_lo, s22, v3
	v_cmp_gt_i32_e64 s2, s38, v5
	v_add_co_ci_u32_e32 v10, vcc_lo, s23, v4, vcc_lo
	v_lshlrev_b64 v[5:6], 2, v[1:2]
	s_delay_alu instid0(VALU_DEP_4) | instskip(NEXT) | instid1(VALU_DEP_1)
	v_add_co_u32 v30, s3, v9, v8
	v_add_co_ci_u32_e64 v31, s3, 0, v10, s3
	v_add_co_u32 v1, vcc_lo, s42, v3
	s_delay_alu instid0(VALU_DEP_4) | instskip(NEXT) | instid1(VALU_DEP_1)
	v_add_co_u32 v9, s3, s16, v5
	v_add_co_ci_u32_e64 v10, s3, s17, v6, s3
	v_sub_co_u32 v32, s3, v25, s31
	s_delay_alu instid0(VALU_DEP_1) | instskip(NEXT) | instid1(VALU_DEP_4)
	v_sub_co_ci_u32_e64 v33, null, 0, 0, s3
	v_add_co_u32 v9, s3, v9, v28
	v_add_co_ci_u32_e32 v11, vcc_lo, s43, v4, vcc_lo
	v_add_co_u32 v12, vcc_lo, s42, v5
	v_add_co_ci_u32_e64 v10, s3, 0, v10, s3
	v_add_co_u32 v3, s3, s16, v3
	v_add_co_ci_u32_e32 v13, vcc_lo, s43, v6, vcc_lo
	v_add_co_ci_u32_e64 v4, s3, s17, v4, s3
	v_add_co_u32 v12, vcc_lo, v12, v28
	s_delay_alu instid0(VALU_DEP_4)
	v_add_co_u32 v3, s3, v3, v8
	s_waitcnt lgkmcnt(0)
	s_sub_u32 s18, s6, s30
	v_add_co_ci_u32_e32 v13, vcc_lo, 0, v13, vcc_lo
	s_subb_u32 s19, s7, 0
	v_add_co_u32 v1, vcc_lo, v1, v8
	v_add_co_ci_u32_e64 v4, s3, 0, v4, s3
	s_cmp_eq_u32 s36, 0
	v_add_co_ci_u32_e32 v11, vcc_lo, 0, v11, vcc_lo
	s_cselect_b32 vcc_lo, -1, 0
	v_dual_cndmask_b32 v43, v12, v1 :: v_dual_and_b32 v14, 63, v0
	v_dual_cndmask_b32 v4, v10, v4 :: v_dual_lshlrev_b32 v1, 6, v25
	s_cmp_lg_u32 s36, 0
	v_cmp_eq_u32_e64 s1, 0, v0
	v_dual_cndmask_b32 v42, v13, v11 :: v_dual_lshlrev_b32 v27, 2, v0
	v_cmp_eq_u32_e64 s3, 15, v7
	v_cndmask_b32_e32 v3, v9, v3, vcc_lo
	v_or_b32_e32 v44, 0xffffff00, v0
	v_add_co_u32 v0, vcc_lo, s10, v5
	v_add_co_u32 v5, s10, s10, v8
	v_mov_b32_e32 v7, s18
	v_dual_mov_b32 v52, 64 :: v_dual_lshlrev_b32 v15, 2, v14
	v_add_co_u32 v16, s55, v14, -1
	s_cselect_b32 s36, -1, 0
	s_cmp_gt_i32 s38, 0
	v_or3_b32 v45, v1, v28, 0x1000
	v_add_co_ci_u32_e32 v1, vcc_lo, s11, v6, vcc_lo
	s_cselect_b32 s53, -1, 0
	s_add_u32 s22, s12, s4
	v_add_co_ci_u32_e64 v6, null, s11, 0, s10
	s_movk_i32 s10, 0x3f0
	v_add_co_u32 v47, vcc_lo, v32, 16
	s_mov_b32 s49, 0
	s_addc_u32 s23, s13, s5
	s_and_b32 s56, s8, s9
	v_or_b32_e32 v29, 0x1000, v27
	v_or_b32_e32 v34, 0x1400, v15
	v_lshl_add_u32 v35, v16, 2, 0x1400
	v_or_b32_e32 v36, 0x1400, v27
	v_cmp_ne_u32_e64 s4, 0, v14
	v_cmp_lt_u32_e64 s5, 1, v14
	v_dual_mov_b32 v8, s19 :: v_dual_add_nc_u32 v37, 0x13f8, v15
	v_cmp_lt_u32_e64 s6, 3, v14
	v_add_nc_u32_e32 v38, 0x13f0, v15
	v_cmp_lt_u32_e64 s7, 7, v14
	v_dual_mov_b32 v50, 1 :: v_dual_add_nc_u32 v39, 0x13e0, v15
	v_cmp_lt_u32_e64 s8, 15, v14
	v_add_nc_u32_e32 v40, 0x13c0, v15
	v_cmp_lt_u32_e64 s9, 31, v14
	v_add_nc_u32_e32 v41, 0x1380, v15
	s_add_u32 s57, s24, 8
	v_and_or_b32 v46, v27, s10, 0x1000
	v_add_co_ci_u32_e32 v48, vcc_lo, 0, v33, vcc_lo
	v_lshl_or_b32 v49, v25, 2, 0x1400
	s_mul_i32 s48, s38, s38
	s_addc_u32 s58, s25, 0
	s_mov_b32 s39, s49
	s_add_u32 s59, s40, -4
	s_mov_b32 s52, s29
	s_mov_b32 s54, s31
	s_addc_u32 s60, s41, -1
	s_lshl_b64 s[40:41], s[48:49], 2
	s_lshl_b64 s[42:43], s[38:39], 2
	;; [unrolled: 1-line block ×3, first 2 shown]
	s_branch .LBB178_14
.LBB178_13:                             ;   in Loop: Header=BB178_14 Depth=1
	s_set_inst_prefetch_distance 0x2
	s_or_b32 exec_lo, exec_lo, s10
	s_waitcnt_vscnt null, 0x0
	s_barrier
	buffer_gl0_inv
	ds_load_b32 v51, v2 offset:5376
	v_ashrrev_i32_e32 v9, 31, v10
	v_add_co_u32 v7, s10, v7, v10
	s_waitcnt lgkmcnt(0)
	s_barrier
	s_delay_alu instid0(VALU_DEP_2)
	v_add_co_ci_u32_e64 v8, s10, v8, v9, s10
	buffer_gl0_inv
	v_cmp_le_i32_e32 vcc_lo, s37, v51
	v_add_nc_u32_e32 v52, 64, v51
	s_cbranch_vccnz .LBB178_94
.LBB178_14:                             ; =>This Loop Header: Depth=1
                                        ;     Child Loop BB178_17 Depth 2
                                        ;     Child Loop BB178_23 Depth 2
                                        ;       Child Loop BB178_36 Depth 3
                                        ;         Child Loop BB178_45 Depth 4
                                        ;         Child Loop BB178_50 Depth 4
                                        ;     Child Loop BB178_61 Depth 2
                                        ;     Child Loop BB178_70 Depth 2
	;; [unrolled: 1-line block ×3, first 2 shown]
	s_and_saveexec_b32 s10, s0
	s_cbranch_execz .LBB178_16
; %bb.15:                               ;   in Loop: Header=BB178_14 Depth=1
	ds_store_b32 v36, v2
.LBB178_16:                             ;   in Loop: Header=BB178_14 Depth=1
	s_or_b32 exec_lo, exec_lo, s10
	v_dual_mov_b32 v9, v27 :: v_dual_mov_b32 v10, v44
	s_mov_b32 s10, 0
.LBB178_17:                             ;   Parent Loop BB178_14 Depth=1
                                        ; =>  This Inner Loop Header: Depth=2
	s_delay_alu instid0(VALU_DEP_1) | instskip(SKIP_4) | instid1(SALU_CYCLE_1)
	v_add_nc_u32_e32 v10, 0x100, v10
	ds_store_b32 v9, v2
	v_add_nc_u32_e32 v9, 0x400, v9
	v_cmp_lt_u32_e32 vcc_lo, 0x2ff, v10
	s_or_b32 s10, vcc_lo, s10
	s_and_not1_b32 exec_lo, exec_lo, s10
	s_cbranch_execnz .LBB178_17
; %bb.18:                               ;   in Loop: Header=BB178_14 Depth=1
	s_or_b32 exec_lo, exec_lo, s10
	s_and_saveexec_b32 s10, s1
	s_cbranch_execz .LBB178_20
; %bb.19:                               ;   in Loop: Header=BB178_14 Depth=1
	v_mov_b32_e32 v9, s37
	ds_store_b32 v2, v9 offset:5376
.LBB178_20:                             ;   in Loop: Header=BB178_14 Depth=1
	s_or_b32 exec_lo, exec_lo, s10
	v_mov_b32_e32 v53, s37
	s_and_not1_b32 vcc_lo, exec_lo, s56
	s_waitcnt lgkmcnt(0)
	s_barrier
	buffer_gl0_inv
	s_cbranch_vccnz .LBB178_56
; %bb.21:                               ;   in Loop: Header=BB178_14 Depth=1
	v_cmp_ne_u32_e64 s10, 0, v51
	v_mov_b32_e32 v53, s37
	s_mov_b64 s[16:17], s[34:35]
	s_branch .LBB178_23
.LBB178_22:                             ;   in Loop: Header=BB178_23 Depth=2
	s_or_b32 exec_lo, exec_lo, s12
	s_add_u32 s16, s16, 16
	s_addc_u32 s17, s17, 0
	s_delay_alu instid0(SALU_CYCLE_1) | instskip(NEXT) | instid1(VALU_DEP_1)
	v_cmp_lt_i64_e64 s11, s[16:17], s[44:45]
	s_and_b32 vcc_lo, exec_lo, s11
	s_cbranch_vccz .LBB178_56
.LBB178_23:                             ;   Parent Loop BB178_14 Depth=1
                                        ; =>  This Loop Header: Depth=2
                                        ;       Child Loop BB178_36 Depth 3
                                        ;         Child Loop BB178_45 Depth 4
                                        ;         Child Loop BB178_50 Depth 4
	v_add_co_u32 v9, s11, s16, v25
	s_delay_alu instid0(VALU_DEP_1) | instskip(NEXT) | instid1(VALU_DEP_1)
	v_add_co_ci_u32_e64 v10, null, s17, 0, s11
	s_waitcnt_vscnt null, 0x0
	s_barrier
	buffer_gl0_inv
	v_cmp_gt_i64_e64 s11, s[44:45], v[9:10]
	s_delay_alu instid0(VALU_DEP_1)
	s_and_saveexec_b32 s12, s11
	s_cbranch_execz .LBB178_27
; %bb.24:                               ;   in Loop: Header=BB178_23 Depth=2
	v_mov_b32_e32 v11, 0
	s_and_saveexec_b32 s13, s2
	s_cbranch_execz .LBB178_26
; %bb.25:                               ;   in Loop: Header=BB178_23 Depth=2
	v_mad_u64_u32 v[11:12], null, v9, s48, 0
	s_delay_alu instid0(VALU_DEP_1) | instskip(NEXT) | instid1(VALU_DEP_1)
	v_mad_u64_u32 v[13:14], null, v10, s48, v[12:13]
	v_mov_b32_e32 v12, v13
	s_delay_alu instid0(VALU_DEP_1) | instskip(NEXT) | instid1(VALU_DEP_1)
	v_lshlrev_b64 v[11:12], 2, v[11:12]
	v_add_co_u32 v11, vcc_lo, v30, v11
	s_delay_alu instid0(VALU_DEP_2)
	v_add_co_ci_u32_e32 v12, vcc_lo, v31, v12, vcc_lo
	global_load_b32 v11, v[11:12], off
.LBB178_26:                             ;   in Loop: Header=BB178_23 Depth=2
	s_or_b32 exec_lo, exec_lo, s13
	s_waitcnt vmcnt(0)
	ds_store_b32 v29, v11
.LBB178_27:                             ;   in Loop: Header=BB178_23 Depth=2
	s_or_b32 exec_lo, exec_lo, s12
	v_mov_b32_e32 v11, 0
	v_mov_b32_e32 v12, 0
	s_waitcnt lgkmcnt(0)
	s_barrier
	buffer_gl0_inv
	s_and_saveexec_b32 s13, s11
	s_cbranch_execz .LBB178_53
; %bb.28:                               ;   in Loop: Header=BB178_23 Depth=2
	v_lshlrev_b64 v[11:12], 2, v[9:10]
	s_delay_alu instid0(VALU_DEP_1) | instskip(NEXT) | instid1(VALU_DEP_2)
	v_add_co_u32 v11, vcc_lo, s20, v11
	v_add_co_ci_u32_e32 v12, vcc_lo, s21, v12, vcc_lo
	s_and_b32 vcc_lo, exec_lo, s10
	global_load_b32 v11, v[11:12], off
	s_waitcnt vmcnt(0)
	v_subrev_nc_u32_e32 v13, s28, v11
	s_delay_alu instid0(VALU_DEP_1)
	v_ashrrev_i32_e32 v14, 31, v13
	s_cbranch_vccz .LBB178_55
; %bb.29:                               ;   in Loop: Header=BB178_23 Depth=2
	v_lshlrev_b64 v[11:12], 3, v[9:10]
	s_delay_alu instid0(VALU_DEP_1) | instskip(NEXT) | instid1(VALU_DEP_2)
	v_add_co_u32 v11, vcc_lo, s46, v11
	v_add_co_ci_u32_e32 v12, vcc_lo, s47, v12, vcc_lo
	global_load_b64 v[11:12], v[11:12], off
	s_cbranch_execnz .LBB178_31
.LBB178_30:                             ;   in Loop: Header=BB178_23 Depth=2
	s_waitcnt vmcnt(0)
	s_delay_alu instid0(VALU_DEP_1) | instskip(NEXT) | instid1(VALU_DEP_1)
	v_lshlrev_b64 v[11:12], 3, v[13:14]
	v_add_co_u32 v11, vcc_lo, s24, v11
	s_delay_alu instid0(VALU_DEP_2)
	v_add_co_ci_u32_e32 v12, vcc_lo, s25, v12, vcc_lo
	global_load_b64 v[11:12], v[11:12], off
	s_waitcnt vmcnt(0)
	v_sub_co_u32 v11, vcc_lo, v11, s52
	v_subrev_co_ci_u32_e32 v12, vcc_lo, 0, v12, vcc_lo
.LBB178_31:                             ;   in Loop: Header=BB178_23 Depth=2
	v_lshlrev_b64 v[13:14], 3, v[13:14]
	s_mov_b32 s18, exec_lo
	s_delay_alu instid0(VALU_DEP_1) | instskip(NEXT) | instid1(VALU_DEP_2)
	v_add_co_u32 v13, vcc_lo, s57, v13
	v_add_co_ci_u32_e32 v14, vcc_lo, s58, v14, vcc_lo
	global_load_b64 v[13:14], v[13:14], off
	s_waitcnt vmcnt(0)
	v_sub_co_u32 v13, vcc_lo, v13, s52
	v_subrev_co_ci_u32_e32 v14, vcc_lo, 0, v14, vcc_lo
	s_delay_alu instid0(VALU_DEP_1)
	v_cmpx_lt_i64_e64 v[11:12], v[13:14]
	s_cbranch_execz .LBB178_52
; %bb.32:                               ;   in Loop: Header=BB178_23 Depth=2
	v_mad_u64_u32 v[15:16], null, s40, v11, v[0:1]
	v_mul_lo_u32 v19, s40, v12
	v_mul_lo_u32 v20, s41, v11
	v_mad_u64_u32 v[17:18], null, s40, v11, v[5:6]
	s_mov_b32 s19, 0
	s_delay_alu instid0(VALU_DEP_2) | instskip(NEXT) | instid1(VALU_DEP_2)
	v_add3_u32 v16, v20, v16, v19
	v_add3_u32 v18, v20, v18, v19
	v_dual_mov_b32 v20, v12 :: v_dual_mov_b32 v19, v11
	s_branch .LBB178_36
.LBB178_33:                             ;   in Loop: Header=BB178_36 Depth=3
	s_delay_alu instid0(VALU_DEP_1) | instskip(NEXT) | instid1(VALU_DEP_1)
	v_dual_mul_f32 v22, v23, v55 :: v_dual_lshlrev_b32 v21, 4, v54
	v_or3_b32 v21, v21, v28, v26
	s_delay_alu instid0(VALU_DEP_1)
	v_lshlrev_b32_e32 v21, 2, v21
	ds_add_f32 v21, v22
.LBB178_34:                             ;   in Loop: Header=BB178_36 Depth=3
	s_or_b32 exec_lo, exec_lo, s61
	s_delay_alu instid0(SALU_CYCLE_1)
	s_or_b32 s39, s39, exec_lo
.LBB178_35:                             ;   in Loop: Header=BB178_36 Depth=3
	s_or_b32 exec_lo, exec_lo, s49
	v_add_co_u32 v11, vcc_lo, v11, 1
	v_add_co_ci_u32_e32 v12, vcc_lo, 0, v12, vcc_lo
	v_add_co_u32 v15, s12, v15, s40
	s_xor_b32 s39, s39, -1
	s_delay_alu instid0(VALU_DEP_2)
	v_cmp_ge_i64_e32 vcc_lo, v[11:12], v[13:14]
	v_add_co_ci_u32_e64 v16, s12, s41, v16, s12
	s_or_b32 s12, s39, vcc_lo
	v_add_co_u32 v17, vcc_lo, v17, s40
	v_add_co_ci_u32_e32 v18, vcc_lo, s41, v18, vcc_lo
	s_and_b32 s12, exec_lo, s12
	s_delay_alu instid0(SALU_CYCLE_1) | instskip(NEXT) | instid1(SALU_CYCLE_1)
	s_or_b32 s19, s12, s19
	s_and_not1_b32 exec_lo, exec_lo, s19
	s_cbranch_execz .LBB178_51
.LBB178_36:                             ;   Parent Loop BB178_14 Depth=1
                                        ;     Parent Loop BB178_23 Depth=2
                                        ; =>    This Loop Header: Depth=3
                                        ;         Child Loop BB178_45 Depth 4
                                        ;         Child Loop BB178_50 Depth 4
	v_lshlrev_b64 v[21:22], 2, v[11:12]
                                        ; implicit-def: $sgpr39
	s_delay_alu instid0(VALU_DEP_1) | instskip(NEXT) | instid1(VALU_DEP_2)
	v_add_co_u32 v21, vcc_lo, s26, v21
	v_add_co_ci_u32_e32 v22, vcc_lo, s27, v22, vcc_lo
	global_load_b32 v21, v[21:22], off
	s_waitcnt vmcnt(0)
	v_subrev_nc_u32_e32 v21, s29, v21
	s_delay_alu instid0(VALU_DEP_1) | instskip(SKIP_1) | instid1(VALU_DEP_2)
	v_cmp_lt_i32_e64 s12, v21, v51
	v_cmp_ge_i32_e32 vcc_lo, v21, v52
	s_or_b32 s12, s12, vcc_lo
	s_delay_alu instid0(SALU_CYCLE_1) | instskip(NEXT) | instid1(SALU_CYCLE_1)
	s_and_saveexec_b32 s49, s12
	s_xor_b32 s12, exec_lo, s49
	s_cbranch_execz .LBB178_40
; %bb.37:                               ;   in Loop: Header=BB178_36 Depth=3
	s_mov_b32 s39, -1
	s_and_saveexec_b32 s49, vcc_lo
; %bb.38:                               ;   in Loop: Header=BB178_36 Depth=3
	v_min_i32_e32 v53, v21, v53
	v_dual_mov_b32 v20, v12 :: v_dual_mov_b32 v19, v11
	s_xor_b32 s39, exec_lo, -1
; %bb.39:                               ;   in Loop: Header=BB178_36 Depth=3
	s_or_b32 exec_lo, exec_lo, s49
	s_delay_alu instid0(SALU_CYCLE_1)
	s_and_b32 s39, s39, exec_lo
                                        ; implicit-def: $vgpr21
.LBB178_40:                             ;   in Loop: Header=BB178_36 Depth=3
	s_and_not1_saveexec_b32 s49, s12
	s_cbranch_execz .LBB178_35
; %bb.41:                               ;   in Loop: Header=BB178_36 Depth=3
	v_sub_nc_u32_e32 v54, v21, v51
	s_delay_alu instid0(VALU_DEP_1)
	v_lshlrev_b32_e32 v21, 2, v54
	ds_store_b32 v21, v50 offset:5120
	s_and_saveexec_b32 s61, s2
	s_cbranch_execz .LBB178_34
; %bb.42:                               ;   in Loop: Header=BB178_36 Depth=3
	v_cndmask_b32_e64 v21, 0, 1, s53
	s_and_not1_b32 vcc_lo, exec_lo, s36
	s_delay_alu instid0(VALU_DEP_1)
	v_cmp_ne_u32_e64 s12, 1, v21
	s_cbranch_vccnz .LBB178_47
; %bb.43:                               ;   in Loop: Header=BB178_36 Depth=3
	v_mov_b32_e32 v55, 0
	s_delay_alu instid0(VALU_DEP_2)
	s_and_b32 vcc_lo, exec_lo, s12
	s_cbranch_vccnz .LBB178_46
; %bb.44:                               ;   in Loop: Header=BB178_36 Depth=3
	v_dual_mov_b32 v22, v16 :: v_dual_mov_b32 v21, v15
	v_mov_b32_e32 v56, v45
	s_mov_b32 s12, s38
.LBB178_45:                             ;   Parent Loop BB178_14 Depth=1
                                        ;     Parent Loop BB178_23 Depth=2
                                        ;       Parent Loop BB178_36 Depth=3
                                        ; =>      This Inner Loop Header: Depth=4
	global_load_b32 v57, v[21:22], off
	ds_load_b32 v58, v56
	v_add_co_u32 v21, vcc_lo, v21, 4
	v_add_nc_u32_e32 v56, 16, v56
	v_add_co_ci_u32_e32 v22, vcc_lo, 0, v22, vcc_lo
	s_add_i32 s12, s12, -1
	s_delay_alu instid0(SALU_CYCLE_1)
	s_cmp_lg_u32 s12, 0
	s_waitcnt vmcnt(0) lgkmcnt(0)
	v_fmac_f32_e32 v55, v58, v57
	s_cbranch_scc1 .LBB178_45
.LBB178_46:                             ;   in Loop: Header=BB178_36 Depth=3
	s_cbranch_execnz .LBB178_33
	s_branch .LBB178_48
.LBB178_47:                             ;   in Loop: Header=BB178_36 Depth=3
                                        ; implicit-def: $vgpr55
.LBB178_48:                             ;   in Loop: Header=BB178_36 Depth=3
	v_mov_b32_e32 v55, 0
	s_and_not1_b32 vcc_lo, exec_lo, s53
	s_cbranch_vccnz .LBB178_33
; %bb.49:                               ;   in Loop: Header=BB178_36 Depth=3
	v_mov_b32_e32 v22, v18
	v_dual_mov_b32 v56, v46 :: v_dual_mov_b32 v21, v17
	s_mov_b32 s12, s38
.LBB178_50:                             ;   Parent Loop BB178_14 Depth=1
                                        ;     Parent Loop BB178_23 Depth=2
                                        ;       Parent Loop BB178_36 Depth=3
                                        ; =>      This Inner Loop Header: Depth=4
	global_load_b32 v57, v[21:22], off
	ds_load_b32 v58, v56
	v_add_co_u32 v21, vcc_lo, v21, s42
	v_add_co_ci_u32_e32 v22, vcc_lo, s43, v22, vcc_lo
	v_add_nc_u32_e32 v56, 4, v56
	s_add_i32 s12, s12, -1
	s_delay_alu instid0(SALU_CYCLE_1)
	s_cmp_eq_u32 s12, 0
	s_waitcnt vmcnt(0) lgkmcnt(0)
	v_fmac_f32_e32 v55, v58, v57
	s_cbranch_scc0 .LBB178_50
	s_branch .LBB178_33
.LBB178_51:                             ;   in Loop: Header=BB178_23 Depth=2
	s_or_b32 exec_lo, exec_lo, s19
	v_dual_mov_b32 v11, v19 :: v_dual_mov_b32 v12, v20
.LBB178_52:                             ;   in Loop: Header=BB178_23 Depth=2
	s_or_b32 exec_lo, exec_lo, s18
.LBB178_53:                             ;   in Loop: Header=BB178_23 Depth=2
	s_delay_alu instid0(SALU_CYCLE_1)
	s_or_b32 exec_lo, exec_lo, s13
	s_waitcnt lgkmcnt(0)
	s_barrier
	buffer_gl0_inv
	s_and_saveexec_b32 s12, s11
	s_cbranch_execz .LBB178_22
; %bb.54:                               ;   in Loop: Header=BB178_23 Depth=2
	v_lshlrev_b64 v[9:10], 3, v[9:10]
	s_delay_alu instid0(VALU_DEP_1) | instskip(NEXT) | instid1(VALU_DEP_2)
	v_add_co_u32 v9, vcc_lo, s46, v9
	v_add_co_ci_u32_e32 v10, vcc_lo, s47, v10, vcc_lo
	global_store_b64 v[9:10], v[11:12], off
	s_branch .LBB178_22
.LBB178_55:                             ;   in Loop: Header=BB178_23 Depth=2
                                        ; implicit-def: $vgpr11_vgpr12
	s_branch .LBB178_30
.LBB178_56:                             ;   in Loop: Header=BB178_14 Depth=1
	s_and_not1_b32 vcc_lo, exec_lo, s33
	s_cbranch_vccnz .LBB178_68
; %bb.57:                               ;   in Loop: Header=BB178_14 Depth=1
	s_load_b128 s[16:19], s[22:23], 0x0
	s_waitcnt lgkmcnt(0)
	v_add_co_u32 v11, vcc_lo, s16, v32
	v_add_co_ci_u32_e32 v12, vcc_lo, s17, v33, vcc_lo
	s_sub_u32 s12, s18, s54
	s_subb_u32 s13, s19, 0
	s_mov_b32 s18, exec_lo
	s_delay_alu instid0(VALU_DEP_1)
	v_cmpx_gt_i64_e64 s[12:13], v[11:12]
	s_cbranch_execz .LBB178_67
; %bb.58:                               ;   in Loop: Header=BB178_14 Depth=1
	v_lshlrev_b64 v[13:14], 2, v[11:12]
	v_mad_u64_u32 v[9:10], null, s40, v11, v[3:4]
	v_mul_lo_u32 v15, s40, v12
	v_mul_lo_u32 v16, s41, v11
	s_delay_alu instid0(VALU_DEP_4) | instskip(SKIP_2) | instid1(VALU_DEP_4)
	v_add_co_u32 v11, vcc_lo, s14, v13
	v_add_co_ci_u32_e32 v12, vcc_lo, s15, v14, vcc_lo
	v_add_co_u32 v13, vcc_lo, v47, s16
	v_add3_u32 v10, v16, v10, v15
	v_add_co_ci_u32_e32 v14, vcc_lo, s17, v48, vcc_lo
	s_mov_b32 s16, 0
	s_branch .LBB178_61
.LBB178_59:                             ;   in Loop: Header=BB178_61 Depth=2
	s_or_b32 exec_lo, exec_lo, s17
	s_delay_alu instid0(SALU_CYCLE_1)
	s_or_b32 s10, s10, exec_lo
.LBB178_60:                             ;   in Loop: Header=BB178_61 Depth=2
	s_or_b32 exec_lo, exec_lo, s11
	v_cmp_le_i64_e32 vcc_lo, s[12:13], v[13:14]
	s_xor_b32 s11, s10, -1
	v_add_co_u32 v11, s10, v11, 64
	s_delay_alu instid0(VALU_DEP_1)
	v_add_co_ci_u32_e64 v12, s10, 0, v12, s10
	s_or_b32 s10, s11, vcc_lo
	v_add_co_u32 v9, vcc_lo, v9, s50
	v_add_co_ci_u32_e32 v10, vcc_lo, s51, v10, vcc_lo
	v_add_co_u32 v13, vcc_lo, v13, 16
	v_add_co_ci_u32_e32 v14, vcc_lo, 0, v14, vcc_lo
	s_and_b32 s10, exec_lo, s10
	s_delay_alu instid0(SALU_CYCLE_1) | instskip(NEXT) | instid1(SALU_CYCLE_1)
	s_or_b32 s16, s10, s16
	s_and_not1_b32 exec_lo, exec_lo, s16
	s_cbranch_execz .LBB178_66
.LBB178_61:                             ;   Parent Loop BB178_14 Depth=1
                                        ; =>  This Inner Loop Header: Depth=2
	global_load_b32 v15, v[11:12], off
	s_waitcnt vmcnt(0)
	v_subrev_nc_u32_e32 v15, s31, v15
	s_delay_alu instid0(VALU_DEP_1) | instskip(SKIP_2) | instid1(VALU_DEP_2)
	v_cmp_lt_i32_e64 s10, v15, v51
	v_cmp_ge_i32_e64 s11, v15, v52
	v_cmp_lt_i32_e32 vcc_lo, v15, v52
	s_or_b32 s11, s10, s11
                                        ; implicit-def: $sgpr10
	s_delay_alu instid0(SALU_CYCLE_1) | instskip(NEXT) | instid1(SALU_CYCLE_1)
	s_and_saveexec_b32 s17, s11
	s_xor_b32 s11, exec_lo, s17
; %bb.62:                               ;   in Loop: Header=BB178_61 Depth=2
	v_min_i32_e32 v15, v15, v53
	s_and_b32 s10, vcc_lo, exec_lo
	s_delay_alu instid0(VALU_DEP_1)
	v_cndmask_b32_e32 v53, v15, v53, vcc_lo
                                        ; implicit-def: $vgpr15
; %bb.63:                               ;   in Loop: Header=BB178_61 Depth=2
	s_and_not1_saveexec_b32 s11, s11
	s_cbranch_execz .LBB178_60
; %bb.64:                               ;   in Loop: Header=BB178_61 Depth=2
	v_sub_nc_u32_e32 v15, v15, v51
	s_delay_alu instid0(VALU_DEP_1)
	v_lshlrev_b32_e32 v16, 2, v15
	ds_store_b32 v16, v50 offset:5120
	s_and_saveexec_b32 s17, s2
	s_cbranch_execz .LBB178_59
; %bb.65:                               ;   in Loop: Header=BB178_61 Depth=2
	global_load_b32 v16, v[9:10], off
	s_waitcnt vmcnt(0)
	v_dual_mul_f32 v16, v24, v16 :: v_dual_lshlrev_b32 v15, 4, v15
	s_delay_alu instid0(VALU_DEP_1) | instskip(NEXT) | instid1(VALU_DEP_1)
	v_or3_b32 v15, v15, v28, v26
	v_lshlrev_b32_e32 v15, 2, v15
	ds_add_f32 v15, v16
	s_branch .LBB178_59
.LBB178_66:                             ;   in Loop: Header=BB178_14 Depth=1
	s_or_b32 exec_lo, exec_lo, s16
.LBB178_67:                             ;   in Loop: Header=BB178_14 Depth=1
	s_delay_alu instid0(SALU_CYCLE_1)
	s_or_b32 exec_lo, exec_lo, s18
.LBB178_68:                             ;   in Loop: Header=BB178_14 Depth=1
	s_and_saveexec_b32 s10, s3
	s_cbranch_execz .LBB178_73
; %bb.69:                               ;   in Loop: Header=BB178_14 Depth=1
	s_mov_b32 s12, exec_lo
	s_brev_b32 s11, -2
.LBB178_70:                             ;   Parent Loop BB178_14 Depth=1
                                        ; =>  This Inner Loop Header: Depth=2
	s_ctz_i32_b32 s13, s12
	s_delay_alu instid0(SALU_CYCLE_1) | instskip(SKIP_1) | instid1(SALU_CYCLE_1)
	v_readlane_b32 s16, v53, s13
	s_lshl_b32 s13, 1, s13
	s_and_not1_b32 s12, s12, s13
	s_delay_alu instid0(VALU_DEP_1)
	s_min_i32 s11, s11, s16
	s_cmp_lg_u32 s12, 0
	s_cbranch_scc1 .LBB178_70
; %bb.71:                               ;   in Loop: Header=BB178_14 Depth=1
	v_mbcnt_lo_u32_b32 v9, exec_lo, 0
	s_mov_b32 s12, exec_lo
	s_delay_alu instid0(VALU_DEP_1)
	v_cmpx_eq_u32_e32 0, v9
	s_xor_b32 s12, exec_lo, s12
	s_cbranch_execz .LBB178_73
; %bb.72:                               ;   in Loop: Header=BB178_14 Depth=1
	v_mov_b32_e32 v9, s11
	ds_min_i32 v2, v9 offset:5376
.LBB178_73:                             ;   in Loop: Header=BB178_14 Depth=1
	s_or_b32 exec_lo, exec_lo, s10
	s_waitcnt lgkmcnt(0)
	s_waitcnt_vscnt null, 0x0
	s_barrier
	buffer_gl0_inv
	ds_load_b32 v9, v34
	s_waitcnt lgkmcnt(0)
	s_barrier
	buffer_gl0_inv
	s_and_saveexec_b32 s10, s4
	s_cbranch_execz .LBB178_75
; %bb.74:                               ;   in Loop: Header=BB178_14 Depth=1
	ds_load_b32 v10, v35
	s_waitcnt lgkmcnt(0)
	v_add_nc_u32_e32 v9, v10, v9
.LBB178_75:                             ;   in Loop: Header=BB178_14 Depth=1
	s_or_b32 exec_lo, exec_lo, s10
	s_barrier
	buffer_gl0_inv
	ds_store_b32 v34, v9
	s_waitcnt lgkmcnt(0)
	s_barrier
	buffer_gl0_inv
	s_and_saveexec_b32 s10, s5
	s_cbranch_execz .LBB178_77
; %bb.76:                               ;   in Loop: Header=BB178_14 Depth=1
	ds_load_b32 v10, v37
	s_waitcnt lgkmcnt(0)
	v_add_nc_u32_e32 v9, v10, v9
.LBB178_77:                             ;   in Loop: Header=BB178_14 Depth=1
	s_or_b32 exec_lo, exec_lo, s10
	s_barrier
	buffer_gl0_inv
	ds_store_b32 v34, v9
	;; [unrolled: 14-line block ×6, first 2 shown]
	s_waitcnt lgkmcnt(0)
	s_barrier
	buffer_gl0_inv
	ds_load_b32 v10, v2 offset:5372
	v_mov_b32_e32 v11, 0
	s_and_saveexec_b32 s10, s55
	s_cbranch_execz .LBB178_87
; %bb.86:                               ;   in Loop: Header=BB178_14 Depth=1
	ds_load_b32 v11, v35
.LBB178_87:                             ;   in Loop: Header=BB178_14 Depth=1
	s_or_b32 exec_lo, exec_lo, s10
	s_waitcnt lgkmcnt(0)
	v_cmp_eq_u32_e32 vcc_lo, v9, v11
	s_barrier
	buffer_gl0_inv
	s_and_b32 s11, s55, vcc_lo
	s_delay_alu instid0(SALU_CYCLE_1)
	s_and_saveexec_b32 s10, s11
	s_cbranch_execz .LBB178_89
; %bb.88:                               ;   in Loop: Header=BB178_14 Depth=1
	ds_store_b32 v34, v2
.LBB178_89:                             ;   in Loop: Header=BB178_14 Depth=1
	s_or_b32 exec_lo, exec_lo, s10
	v_add_co_u32 v9, vcc_lo, v7, -1
	v_add_co_ci_u32_e32 v11, vcc_lo, -1, v8, vcc_lo
	v_dual_mov_b32 v13, v49 :: v_dual_add_nc_u32 v12, s30, v51
	v_dual_mov_b32 v14, v27 :: v_dual_mov_b32 v15, v25
	s_mov_b32 s10, 0
	s_waitcnt lgkmcnt(0)
	s_barrier
	buffer_gl0_inv
	s_set_inst_prefetch_distance 0x1
	s_branch .LBB178_91
	.p2align	6
.LBB178_90:                             ;   in Loop: Header=BB178_91 Depth=2
	s_or_b32 exec_lo, exec_lo, s11
	v_add_nc_u32_e32 v16, 16, v15
	v_cmp_lt_u32_e32 vcc_lo, 47, v15
	v_add_nc_u32_e32 v14, 0x400, v14
	v_add_nc_u32_e32 v13, 64, v13
	s_delay_alu instid0(VALU_DEP_4) | instskip(SKIP_1) | instid1(SALU_CYCLE_1)
	v_mov_b32_e32 v15, v16
	s_or_b32 s10, vcc_lo, s10
	s_and_not1_b32 exec_lo, exec_lo, s10
	s_cbranch_execz .LBB178_13
.LBB178_91:                             ;   Parent Loop BB178_14 Depth=1
                                        ; =>  This Inner Loop Header: Depth=2
	ds_load_b32 v16, v13
	s_mov_b32 s11, exec_lo
	s_waitcnt lgkmcnt(0)
	v_cmpx_ne_u32_e32 0, v16
	s_cbranch_execz .LBB178_90
; %bb.92:                               ;   in Loop: Header=BB178_91 Depth=2
	v_ashrrev_i32_e32 v17, 31, v16
	v_add_co_u32 v18, vcc_lo, v7, v16
	v_add_nc_u32_e32 v20, v12, v15
	s_delay_alu instid0(VALU_DEP_3) | instskip(NEXT) | instid1(VALU_DEP_1)
	v_add_co_ci_u32_e32 v19, vcc_lo, v8, v17, vcc_lo
	v_lshlrev_b64 v[18:19], 2, v[18:19]
	s_delay_alu instid0(VALU_DEP_1) | instskip(NEXT) | instid1(VALU_DEP_2)
	v_add_co_u32 v18, vcc_lo, s59, v18
	v_add_co_ci_u32_e32 v19, vcc_lo, s60, v19, vcc_lo
	global_store_b32 v[18:19], v20, off
	s_and_b32 exec_lo, exec_lo, s2
	s_cbranch_execz .LBB178_90
; %bb.93:                               ;   in Loop: Header=BB178_91 Depth=2
	v_add_co_u32 v18, vcc_lo, v9, v16
	v_add_co_ci_u32_e32 v20, vcc_lo, v11, v17, vcc_lo
	s_delay_alu instid0(VALU_DEP_2) | instskip(NEXT) | instid1(VALU_DEP_1)
	v_mad_u64_u32 v[16:17], null, v18, s48, 0
	v_mad_u64_u32 v[18:19], null, v20, s48, v[17:18]
	ds_load_b32 v19, v14
	v_mov_b32_e32 v17, v18
	s_delay_alu instid0(VALU_DEP_1) | instskip(NEXT) | instid1(VALU_DEP_1)
	v_lshlrev_b64 v[16:17], 2, v[16:17]
	v_add_co_u32 v16, vcc_lo, v43, v16
	s_delay_alu instid0(VALU_DEP_2)
	v_add_co_ci_u32_e32 v17, vcc_lo, v42, v17, vcc_lo
	s_waitcnt lgkmcnt(0)
	global_store_b32 v[16:17], v19, off
	s_branch .LBB178_90
.LBB178_94:
	s_endpgm
	.section	.rodata,"a",@progbits
	.p2align	6, 0x0
	.amdhsa_kernel _ZN9rocsparseL38bsrgemm_block_per_row_atomic_multipassILj256ELj64ELj4ElifEEv20rocsparse_direction_T3_S2_PKS2_S4_NS_24const_host_device_scalarIT4_EEPKT2_S4_PKS6_SA_S4_SC_S7_SA_S4_SC_SA_PS2_PS6_PS8_21rocsparse_index_base_SG_SG_SG_bbb
		.amdhsa_group_segment_fixed_size 5380
		.amdhsa_private_segment_fixed_size 0
		.amdhsa_kernarg_size 172
		.amdhsa_user_sgpr_count 15
		.amdhsa_user_sgpr_dispatch_ptr 0
		.amdhsa_user_sgpr_queue_ptr 0
		.amdhsa_user_sgpr_kernarg_segment_ptr 1
		.amdhsa_user_sgpr_dispatch_id 0
		.amdhsa_user_sgpr_private_segment_size 0
		.amdhsa_wavefront_size32 1
		.amdhsa_uses_dynamic_stack 0
		.amdhsa_enable_private_segment 0
		.amdhsa_system_sgpr_workgroup_id_x 1
		.amdhsa_system_sgpr_workgroup_id_y 0
		.amdhsa_system_sgpr_workgroup_id_z 0
		.amdhsa_system_sgpr_workgroup_info 0
		.amdhsa_system_vgpr_workitem_id 0
		.amdhsa_next_free_vgpr 59
		.amdhsa_next_free_sgpr 62
		.amdhsa_reserve_vcc 1
		.amdhsa_float_round_mode_32 0
		.amdhsa_float_round_mode_16_64 0
		.amdhsa_float_denorm_mode_32 3
		.amdhsa_float_denorm_mode_16_64 3
		.amdhsa_dx10_clamp 1
		.amdhsa_ieee_mode 1
		.amdhsa_fp16_overflow 0
		.amdhsa_workgroup_processor_mode 1
		.amdhsa_memory_ordered 1
		.amdhsa_forward_progress 0
		.amdhsa_shared_vgpr_count 0
		.amdhsa_exception_fp_ieee_invalid_op 0
		.amdhsa_exception_fp_denorm_src 0
		.amdhsa_exception_fp_ieee_div_zero 0
		.amdhsa_exception_fp_ieee_overflow 0
		.amdhsa_exception_fp_ieee_underflow 0
		.amdhsa_exception_fp_ieee_inexact 0
		.amdhsa_exception_int_div_zero 0
	.end_amdhsa_kernel
	.section	.text._ZN9rocsparseL38bsrgemm_block_per_row_atomic_multipassILj256ELj64ELj4ElifEEv20rocsparse_direction_T3_S2_PKS2_S4_NS_24const_host_device_scalarIT4_EEPKT2_S4_PKS6_SA_S4_SC_S7_SA_S4_SC_SA_PS2_PS6_PS8_21rocsparse_index_base_SG_SG_SG_bbb,"axG",@progbits,_ZN9rocsparseL38bsrgemm_block_per_row_atomic_multipassILj256ELj64ELj4ElifEEv20rocsparse_direction_T3_S2_PKS2_S4_NS_24const_host_device_scalarIT4_EEPKT2_S4_PKS6_SA_S4_SC_S7_SA_S4_SC_SA_PS2_PS6_PS8_21rocsparse_index_base_SG_SG_SG_bbb,comdat
.Lfunc_end178:
	.size	_ZN9rocsparseL38bsrgemm_block_per_row_atomic_multipassILj256ELj64ELj4ElifEEv20rocsparse_direction_T3_S2_PKS2_S4_NS_24const_host_device_scalarIT4_EEPKT2_S4_PKS6_SA_S4_SC_S7_SA_S4_SC_SA_PS2_PS6_PS8_21rocsparse_index_base_SG_SG_SG_bbb, .Lfunc_end178-_ZN9rocsparseL38bsrgemm_block_per_row_atomic_multipassILj256ELj64ELj4ElifEEv20rocsparse_direction_T3_S2_PKS2_S4_NS_24const_host_device_scalarIT4_EEPKT2_S4_PKS6_SA_S4_SC_S7_SA_S4_SC_SA_PS2_PS6_PS8_21rocsparse_index_base_SG_SG_SG_bbb
                                        ; -- End function
	.section	.AMDGPU.csdata,"",@progbits
; Kernel info:
; codeLenInByte = 3764
; NumSgprs: 64
; NumVgprs: 59
; ScratchSize: 0
; MemoryBound: 0
; FloatMode: 240
; IeeeMode: 1
; LDSByteSize: 5380 bytes/workgroup (compile time only)
; SGPRBlocks: 7
; VGPRBlocks: 7
; NumSGPRsForWavesPerEU: 64
; NumVGPRsForWavesPerEU: 59
; Occupancy: 16
; WaveLimiterHint : 1
; COMPUTE_PGM_RSRC2:SCRATCH_EN: 0
; COMPUTE_PGM_RSRC2:USER_SGPR: 15
; COMPUTE_PGM_RSRC2:TRAP_HANDLER: 0
; COMPUTE_PGM_RSRC2:TGID_X_EN: 1
; COMPUTE_PGM_RSRC2:TGID_Y_EN: 0
; COMPUTE_PGM_RSRC2:TGID_Z_EN: 0
; COMPUTE_PGM_RSRC2:TIDIG_COMP_CNT: 0
	.section	.text._ZN9rocsparseL38bsrgemm_block_per_row_atomic_multipassILj256ELj128ELj4ElifEEv20rocsparse_direction_T3_S2_PKS2_S4_NS_24const_host_device_scalarIT4_EEPKT2_S4_PKS6_SA_S4_SC_S7_SA_S4_SC_SA_PS2_PS6_PS8_21rocsparse_index_base_SG_SG_SG_bbb,"axG",@progbits,_ZN9rocsparseL38bsrgemm_block_per_row_atomic_multipassILj256ELj128ELj4ElifEEv20rocsparse_direction_T3_S2_PKS2_S4_NS_24const_host_device_scalarIT4_EEPKT2_S4_PKS6_SA_S4_SC_S7_SA_S4_SC_SA_PS2_PS6_PS8_21rocsparse_index_base_SG_SG_SG_bbb,comdat
	.globl	_ZN9rocsparseL38bsrgemm_block_per_row_atomic_multipassILj256ELj128ELj4ElifEEv20rocsparse_direction_T3_S2_PKS2_S4_NS_24const_host_device_scalarIT4_EEPKT2_S4_PKS6_SA_S4_SC_S7_SA_S4_SC_SA_PS2_PS6_PS8_21rocsparse_index_base_SG_SG_SG_bbb ; -- Begin function _ZN9rocsparseL38bsrgemm_block_per_row_atomic_multipassILj256ELj128ELj4ElifEEv20rocsparse_direction_T3_S2_PKS2_S4_NS_24const_host_device_scalarIT4_EEPKT2_S4_PKS6_SA_S4_SC_S7_SA_S4_SC_SA_PS2_PS6_PS8_21rocsparse_index_base_SG_SG_SG_bbb
	.p2align	8
	.type	_ZN9rocsparseL38bsrgemm_block_per_row_atomic_multipassILj256ELj128ELj4ElifEEv20rocsparse_direction_T3_S2_PKS2_S4_NS_24const_host_device_scalarIT4_EEPKT2_S4_PKS6_SA_S4_SC_S7_SA_S4_SC_SA_PS2_PS6_PS8_21rocsparse_index_base_SG_SG_SG_bbb,@function
_ZN9rocsparseL38bsrgemm_block_per_row_atomic_multipassILj256ELj128ELj4ElifEEv20rocsparse_direction_T3_S2_PKS2_S4_NS_24const_host_device_scalarIT4_EEPKT2_S4_PKS6_SA_S4_SC_S7_SA_S4_SC_SA_PS2_PS6_PS8_21rocsparse_index_base_SG_SG_SG_bbb: ; @_ZN9rocsparseL38bsrgemm_block_per_row_atomic_multipassILj256ELj128ELj4ElifEEv20rocsparse_direction_T3_S2_PKS2_S4_NS_24const_host_device_scalarIT4_EEPKT2_S4_PKS6_SA_S4_SC_S7_SA_S4_SC_SA_PS2_PS6_PS8_21rocsparse_index_base_SG_SG_SG_bbb
; %bb.0:
	s_clause 0x3
	s_load_b32 s3, s[0:1], 0xa8
	s_load_b128 s[36:39], s[0:1], 0x98
	s_load_b64 s[6:7], s[0:1], 0x20
	s_load_b64 s[4:5], s[0:1], 0x58
	s_mov_b32 s2, s15
	s_waitcnt lgkmcnt(0)
	s_bitcmp1_b32 s3, 0
	s_cselect_b32 s8, -1, 0
	s_bitcmp1_b32 s3, 16
	s_cselect_b32 s9, -1, 0
	s_xor_b32 s10, s8, -1
	s_delay_alu instid0(SALU_CYCLE_1) | instskip(NEXT) | instid1(SALU_CYCLE_1)
	s_or_b32 s10, s10, s9
	s_and_b32 vcc_lo, exec_lo, s10
	s_cbranch_vccnz .LBB179_2
; %bb.1:
	s_load_b32 s6, s[6:7], 0x0
	s_waitcnt lgkmcnt(0)
	v_mov_b32_e32 v23, s6
	s_branch .LBB179_3
.LBB179_2:
	v_cndmask_b32_e64 v23, 0, s6, s8
.LBB179_3:
	s_load_b64 s[6:7], s[0:1], 0x18
	s_bitcmp1_b32 s3, 8
	s_cselect_b32 s33, -1, 0
	s_delay_alu instid0(SALU_CYCLE_1) | instskip(NEXT) | instid1(SALU_CYCLE_1)
	s_xor_b32 s3, s33, -1
	s_or_b32 s3, s3, s9
	s_delay_alu instid0(SALU_CYCLE_1)
	s_and_b32 vcc_lo, exec_lo, s3
	s_cbranch_vccnz .LBB179_5
; %bb.4:
	s_load_b32 s3, s[4:5], 0x0
	s_waitcnt lgkmcnt(0)
	v_mov_b32_e32 v24, s3
	s_load_b64 s[4:5], s[0:1], 0x28
	s_cmp_eq_u64 s[6:7], 0
	s_mov_b64 s[34:35], 0
	s_cbranch_scc0 .LBB179_6
	s_branch .LBB179_7
.LBB179_5:
	v_cndmask_b32_e64 v24, 0, s4, s33
	s_load_b64 s[4:5], s[0:1], 0x28
	s_waitcnt lgkmcnt(0)
	s_cmp_eq_u64 s[6:7], 0
	s_mov_b64 s[34:35], 0
	s_cbranch_scc1 .LBB179_7
.LBB179_6:
	s_load_b64 s[10:11], s[0:1], 0x10
	s_waitcnt lgkmcnt(0)
	s_load_b32 s3, s[10:11], 0x0
	s_waitcnt lgkmcnt(0)
	s_add_i32 s2, s3, s2
	s_mov_b32 s3, 0
	s_delay_alu instid0(SALU_CYCLE_1) | instskip(NEXT) | instid1(SALU_CYCLE_1)
	s_lshl_b64 s[2:3], s[2:3], 2
	s_add_u32 s2, s6, s2
	s_addc_u32 s3, s7, s3
	s_load_b32 s2, s[2:3], 0x0
.LBB179_7:
	s_and_not1_b32 vcc_lo, exec_lo, s8
	s_cbranch_vccz .LBB179_10
; %bb.8:
	s_and_not1_b32 vcc_lo, exec_lo, s8
	s_mov_b64 s[48:49], 0
	s_cbranch_vccz .LBB179_11
.LBB179_9:
	s_load_b128 s[40:43], s[0:1], 0x0
	s_waitcnt lgkmcnt(0)
	s_cmp_lt_i32 s41, 1
	s_cbranch_scc0 .LBB179_12
	s_branch .LBB179_100
.LBB179_10:
	s_waitcnt lgkmcnt(0)
	s_ashr_i32 s3, s2, 31
	s_delay_alu instid0(SALU_CYCLE_1) | instskip(NEXT) | instid1(SALU_CYCLE_1)
	s_lshl_b64 s[6:7], s[2:3], 3
	s_add_u32 s6, s4, s6
	s_addc_u32 s7, s5, s7
	s_load_b64 s[6:7], s[6:7], 0x0
	s_waitcnt lgkmcnt(0)
	s_sub_u32 s34, s6, s36
	s_subb_u32 s35, s7, 0
	s_and_not1_b32 vcc_lo, exec_lo, s8
	s_mov_b64 s[48:49], 0
	s_cbranch_vccnz .LBB179_9
.LBB179_11:
	s_waitcnt lgkmcnt(0)
	s_ashr_i32 s3, s2, 31
	s_delay_alu instid0(SALU_CYCLE_1) | instskip(NEXT) | instid1(SALU_CYCLE_1)
	s_lshl_b64 s[6:7], s[2:3], 3
	s_add_u32 s4, s4, s6
	s_addc_u32 s5, s5, s7
	s_load_b64 s[4:5], s[4:5], 0x8
	s_waitcnt lgkmcnt(0)
	s_sub_u32 s48, s4, s36
	s_subb_u32 s49, s5, 0
	s_load_b128 s[40:43], s[0:1], 0x0
	s_waitcnt lgkmcnt(0)
	s_cmp_lt_i32 s41, 1
	s_cbranch_scc1 .LBB179_100
.LBB179_12:
	s_clause 0x4
	s_load_b256 s[16:23], s[0:1], 0x60
	s_load_b64 s[50:51], s[0:1], 0x90
	s_load_b128 s[44:47], s[0:1], 0x80
	s_load_b64 s[14:15], s[0:1], 0x50
	s_load_b256 s[24:31], s[0:1], 0x30
	v_bfe_u32 v3, v0, 2, 2
	v_dual_mov_b32 v2, 0 :: v_dual_and_b32 v7, 15, v0
	v_and_b32_e32 v26, 3, v0
	s_ashr_i32 s3, s2, 31
	s_delay_alu instid0(VALU_DEP_3)
	v_mul_lo_u32 v1, v3, s42
	s_lshl_b64 s[4:5], s[2:3], 3
	v_mov_b32_e32 v51, 0
	v_max_i32_e32 v5, v26, v3
	v_lshlrev_b32_e32 v8, 2, v26
	v_lshrrev_b32_e32 v25, 4, v0
	v_and_b32_e32 v28, 12, v0
	v_cmp_gt_u32_e64 s0, 0x80, v0
	v_lshlrev_b64 v[3:4], 2, v[1:2]
	v_mul_lo_u32 v1, v26, s42
	s_waitcnt lgkmcnt(0)
	s_add_u32 s2, s22, s4
	s_addc_u32 s3, s23, s5
	v_cmp_eq_u32_e64 s1, 0, v0
	s_load_b64 s[6:7], s[2:3], 0x0
	v_add_co_u32 v9, vcc_lo, s26, v3
	v_cmp_gt_i32_e64 s2, s42, v5
	v_add_co_ci_u32_e32 v10, vcc_lo, s27, v4, vcc_lo
	v_lshlrev_b64 v[5:6], 2, v[1:2]
	s_delay_alu instid0(VALU_DEP_4) | instskip(NEXT) | instid1(VALU_DEP_1)
	v_add_co_u32 v30, s3, v9, v8
	v_add_co_ci_u32_e64 v31, s3, 0, v10, s3
	v_add_co_u32 v1, vcc_lo, s46, v3
	s_delay_alu instid0(VALU_DEP_4) | instskip(NEXT) | instid1(VALU_DEP_1)
	v_add_co_u32 v9, s3, s20, v5
	v_add_co_ci_u32_e64 v10, s3, s21, v6, s3
	v_sub_co_u32 v32, s3, v25, s39
	v_add_co_ci_u32_e32 v11, vcc_lo, s47, v4, vcc_lo
	v_add_co_u32 v12, vcc_lo, s46, v5
	v_sub_co_ci_u32_e64 v33, null, 0, 0, s3
	v_add_co_u32 v9, s3, v9, v28
	v_add_co_ci_u32_e32 v13, vcc_lo, s47, v6, vcc_lo
	v_add_co_ci_u32_e64 v10, s3, 0, v10, s3
	v_add_co_u32 v3, s3, s20, v3
	v_add_co_u32 v12, vcc_lo, v12, v28
	v_add_co_ci_u32_e64 v4, s3, s21, v4, s3
	s_waitcnt lgkmcnt(0)
	s_sub_u32 s22, s6, s38
	v_add_co_ci_u32_e32 v13, vcc_lo, 0, v13, vcc_lo
	s_subb_u32 s23, s7, 0
	v_add_co_u32 v1, vcc_lo, v1, v8
	v_add_co_u32 v3, s3, v3, v8
	s_cmp_eq_u32 s40, 0
	v_add_co_ci_u32_e32 v11, vcc_lo, 0, v11, vcc_lo
	v_add_co_ci_u32_e64 v4, s3, 0, v4, s3
	s_cselect_b32 vcc_lo, -1, 0
	v_dual_cndmask_b32 v44, v12, v1 :: v_dual_lshlrev_b32 v27, 2, v0
	v_and_b32_e32 v14, 0x7f, v0
	v_cmp_eq_u32_e64 s3, 15, v7
	v_or_b32_e32 v7, 0x400, v0
	v_cmp_gt_u32_e64 s12, 0x200, v0
	v_cmp_gt_u32_e64 s13, 0x100, v0
	v_lshlrev_b32_e32 v0, 6, v25
	v_cmp_lt_i64_e64 s9, s[34:35], s[48:49]
	s_cmp_lg_u32 s40, 0
	v_dual_cndmask_b32 v43, v13, v11 :: v_dual_cndmask_b32 v4, v10, v4
	v_cndmask_b32_e32 v3, v9, v3, vcc_lo
	v_cmp_gt_u32_e64 s11, 0x700, v7
	v_or3_b32 v45, v0, v28, 0x2000
	v_add_co_u32 v0, vcc_lo, s14, v5
	v_add_co_u32 v5, s14, s14, v8
	v_mov_b32_e32 v7, s22
	v_dual_mov_b32 v52, 0x80 :: v_dual_lshlrev_b32 v15, 2, v14
	v_add_co_u32 v16, s59, v14, -1
	s_cselect_b32 s40, -1, 0
	s_cmp_gt_i32 s42, 0
	v_add_co_ci_u32_e32 v1, vcc_lo, s15, v6, vcc_lo
	s_cselect_b32 s57, -1, 0
	s_add_u32 s26, s16, s4
	v_add_co_ci_u32_e64 v6, null, s15, 0, s14
	s_movk_i32 s14, 0x3f0
	v_add_co_u32 v47, vcc_lo, v32, 16
	s_mov_b32 s53, 0
	s_addc_u32 s27, s17, s5
	s_and_b32 s60, s8, s9
	v_or_b32_e32 v29, 0x2000, v27
	v_or_b32_e32 v34, 0x2400, v15
	v_lshl_add_u32 v35, v16, 2, 0x2400
	v_or_b32_e32 v36, 0x2400, v27
	v_cmp_ne_u32_e64 s4, 0, v14
	v_cmp_lt_u32_e64 s5, 1, v14
	v_dual_mov_b32 v8, s23 :: v_dual_add_nc_u32 v37, 0x23f8, v15
	v_cmp_lt_u32_e64 s6, 3, v14
	v_add_nc_u32_e32 v38, 0x23f0, v15
	v_cmp_lt_u32_e64 s7, 7, v14
	v_dual_mov_b32 v50, 1 :: v_dual_add_nc_u32 v39, 0x23e0, v15
	v_cmp_lt_u32_e64 s8, 15, v14
	v_add_nc_u32_e32 v40, 0x23c0, v15
	v_cmp_lt_u32_e64 s9, 31, v14
	v_add_nc_u32_e32 v41, 0x2380, v15
	;; [unrolled: 2-line block ×3, first 2 shown]
	s_add_u32 s61, s28, 8
	v_and_or_b32 v46, v27, s14, 0x2000
	v_add_co_ci_u32_e32 v48, vcc_lo, 0, v33, vcc_lo
	v_lshl_or_b32 v49, v25, 2, 0x2400
	s_mul_i32 s52, s42, s42
	s_addc_u32 s62, s29, 0
	s_mov_b32 s43, s53
	s_add_u32 s63, s44, -4
	s_mov_b32 s56, s37
	s_mov_b32 s58, s39
	s_addc_u32 s64, s45, -1
	s_lshl_b64 s[44:45], s[52:53], 2
	s_lshl_b64 s[46:47], s[42:43], 2
	;; [unrolled: 1-line block ×3, first 2 shown]
	s_branch .LBB179_14
.LBB179_13:                             ;   in Loop: Header=BB179_14 Depth=1
	s_set_inst_prefetch_distance 0x2
	s_or_b32 exec_lo, exec_lo, s14
	s_waitcnt_vscnt null, 0x0
	s_barrier
	buffer_gl0_inv
	ds_load_b32 v51, v2 offset:9728
	v_ashrrev_i32_e32 v9, 31, v10
	v_add_co_u32 v7, s14, v7, v10
	s_waitcnt lgkmcnt(0)
	s_barrier
	s_delay_alu instid0(VALU_DEP_2)
	v_add_co_ci_u32_e64 v8, s14, v8, v9, s14
	buffer_gl0_inv
	v_cmp_le_i32_e32 vcc_lo, s41, v51
	v_add_nc_u32_e32 v52, 0x80, v51
	s_cbranch_vccnz .LBB179_100
.LBB179_14:                             ; =>This Loop Header: Depth=1
                                        ;     Child Loop BB179_27 Depth 2
                                        ;       Child Loop BB179_40 Depth 3
                                        ;         Child Loop BB179_49 Depth 4
                                        ;         Child Loop BB179_54 Depth 4
                                        ;     Child Loop BB179_65 Depth 2
                                        ;     Child Loop BB179_74 Depth 2
                                        ;     Child Loop BB179_97 Depth 2
	s_and_saveexec_b32 s14, s0
	s_cbranch_execz .LBB179_16
; %bb.15:                               ;   in Loop: Header=BB179_14 Depth=1
	ds_store_b32 v36, v2
.LBB179_16:                             ;   in Loop: Header=BB179_14 Depth=1
	s_or_b32 exec_lo, exec_lo, s14
	ds_store_2addr_stride64_b32 v27, v2, v2 offset1:4
	ds_store_2addr_stride64_b32 v27, v2, v2 offset0:8 offset1:12
	ds_store_b32 v27, v2 offset:4096
	s_and_saveexec_b32 s14, s11
	s_delay_alu instid0(SALU_CYCLE_1)
	s_xor_b32 s14, exec_lo, s14
	s_cbranch_execz .LBB179_22
; %bb.17:                               ;   in Loop: Header=BB179_14 Depth=1
	ds_store_b32 v27, v2 offset:5120
	s_and_saveexec_b32 s15, s12
	s_delay_alu instid0(SALU_CYCLE_1)
	s_xor_b32 s15, exec_lo, s15
	s_cbranch_execz .LBB179_21
; %bb.18:                               ;   in Loop: Header=BB179_14 Depth=1
	;; [unrolled: 6-line block ×3, first 2 shown]
	ds_store_b32 v27, v2 offset:7168
.LBB179_20:                             ;   in Loop: Header=BB179_14 Depth=1
	s_or_b32 exec_lo, exec_lo, s16
.LBB179_21:                             ;   in Loop: Header=BB179_14 Depth=1
	s_delay_alu instid0(SALU_CYCLE_1)
	s_or_b32 exec_lo, exec_lo, s15
.LBB179_22:                             ;   in Loop: Header=BB179_14 Depth=1
	s_delay_alu instid0(SALU_CYCLE_1)
	s_or_b32 exec_lo, exec_lo, s14
	s_and_saveexec_b32 s14, s1
	s_cbranch_execz .LBB179_24
; %bb.23:                               ;   in Loop: Header=BB179_14 Depth=1
	v_mov_b32_e32 v9, s41
	ds_store_b32 v2, v9 offset:9728
.LBB179_24:                             ;   in Loop: Header=BB179_14 Depth=1
	s_or_b32 exec_lo, exec_lo, s14
	v_mov_b32_e32 v53, s41
	s_and_not1_b32 vcc_lo, exec_lo, s60
	s_waitcnt lgkmcnt(0)
	s_barrier
	buffer_gl0_inv
	s_cbranch_vccnz .LBB179_60
; %bb.25:                               ;   in Loop: Header=BB179_14 Depth=1
	v_cmp_ne_u32_e64 s14, 0, v51
	v_mov_b32_e32 v53, s41
	s_mov_b64 s[20:21], s[34:35]
	s_branch .LBB179_27
.LBB179_26:                             ;   in Loop: Header=BB179_27 Depth=2
	s_or_b32 exec_lo, exec_lo, s16
	s_add_u32 s20, s20, 16
	s_addc_u32 s21, s21, 0
	s_delay_alu instid0(SALU_CYCLE_1) | instskip(NEXT) | instid1(VALU_DEP_1)
	v_cmp_lt_i64_e64 s15, s[20:21], s[48:49]
	s_and_b32 vcc_lo, exec_lo, s15
	s_cbranch_vccz .LBB179_60
.LBB179_27:                             ;   Parent Loop BB179_14 Depth=1
                                        ; =>  This Loop Header: Depth=2
                                        ;       Child Loop BB179_40 Depth 3
                                        ;         Child Loop BB179_49 Depth 4
                                        ;         Child Loop BB179_54 Depth 4
	v_add_co_u32 v9, s15, s20, v25
	s_delay_alu instid0(VALU_DEP_1) | instskip(NEXT) | instid1(VALU_DEP_1)
	v_add_co_ci_u32_e64 v10, null, s21, 0, s15
	s_waitcnt_vscnt null, 0x0
	s_barrier
	buffer_gl0_inv
	v_cmp_gt_i64_e64 s15, s[48:49], v[9:10]
	s_delay_alu instid0(VALU_DEP_1)
	s_and_saveexec_b32 s16, s15
	s_cbranch_execz .LBB179_31
; %bb.28:                               ;   in Loop: Header=BB179_27 Depth=2
	v_mov_b32_e32 v11, 0
	s_and_saveexec_b32 s17, s2
	s_cbranch_execz .LBB179_30
; %bb.29:                               ;   in Loop: Header=BB179_27 Depth=2
	v_mad_u64_u32 v[11:12], null, v9, s52, 0
	s_delay_alu instid0(VALU_DEP_1) | instskip(NEXT) | instid1(VALU_DEP_1)
	v_mad_u64_u32 v[13:14], null, v10, s52, v[12:13]
	v_mov_b32_e32 v12, v13
	s_delay_alu instid0(VALU_DEP_1) | instskip(NEXT) | instid1(VALU_DEP_1)
	v_lshlrev_b64 v[11:12], 2, v[11:12]
	v_add_co_u32 v11, vcc_lo, v30, v11
	s_delay_alu instid0(VALU_DEP_2)
	v_add_co_ci_u32_e32 v12, vcc_lo, v31, v12, vcc_lo
	global_load_b32 v11, v[11:12], off
.LBB179_30:                             ;   in Loop: Header=BB179_27 Depth=2
	s_or_b32 exec_lo, exec_lo, s17
	s_waitcnt vmcnt(0)
	ds_store_b32 v29, v11
.LBB179_31:                             ;   in Loop: Header=BB179_27 Depth=2
	s_or_b32 exec_lo, exec_lo, s16
	v_mov_b32_e32 v11, 0
	v_mov_b32_e32 v12, 0
	s_waitcnt lgkmcnt(0)
	s_barrier
	buffer_gl0_inv
	s_and_saveexec_b32 s17, s15
	s_cbranch_execz .LBB179_57
; %bb.32:                               ;   in Loop: Header=BB179_27 Depth=2
	v_lshlrev_b64 v[11:12], 2, v[9:10]
	s_delay_alu instid0(VALU_DEP_1) | instskip(NEXT) | instid1(VALU_DEP_2)
	v_add_co_u32 v11, vcc_lo, s24, v11
	v_add_co_ci_u32_e32 v12, vcc_lo, s25, v12, vcc_lo
	s_and_b32 vcc_lo, exec_lo, s14
	global_load_b32 v11, v[11:12], off
	s_waitcnt vmcnt(0)
	v_subrev_nc_u32_e32 v13, s36, v11
	s_delay_alu instid0(VALU_DEP_1)
	v_ashrrev_i32_e32 v14, 31, v13
	s_cbranch_vccz .LBB179_59
; %bb.33:                               ;   in Loop: Header=BB179_27 Depth=2
	v_lshlrev_b64 v[11:12], 3, v[9:10]
	s_delay_alu instid0(VALU_DEP_1) | instskip(NEXT) | instid1(VALU_DEP_2)
	v_add_co_u32 v11, vcc_lo, s50, v11
	v_add_co_ci_u32_e32 v12, vcc_lo, s51, v12, vcc_lo
	global_load_b64 v[11:12], v[11:12], off
	s_cbranch_execnz .LBB179_35
.LBB179_34:                             ;   in Loop: Header=BB179_27 Depth=2
	s_waitcnt vmcnt(0)
	s_delay_alu instid0(VALU_DEP_1) | instskip(NEXT) | instid1(VALU_DEP_1)
	v_lshlrev_b64 v[11:12], 3, v[13:14]
	v_add_co_u32 v11, vcc_lo, s28, v11
	s_delay_alu instid0(VALU_DEP_2)
	v_add_co_ci_u32_e32 v12, vcc_lo, s29, v12, vcc_lo
	global_load_b64 v[11:12], v[11:12], off
	s_waitcnt vmcnt(0)
	v_sub_co_u32 v11, vcc_lo, v11, s56
	v_subrev_co_ci_u32_e32 v12, vcc_lo, 0, v12, vcc_lo
.LBB179_35:                             ;   in Loop: Header=BB179_27 Depth=2
	v_lshlrev_b64 v[13:14], 3, v[13:14]
	s_mov_b32 s22, exec_lo
	s_delay_alu instid0(VALU_DEP_1) | instskip(NEXT) | instid1(VALU_DEP_2)
	v_add_co_u32 v13, vcc_lo, s61, v13
	v_add_co_ci_u32_e32 v14, vcc_lo, s62, v14, vcc_lo
	global_load_b64 v[13:14], v[13:14], off
	s_waitcnt vmcnt(0)
	v_sub_co_u32 v13, vcc_lo, v13, s56
	v_subrev_co_ci_u32_e32 v14, vcc_lo, 0, v14, vcc_lo
	s_delay_alu instid0(VALU_DEP_1)
	v_cmpx_lt_i64_e64 v[11:12], v[13:14]
	s_cbranch_execz .LBB179_56
; %bb.36:                               ;   in Loop: Header=BB179_27 Depth=2
	v_mad_u64_u32 v[15:16], null, s44, v11, v[0:1]
	v_mul_lo_u32 v19, s44, v12
	v_mul_lo_u32 v20, s45, v11
	v_mad_u64_u32 v[17:18], null, s44, v11, v[5:6]
	s_mov_b32 s23, 0
	s_delay_alu instid0(VALU_DEP_2) | instskip(NEXT) | instid1(VALU_DEP_2)
	v_add3_u32 v16, v20, v16, v19
	v_add3_u32 v18, v20, v18, v19
	v_dual_mov_b32 v20, v12 :: v_dual_mov_b32 v19, v11
	s_branch .LBB179_40
.LBB179_37:                             ;   in Loop: Header=BB179_40 Depth=3
	s_delay_alu instid0(VALU_DEP_1) | instskip(NEXT) | instid1(VALU_DEP_1)
	v_dual_mul_f32 v22, v23, v55 :: v_dual_lshlrev_b32 v21, 4, v54
	v_or3_b32 v21, v21, v28, v26
	s_delay_alu instid0(VALU_DEP_1)
	v_lshlrev_b32_e32 v21, 2, v21
	ds_add_f32 v21, v22
.LBB179_38:                             ;   in Loop: Header=BB179_40 Depth=3
	s_or_b32 exec_lo, exec_lo, s65
	s_delay_alu instid0(SALU_CYCLE_1)
	s_or_b32 s43, s43, exec_lo
.LBB179_39:                             ;   in Loop: Header=BB179_40 Depth=3
	s_or_b32 exec_lo, exec_lo, s53
	v_add_co_u32 v11, vcc_lo, v11, 1
	v_add_co_ci_u32_e32 v12, vcc_lo, 0, v12, vcc_lo
	v_add_co_u32 v15, s16, v15, s44
	s_xor_b32 s43, s43, -1
	s_delay_alu instid0(VALU_DEP_2)
	v_cmp_ge_i64_e32 vcc_lo, v[11:12], v[13:14]
	v_add_co_ci_u32_e64 v16, s16, s45, v16, s16
	s_or_b32 s16, s43, vcc_lo
	v_add_co_u32 v17, vcc_lo, v17, s44
	v_add_co_ci_u32_e32 v18, vcc_lo, s45, v18, vcc_lo
	s_and_b32 s16, exec_lo, s16
	s_delay_alu instid0(SALU_CYCLE_1) | instskip(NEXT) | instid1(SALU_CYCLE_1)
	s_or_b32 s23, s16, s23
	s_and_not1_b32 exec_lo, exec_lo, s23
	s_cbranch_execz .LBB179_55
.LBB179_40:                             ;   Parent Loop BB179_14 Depth=1
                                        ;     Parent Loop BB179_27 Depth=2
                                        ; =>    This Loop Header: Depth=3
                                        ;         Child Loop BB179_49 Depth 4
                                        ;         Child Loop BB179_54 Depth 4
	v_lshlrev_b64 v[21:22], 2, v[11:12]
                                        ; implicit-def: $sgpr43
	s_delay_alu instid0(VALU_DEP_1) | instskip(NEXT) | instid1(VALU_DEP_2)
	v_add_co_u32 v21, vcc_lo, s30, v21
	v_add_co_ci_u32_e32 v22, vcc_lo, s31, v22, vcc_lo
	global_load_b32 v21, v[21:22], off
	s_waitcnt vmcnt(0)
	v_subrev_nc_u32_e32 v21, s37, v21
	s_delay_alu instid0(VALU_DEP_1) | instskip(SKIP_1) | instid1(VALU_DEP_2)
	v_cmp_lt_i32_e64 s16, v21, v51
	v_cmp_ge_i32_e32 vcc_lo, v21, v52
	s_or_b32 s16, s16, vcc_lo
	s_delay_alu instid0(SALU_CYCLE_1) | instskip(NEXT) | instid1(SALU_CYCLE_1)
	s_and_saveexec_b32 s53, s16
	s_xor_b32 s16, exec_lo, s53
	s_cbranch_execz .LBB179_44
; %bb.41:                               ;   in Loop: Header=BB179_40 Depth=3
	s_mov_b32 s43, -1
	s_and_saveexec_b32 s53, vcc_lo
; %bb.42:                               ;   in Loop: Header=BB179_40 Depth=3
	v_min_i32_e32 v53, v21, v53
	v_dual_mov_b32 v20, v12 :: v_dual_mov_b32 v19, v11
	s_xor_b32 s43, exec_lo, -1
; %bb.43:                               ;   in Loop: Header=BB179_40 Depth=3
	s_or_b32 exec_lo, exec_lo, s53
	s_delay_alu instid0(SALU_CYCLE_1)
	s_and_b32 s43, s43, exec_lo
                                        ; implicit-def: $vgpr21
.LBB179_44:                             ;   in Loop: Header=BB179_40 Depth=3
	s_and_not1_saveexec_b32 s53, s16
	s_cbranch_execz .LBB179_39
; %bb.45:                               ;   in Loop: Header=BB179_40 Depth=3
	v_sub_nc_u32_e32 v54, v21, v51
	s_delay_alu instid0(VALU_DEP_1)
	v_lshlrev_b32_e32 v21, 2, v54
	ds_store_b32 v21, v50 offset:9216
	s_and_saveexec_b32 s65, s2
	s_cbranch_execz .LBB179_38
; %bb.46:                               ;   in Loop: Header=BB179_40 Depth=3
	v_cndmask_b32_e64 v21, 0, 1, s57
	s_and_not1_b32 vcc_lo, exec_lo, s40
	s_delay_alu instid0(VALU_DEP_1)
	v_cmp_ne_u32_e64 s16, 1, v21
	s_cbranch_vccnz .LBB179_51
; %bb.47:                               ;   in Loop: Header=BB179_40 Depth=3
	v_mov_b32_e32 v55, 0
	s_delay_alu instid0(VALU_DEP_2)
	s_and_b32 vcc_lo, exec_lo, s16
	s_cbranch_vccnz .LBB179_50
; %bb.48:                               ;   in Loop: Header=BB179_40 Depth=3
	v_dual_mov_b32 v22, v16 :: v_dual_mov_b32 v21, v15
	v_mov_b32_e32 v56, v45
	s_mov_b32 s16, s42
.LBB179_49:                             ;   Parent Loop BB179_14 Depth=1
                                        ;     Parent Loop BB179_27 Depth=2
                                        ;       Parent Loop BB179_40 Depth=3
                                        ; =>      This Inner Loop Header: Depth=4
	global_load_b32 v57, v[21:22], off
	ds_load_b32 v58, v56
	v_add_co_u32 v21, vcc_lo, v21, 4
	v_add_nc_u32_e32 v56, 16, v56
	v_add_co_ci_u32_e32 v22, vcc_lo, 0, v22, vcc_lo
	s_add_i32 s16, s16, -1
	s_delay_alu instid0(SALU_CYCLE_1)
	s_cmp_lg_u32 s16, 0
	s_waitcnt vmcnt(0) lgkmcnt(0)
	v_fmac_f32_e32 v55, v58, v57
	s_cbranch_scc1 .LBB179_49
.LBB179_50:                             ;   in Loop: Header=BB179_40 Depth=3
	s_cbranch_execnz .LBB179_37
	s_branch .LBB179_52
.LBB179_51:                             ;   in Loop: Header=BB179_40 Depth=3
                                        ; implicit-def: $vgpr55
.LBB179_52:                             ;   in Loop: Header=BB179_40 Depth=3
	v_mov_b32_e32 v55, 0
	s_and_not1_b32 vcc_lo, exec_lo, s57
	s_cbranch_vccnz .LBB179_37
; %bb.53:                               ;   in Loop: Header=BB179_40 Depth=3
	v_mov_b32_e32 v22, v18
	v_dual_mov_b32 v56, v46 :: v_dual_mov_b32 v21, v17
	s_mov_b32 s16, s42
.LBB179_54:                             ;   Parent Loop BB179_14 Depth=1
                                        ;     Parent Loop BB179_27 Depth=2
                                        ;       Parent Loop BB179_40 Depth=3
                                        ; =>      This Inner Loop Header: Depth=4
	global_load_b32 v57, v[21:22], off
	ds_load_b32 v58, v56
	v_add_co_u32 v21, vcc_lo, v21, s46
	v_add_co_ci_u32_e32 v22, vcc_lo, s47, v22, vcc_lo
	v_add_nc_u32_e32 v56, 4, v56
	s_add_i32 s16, s16, -1
	s_delay_alu instid0(SALU_CYCLE_1)
	s_cmp_eq_u32 s16, 0
	s_waitcnt vmcnt(0) lgkmcnt(0)
	v_fmac_f32_e32 v55, v58, v57
	s_cbranch_scc0 .LBB179_54
	s_branch .LBB179_37
.LBB179_55:                             ;   in Loop: Header=BB179_27 Depth=2
	s_or_b32 exec_lo, exec_lo, s23
	v_dual_mov_b32 v11, v19 :: v_dual_mov_b32 v12, v20
.LBB179_56:                             ;   in Loop: Header=BB179_27 Depth=2
	s_or_b32 exec_lo, exec_lo, s22
.LBB179_57:                             ;   in Loop: Header=BB179_27 Depth=2
	s_delay_alu instid0(SALU_CYCLE_1)
	s_or_b32 exec_lo, exec_lo, s17
	s_waitcnt lgkmcnt(0)
	s_barrier
	buffer_gl0_inv
	s_and_saveexec_b32 s16, s15
	s_cbranch_execz .LBB179_26
; %bb.58:                               ;   in Loop: Header=BB179_27 Depth=2
	v_lshlrev_b64 v[9:10], 3, v[9:10]
	s_delay_alu instid0(VALU_DEP_1) | instskip(NEXT) | instid1(VALU_DEP_2)
	v_add_co_u32 v9, vcc_lo, s50, v9
	v_add_co_ci_u32_e32 v10, vcc_lo, s51, v10, vcc_lo
	global_store_b64 v[9:10], v[11:12], off
	s_branch .LBB179_26
.LBB179_59:                             ;   in Loop: Header=BB179_27 Depth=2
                                        ; implicit-def: $vgpr11_vgpr12
	s_branch .LBB179_34
.LBB179_60:                             ;   in Loop: Header=BB179_14 Depth=1
	s_and_not1_b32 vcc_lo, exec_lo, s33
	s_cbranch_vccnz .LBB179_72
; %bb.61:                               ;   in Loop: Header=BB179_14 Depth=1
	s_load_b128 s[20:23], s[26:27], 0x0
	s_waitcnt lgkmcnt(0)
	v_add_co_u32 v11, vcc_lo, s20, v32
	v_add_co_ci_u32_e32 v12, vcc_lo, s21, v33, vcc_lo
	s_sub_u32 s16, s22, s58
	s_subb_u32 s17, s23, 0
	s_mov_b32 s22, exec_lo
	s_delay_alu instid0(VALU_DEP_1)
	v_cmpx_gt_i64_e64 s[16:17], v[11:12]
	s_cbranch_execz .LBB179_71
; %bb.62:                               ;   in Loop: Header=BB179_14 Depth=1
	v_lshlrev_b64 v[13:14], 2, v[11:12]
	v_mad_u64_u32 v[9:10], null, s44, v11, v[3:4]
	v_mul_lo_u32 v15, s44, v12
	v_mul_lo_u32 v16, s45, v11
	s_delay_alu instid0(VALU_DEP_4) | instskip(SKIP_2) | instid1(VALU_DEP_4)
	v_add_co_u32 v11, vcc_lo, s18, v13
	v_add_co_ci_u32_e32 v12, vcc_lo, s19, v14, vcc_lo
	v_add_co_u32 v13, vcc_lo, v47, s20
	v_add3_u32 v10, v16, v10, v15
	v_add_co_ci_u32_e32 v14, vcc_lo, s21, v48, vcc_lo
	s_mov_b32 s20, 0
	s_branch .LBB179_65
.LBB179_63:                             ;   in Loop: Header=BB179_65 Depth=2
	s_or_b32 exec_lo, exec_lo, s21
	s_delay_alu instid0(SALU_CYCLE_1)
	s_or_b32 s14, s14, exec_lo
.LBB179_64:                             ;   in Loop: Header=BB179_65 Depth=2
	s_or_b32 exec_lo, exec_lo, s15
	v_cmp_le_i64_e32 vcc_lo, s[16:17], v[13:14]
	s_xor_b32 s15, s14, -1
	v_add_co_u32 v11, s14, v11, 64
	s_delay_alu instid0(VALU_DEP_1)
	v_add_co_ci_u32_e64 v12, s14, 0, v12, s14
	s_or_b32 s14, s15, vcc_lo
	v_add_co_u32 v9, vcc_lo, v9, s54
	v_add_co_ci_u32_e32 v10, vcc_lo, s55, v10, vcc_lo
	v_add_co_u32 v13, vcc_lo, v13, 16
	v_add_co_ci_u32_e32 v14, vcc_lo, 0, v14, vcc_lo
	s_and_b32 s14, exec_lo, s14
	s_delay_alu instid0(SALU_CYCLE_1) | instskip(NEXT) | instid1(SALU_CYCLE_1)
	s_or_b32 s20, s14, s20
	s_and_not1_b32 exec_lo, exec_lo, s20
	s_cbranch_execz .LBB179_70
.LBB179_65:                             ;   Parent Loop BB179_14 Depth=1
                                        ; =>  This Inner Loop Header: Depth=2
	global_load_b32 v15, v[11:12], off
	s_waitcnt vmcnt(0)
	v_subrev_nc_u32_e32 v15, s39, v15
	s_delay_alu instid0(VALU_DEP_1) | instskip(SKIP_2) | instid1(VALU_DEP_2)
	v_cmp_lt_i32_e64 s14, v15, v51
	v_cmp_ge_i32_e64 s15, v15, v52
	v_cmp_lt_i32_e32 vcc_lo, v15, v52
	s_or_b32 s15, s14, s15
                                        ; implicit-def: $sgpr14
	s_delay_alu instid0(SALU_CYCLE_1) | instskip(NEXT) | instid1(SALU_CYCLE_1)
	s_and_saveexec_b32 s21, s15
	s_xor_b32 s15, exec_lo, s21
; %bb.66:                               ;   in Loop: Header=BB179_65 Depth=2
	v_min_i32_e32 v15, v15, v53
	s_and_b32 s14, vcc_lo, exec_lo
	s_delay_alu instid0(VALU_DEP_1)
	v_cndmask_b32_e32 v53, v15, v53, vcc_lo
                                        ; implicit-def: $vgpr15
; %bb.67:                               ;   in Loop: Header=BB179_65 Depth=2
	s_and_not1_saveexec_b32 s15, s15
	s_cbranch_execz .LBB179_64
; %bb.68:                               ;   in Loop: Header=BB179_65 Depth=2
	v_sub_nc_u32_e32 v15, v15, v51
	s_delay_alu instid0(VALU_DEP_1)
	v_lshlrev_b32_e32 v16, 2, v15
	ds_store_b32 v16, v50 offset:9216
	s_and_saveexec_b32 s21, s2
	s_cbranch_execz .LBB179_63
; %bb.69:                               ;   in Loop: Header=BB179_65 Depth=2
	global_load_b32 v16, v[9:10], off
	s_waitcnt vmcnt(0)
	v_dual_mul_f32 v16, v24, v16 :: v_dual_lshlrev_b32 v15, 4, v15
	s_delay_alu instid0(VALU_DEP_1) | instskip(NEXT) | instid1(VALU_DEP_1)
	v_or3_b32 v15, v15, v28, v26
	v_lshlrev_b32_e32 v15, 2, v15
	ds_add_f32 v15, v16
	s_branch .LBB179_63
.LBB179_70:                             ;   in Loop: Header=BB179_14 Depth=1
	s_or_b32 exec_lo, exec_lo, s20
.LBB179_71:                             ;   in Loop: Header=BB179_14 Depth=1
	s_delay_alu instid0(SALU_CYCLE_1)
	s_or_b32 exec_lo, exec_lo, s22
.LBB179_72:                             ;   in Loop: Header=BB179_14 Depth=1
	s_and_saveexec_b32 s14, s3
	s_cbranch_execz .LBB179_77
; %bb.73:                               ;   in Loop: Header=BB179_14 Depth=1
	s_mov_b32 s16, exec_lo
	s_brev_b32 s15, -2
.LBB179_74:                             ;   Parent Loop BB179_14 Depth=1
                                        ; =>  This Inner Loop Header: Depth=2
	s_ctz_i32_b32 s17, s16
	s_delay_alu instid0(SALU_CYCLE_1) | instskip(SKIP_1) | instid1(SALU_CYCLE_1)
	v_readlane_b32 s20, v53, s17
	s_lshl_b32 s17, 1, s17
	s_and_not1_b32 s16, s16, s17
	s_delay_alu instid0(VALU_DEP_1)
	s_min_i32 s15, s15, s20
	s_cmp_lg_u32 s16, 0
	s_cbranch_scc1 .LBB179_74
; %bb.75:                               ;   in Loop: Header=BB179_14 Depth=1
	v_mbcnt_lo_u32_b32 v9, exec_lo, 0
	s_mov_b32 s16, exec_lo
	s_delay_alu instid0(VALU_DEP_1)
	v_cmpx_eq_u32_e32 0, v9
	s_xor_b32 s16, exec_lo, s16
	s_cbranch_execz .LBB179_77
; %bb.76:                               ;   in Loop: Header=BB179_14 Depth=1
	v_mov_b32_e32 v9, s15
	ds_min_i32 v2, v9 offset:9728
.LBB179_77:                             ;   in Loop: Header=BB179_14 Depth=1
	s_or_b32 exec_lo, exec_lo, s14
	s_waitcnt lgkmcnt(0)
	s_waitcnt_vscnt null, 0x0
	s_barrier
	buffer_gl0_inv
	ds_load_b32 v9, v34
	s_waitcnt lgkmcnt(0)
	s_barrier
	buffer_gl0_inv
	s_and_saveexec_b32 s14, s4
	s_cbranch_execz .LBB179_79
; %bb.78:                               ;   in Loop: Header=BB179_14 Depth=1
	ds_load_b32 v10, v35
	s_waitcnt lgkmcnt(0)
	v_add_nc_u32_e32 v9, v10, v9
.LBB179_79:                             ;   in Loop: Header=BB179_14 Depth=1
	s_or_b32 exec_lo, exec_lo, s14
	s_barrier
	buffer_gl0_inv
	ds_store_b32 v34, v9
	s_waitcnt lgkmcnt(0)
	s_barrier
	buffer_gl0_inv
	s_and_saveexec_b32 s14, s5
	s_cbranch_execz .LBB179_81
; %bb.80:                               ;   in Loop: Header=BB179_14 Depth=1
	ds_load_b32 v10, v37
	s_waitcnt lgkmcnt(0)
	v_add_nc_u32_e32 v9, v10, v9
.LBB179_81:                             ;   in Loop: Header=BB179_14 Depth=1
	s_or_b32 exec_lo, exec_lo, s14
	s_barrier
	buffer_gl0_inv
	ds_store_b32 v34, v9
	;; [unrolled: 14-line block ×7, first 2 shown]
	s_waitcnt lgkmcnt(0)
	s_barrier
	buffer_gl0_inv
	ds_load_b32 v10, v2 offset:9724
	v_mov_b32_e32 v11, 0
	s_and_saveexec_b32 s14, s59
	s_cbranch_execz .LBB179_93
; %bb.92:                               ;   in Loop: Header=BB179_14 Depth=1
	ds_load_b32 v11, v35
.LBB179_93:                             ;   in Loop: Header=BB179_14 Depth=1
	s_or_b32 exec_lo, exec_lo, s14
	s_waitcnt lgkmcnt(0)
	v_cmp_eq_u32_e32 vcc_lo, v9, v11
	s_barrier
	buffer_gl0_inv
	s_and_b32 s15, s59, vcc_lo
	s_delay_alu instid0(SALU_CYCLE_1)
	s_and_saveexec_b32 s14, s15
	s_cbranch_execz .LBB179_95
; %bb.94:                               ;   in Loop: Header=BB179_14 Depth=1
	ds_store_b32 v34, v2
.LBB179_95:                             ;   in Loop: Header=BB179_14 Depth=1
	s_or_b32 exec_lo, exec_lo, s14
	v_add_co_u32 v9, vcc_lo, v7, -1
	v_add_co_ci_u32_e32 v11, vcc_lo, -1, v8, vcc_lo
	v_dual_mov_b32 v13, v49 :: v_dual_add_nc_u32 v12, s38, v51
	v_dual_mov_b32 v14, v27 :: v_dual_mov_b32 v15, v25
	s_mov_b32 s14, 0
	s_waitcnt lgkmcnt(0)
	s_barrier
	buffer_gl0_inv
	s_set_inst_prefetch_distance 0x1
	s_branch .LBB179_97
	.p2align	6
.LBB179_96:                             ;   in Loop: Header=BB179_97 Depth=2
	s_or_b32 exec_lo, exec_lo, s15
	v_add_nc_u32_e32 v16, 16, v15
	v_cmp_lt_u32_e32 vcc_lo, 0x6f, v15
	v_add_nc_u32_e32 v14, 0x400, v14
	v_add_nc_u32_e32 v13, 64, v13
	s_delay_alu instid0(VALU_DEP_4) | instskip(SKIP_1) | instid1(SALU_CYCLE_1)
	v_mov_b32_e32 v15, v16
	s_or_b32 s14, vcc_lo, s14
	s_and_not1_b32 exec_lo, exec_lo, s14
	s_cbranch_execz .LBB179_13
.LBB179_97:                             ;   Parent Loop BB179_14 Depth=1
                                        ; =>  This Inner Loop Header: Depth=2
	ds_load_b32 v16, v13
	s_mov_b32 s15, exec_lo
	s_waitcnt lgkmcnt(0)
	v_cmpx_ne_u32_e32 0, v16
	s_cbranch_execz .LBB179_96
; %bb.98:                               ;   in Loop: Header=BB179_97 Depth=2
	v_ashrrev_i32_e32 v17, 31, v16
	v_add_co_u32 v18, vcc_lo, v7, v16
	v_add_nc_u32_e32 v20, v12, v15
	s_delay_alu instid0(VALU_DEP_3) | instskip(NEXT) | instid1(VALU_DEP_1)
	v_add_co_ci_u32_e32 v19, vcc_lo, v8, v17, vcc_lo
	v_lshlrev_b64 v[18:19], 2, v[18:19]
	s_delay_alu instid0(VALU_DEP_1) | instskip(NEXT) | instid1(VALU_DEP_2)
	v_add_co_u32 v18, vcc_lo, s63, v18
	v_add_co_ci_u32_e32 v19, vcc_lo, s64, v19, vcc_lo
	global_store_b32 v[18:19], v20, off
	s_and_b32 exec_lo, exec_lo, s2
	s_cbranch_execz .LBB179_96
; %bb.99:                               ;   in Loop: Header=BB179_97 Depth=2
	v_add_co_u32 v18, vcc_lo, v9, v16
	v_add_co_ci_u32_e32 v20, vcc_lo, v11, v17, vcc_lo
	s_delay_alu instid0(VALU_DEP_2) | instskip(NEXT) | instid1(VALU_DEP_1)
	v_mad_u64_u32 v[16:17], null, v18, s52, 0
	v_mad_u64_u32 v[18:19], null, v20, s52, v[17:18]
	ds_load_b32 v19, v14
	v_mov_b32_e32 v17, v18
	s_delay_alu instid0(VALU_DEP_1) | instskip(NEXT) | instid1(VALU_DEP_1)
	v_lshlrev_b64 v[16:17], 2, v[16:17]
	v_add_co_u32 v16, vcc_lo, v44, v16
	s_delay_alu instid0(VALU_DEP_2)
	v_add_co_ci_u32_e32 v17, vcc_lo, v43, v17, vcc_lo
	s_waitcnt lgkmcnt(0)
	global_store_b32 v[16:17], v19, off
	s_branch .LBB179_96
.LBB179_100:
	s_endpgm
	.section	.rodata,"a",@progbits
	.p2align	6, 0x0
	.amdhsa_kernel _ZN9rocsparseL38bsrgemm_block_per_row_atomic_multipassILj256ELj128ELj4ElifEEv20rocsparse_direction_T3_S2_PKS2_S4_NS_24const_host_device_scalarIT4_EEPKT2_S4_PKS6_SA_S4_SC_S7_SA_S4_SC_SA_PS2_PS6_PS8_21rocsparse_index_base_SG_SG_SG_bbb
		.amdhsa_group_segment_fixed_size 9732
		.amdhsa_private_segment_fixed_size 0
		.amdhsa_kernarg_size 172
		.amdhsa_user_sgpr_count 15
		.amdhsa_user_sgpr_dispatch_ptr 0
		.amdhsa_user_sgpr_queue_ptr 0
		.amdhsa_user_sgpr_kernarg_segment_ptr 1
		.amdhsa_user_sgpr_dispatch_id 0
		.amdhsa_user_sgpr_private_segment_size 0
		.amdhsa_wavefront_size32 1
		.amdhsa_uses_dynamic_stack 0
		.amdhsa_enable_private_segment 0
		.amdhsa_system_sgpr_workgroup_id_x 1
		.amdhsa_system_sgpr_workgroup_id_y 0
		.amdhsa_system_sgpr_workgroup_id_z 0
		.amdhsa_system_sgpr_workgroup_info 0
		.amdhsa_system_vgpr_workitem_id 0
		.amdhsa_next_free_vgpr 59
		.amdhsa_next_free_sgpr 66
		.amdhsa_reserve_vcc 1
		.amdhsa_float_round_mode_32 0
		.amdhsa_float_round_mode_16_64 0
		.amdhsa_float_denorm_mode_32 3
		.amdhsa_float_denorm_mode_16_64 3
		.amdhsa_dx10_clamp 1
		.amdhsa_ieee_mode 1
		.amdhsa_fp16_overflow 0
		.amdhsa_workgroup_processor_mode 1
		.amdhsa_memory_ordered 1
		.amdhsa_forward_progress 0
		.amdhsa_shared_vgpr_count 0
		.amdhsa_exception_fp_ieee_invalid_op 0
		.amdhsa_exception_fp_denorm_src 0
		.amdhsa_exception_fp_ieee_div_zero 0
		.amdhsa_exception_fp_ieee_overflow 0
		.amdhsa_exception_fp_ieee_underflow 0
		.amdhsa_exception_fp_ieee_inexact 0
		.amdhsa_exception_int_div_zero 0
	.end_amdhsa_kernel
	.section	.text._ZN9rocsparseL38bsrgemm_block_per_row_atomic_multipassILj256ELj128ELj4ElifEEv20rocsparse_direction_T3_S2_PKS2_S4_NS_24const_host_device_scalarIT4_EEPKT2_S4_PKS6_SA_S4_SC_S7_SA_S4_SC_SA_PS2_PS6_PS8_21rocsparse_index_base_SG_SG_SG_bbb,"axG",@progbits,_ZN9rocsparseL38bsrgemm_block_per_row_atomic_multipassILj256ELj128ELj4ElifEEv20rocsparse_direction_T3_S2_PKS2_S4_NS_24const_host_device_scalarIT4_EEPKT2_S4_PKS6_SA_S4_SC_S7_SA_S4_SC_SA_PS2_PS6_PS8_21rocsparse_index_base_SG_SG_SG_bbb,comdat
.Lfunc_end179:
	.size	_ZN9rocsparseL38bsrgemm_block_per_row_atomic_multipassILj256ELj128ELj4ElifEEv20rocsparse_direction_T3_S2_PKS2_S4_NS_24const_host_device_scalarIT4_EEPKT2_S4_PKS6_SA_S4_SC_S7_SA_S4_SC_SA_PS2_PS6_PS8_21rocsparse_index_base_SG_SG_SG_bbb, .Lfunc_end179-_ZN9rocsparseL38bsrgemm_block_per_row_atomic_multipassILj256ELj128ELj4ElifEEv20rocsparse_direction_T3_S2_PKS2_S4_NS_24const_host_device_scalarIT4_EEPKT2_S4_PKS6_SA_S4_SC_S7_SA_S4_SC_SA_PS2_PS6_PS8_21rocsparse_index_base_SG_SG_SG_bbb
                                        ; -- End function
	.section	.AMDGPU.csdata,"",@progbits
; Kernel info:
; codeLenInByte = 3944
; NumSgprs: 68
; NumVgprs: 59
; ScratchSize: 0
; MemoryBound: 0
; FloatMode: 240
; IeeeMode: 1
; LDSByteSize: 9732 bytes/workgroup (compile time only)
; SGPRBlocks: 8
; VGPRBlocks: 7
; NumSGPRsForWavesPerEU: 68
; NumVGPRsForWavesPerEU: 59
; Occupancy: 16
; WaveLimiterHint : 1
; COMPUTE_PGM_RSRC2:SCRATCH_EN: 0
; COMPUTE_PGM_RSRC2:USER_SGPR: 15
; COMPUTE_PGM_RSRC2:TRAP_HANDLER: 0
; COMPUTE_PGM_RSRC2:TGID_X_EN: 1
; COMPUTE_PGM_RSRC2:TGID_Y_EN: 0
; COMPUTE_PGM_RSRC2:TGID_Z_EN: 0
; COMPUTE_PGM_RSRC2:TIDIG_COMP_CNT: 0
	.section	.text._ZN9rocsparseL23bsrgemm_fill_wf_per_rowILj256ELj64ELj8ELj137ELj8ElifEEv20rocsparse_direction_T5_S2_S2_PKS2_S4_NS_24const_host_device_scalarIT6_EEPKT4_S4_PKS6_SA_S4_SC_S7_SA_S4_SC_SA_PS2_PS6_21rocsparse_index_base_SF_SF_SF_bbb,"axG",@progbits,_ZN9rocsparseL23bsrgemm_fill_wf_per_rowILj256ELj64ELj8ELj137ELj8ElifEEv20rocsparse_direction_T5_S2_S2_PKS2_S4_NS_24const_host_device_scalarIT6_EEPKT4_S4_PKS6_SA_S4_SC_S7_SA_S4_SC_SA_PS2_PS6_21rocsparse_index_base_SF_SF_SF_bbb,comdat
	.globl	_ZN9rocsparseL23bsrgemm_fill_wf_per_rowILj256ELj64ELj8ELj137ELj8ElifEEv20rocsparse_direction_T5_S2_S2_PKS2_S4_NS_24const_host_device_scalarIT6_EEPKT4_S4_PKS6_SA_S4_SC_S7_SA_S4_SC_SA_PS2_PS6_21rocsparse_index_base_SF_SF_SF_bbb ; -- Begin function _ZN9rocsparseL23bsrgemm_fill_wf_per_rowILj256ELj64ELj8ELj137ELj8ElifEEv20rocsparse_direction_T5_S2_S2_PKS2_S4_NS_24const_host_device_scalarIT6_EEPKT4_S4_PKS6_SA_S4_SC_S7_SA_S4_SC_SA_PS2_PS6_21rocsparse_index_base_SF_SF_SF_bbb
	.p2align	8
	.type	_ZN9rocsparseL23bsrgemm_fill_wf_per_rowILj256ELj64ELj8ELj137ELj8ElifEEv20rocsparse_direction_T5_S2_S2_PKS2_S4_NS_24const_host_device_scalarIT6_EEPKT4_S4_PKS6_SA_S4_SC_S7_SA_S4_SC_SA_PS2_PS6_21rocsparse_index_base_SF_SF_SF_bbb,@function
_ZN9rocsparseL23bsrgemm_fill_wf_per_rowILj256ELj64ELj8ELj137ELj8ElifEEv20rocsparse_direction_T5_S2_S2_PKS2_S4_NS_24const_host_device_scalarIT6_EEPKT4_S4_PKS6_SA_S4_SC_S7_SA_S4_SC_SA_PS2_PS6_21rocsparse_index_base_SF_SF_SF_bbb: ; @_ZN9rocsparseL23bsrgemm_fill_wf_per_rowILj256ELj64ELj8ELj137ELj8ElifEEv20rocsparse_direction_T5_S2_S2_PKS2_S4_NS_24const_host_device_scalarIT6_EEPKT4_S4_PKS6_SA_S4_SC_S7_SA_S4_SC_SA_PS2_PS6_21rocsparse_index_base_SF_SF_SF_bbb
; %bb.0:
	s_clause 0x2
	s_load_b32 s6, s[0:1], 0xa0
	s_load_b64 s[4:5], s[0:1], 0x20
	s_load_b64 s[2:3], s[0:1], 0x58
	s_waitcnt lgkmcnt(0)
	s_bitcmp1_b32 s6, 0
	s_cselect_b32 s13, -1, 0
	s_bitcmp1_b32 s6, 16
	s_cselect_b32 s7, -1, 0
	s_xor_b32 s8, s13, -1
	s_delay_alu instid0(SALU_CYCLE_1) | instskip(NEXT) | instid1(SALU_CYCLE_1)
	s_or_b32 s8, s8, s7
	s_and_b32 vcc_lo, exec_lo, s8
	s_cbranch_vccnz .LBB180_2
; %bb.1:
	s_load_b32 s4, s[4:5], 0x0
	s_waitcnt lgkmcnt(0)
	v_mov_b32_e32 v34, s4
	s_branch .LBB180_3
.LBB180_2:
	v_cndmask_b32_e64 v34, 0, s4, s13
.LBB180_3:
	s_load_b128 s[36:39], s[0:1], 0x90
	s_bitcmp1_b32 s6, 8
	s_cselect_b32 s12, -1, 0
	s_delay_alu instid0(SALU_CYCLE_1) | instskip(NEXT) | instid1(SALU_CYCLE_1)
	s_xor_b32 s4, s12, -1
	s_or_b32 s4, s4, s7
	s_delay_alu instid0(SALU_CYCLE_1)
	s_and_b32 vcc_lo, exec_lo, s4
	s_cbranch_vccnz .LBB180_5
; %bb.4:
	s_load_b32 s2, s[2:3], 0x0
	s_waitcnt lgkmcnt(0)
	v_mov_b32_e32 v29, s2
	s_branch .LBB180_6
.LBB180_5:
	v_cndmask_b32_e64 v29, 0, s2, s12
.LBB180_6:
	s_clause 0x4
	s_load_b128 s[40:43], s[0:1], 0x80
	s_load_b256 s[16:23], s[0:1], 0x60
	s_load_b128 s[44:47], s[0:1], 0x48
	s_load_b256 s[4:11], s[0:1], 0x0
	s_load_b256 s[24:31], s[0:1], 0x28
	v_lshrrev_b32_e32 v1, 6, v0
	v_and_b32_e32 v33, 63, v0
	s_mov_b32 s0, exec_lo
	s_delay_alu instid0(VALU_DEP_2) | instskip(NEXT) | instid1(VALU_DEP_2)
	v_lshl_or_b32 v27, v1, 5, 0x2000
	v_cmpx_gt_u32_e32 8, v33
	s_cbranch_execz .LBB180_8
; %bb.7:
	s_delay_alu instid0(VALU_DEP_2)
	v_lshl_add_u32 v2, v33, 2, v27
	s_waitcnt lgkmcnt(0)
	v_mov_b32_e32 v3, s6
	ds_store_b32 v2, v3
.LBB180_8:
	s_or_b32 exec_lo, exec_lo, s0
	v_lshlrev_b32_e32 v28, 11, v1
	v_or_b32_e32 v2, 0xffffffc0, v33
	v_mov_b32_e32 v4, 0
	s_mov_b32 s0, 0
	s_delay_alu instid0(VALU_DEP_3)
	v_lshl_or_b32 v3, v33, 2, v28
.LBB180_9:                              ; =>This Inner Loop Header: Depth=1
	s_delay_alu instid0(VALU_DEP_3) | instskip(SKIP_4) | instid1(SALU_CYCLE_1)
	v_add_nc_u32_e32 v2, 64, v2
	ds_store_b32 v3, v4
	v_add_nc_u32_e32 v3, 0x100, v3
	v_cmp_lt_u32_e32 vcc_lo, 0x1bf, v2
	s_or_b32 s0, vcc_lo, s0
	s_and_not1_b32 exec_lo, exec_lo, s0
	s_cbranch_execnz .LBB180_9
; %bb.10:
	s_or_b32 exec_lo, exec_lo, s0
	v_lshl_or_b32 v1, s15, 2, v1
	s_waitcnt lgkmcnt(0)
	s_barrier
	buffer_gl0_inv
	s_mov_b32 s0, exec_lo
	v_cmpx_gt_i32_e64 s5, v1
	s_cbranch_execz .LBB180_66
; %bb.11:
	s_cmp_eq_u64 s[10:11], 0
	s_cbranch_scc1 .LBB180_13
; %bb.12:
	s_load_b32 s0, s[8:9], 0x0
	s_waitcnt lgkmcnt(0)
	v_add_nc_u32_e32 v1, s0, v1
	s_delay_alu instid0(VALU_DEP_1) | instskip(NEXT) | instid1(VALU_DEP_1)
	v_ashrrev_i32_e32 v2, 31, v1
	v_lshlrev_b64 v[1:2], 2, v[1:2]
	s_delay_alu instid0(VALU_DEP_1) | instskip(NEXT) | instid1(VALU_DEP_2)
	v_add_co_u32 v1, vcc_lo, s10, v1
	v_add_co_ci_u32_e32 v2, vcc_lo, s11, v2, vcc_lo
	global_load_b32 v1, v[1:2], off
.LBB180_13:
	s_waitcnt vmcnt(0)
	v_ashrrev_i32_e32 v2, 31, v1
	v_lshlrev_b32_e32 v3, 5, v0
	v_and_b32_e32 v30, 7, v0
	v_lshrrev_b32_e32 v31, 3, v33
	s_and_not1_b32 vcc_lo, exec_lo, s13
	v_lshlrev_b64 v[5:6], 3, v[1:2]
	v_and_b32_e32 v32, 0x1800, v3
	s_mul_i32 s2, s7, s7
	s_cbranch_vccnz .LBB180_43
; %bb.14:
	s_delay_alu instid0(VALU_DEP_2) | instskip(NEXT) | instid1(VALU_DEP_3)
	v_add_co_u32 v1, vcc_lo, s24, v5
	v_add_co_ci_u32_e32 v2, vcc_lo, s25, v6, vcc_lo
	s_mov_b32 s5, exec_lo
	global_load_b128 v[1:4], v[1:2], off
	s_waitcnt vmcnt(0)
	v_cmpx_lt_i64_e64 v[1:2], v[3:4]
	s_cbranch_execz .LBB180_42
; %bb.15:
	v_sub_co_u32 v7, vcc_lo, v1, s36
	v_subrev_co_ci_u32_e32 v8, vcc_lo, 0, v2, vcc_lo
	v_sub_co_u32 v9, vcc_lo, v3, s36
	s_delay_alu instid0(VALU_DEP_3)
	v_mad_u64_u32 v[1:2], null, v7, s2, 0
	v_subrev_co_ci_u32_e32 v10, vcc_lo, 0, v4, vcc_lo
	v_mul_lo_u32 v11, v30, s7
	v_dual_mov_b32 v12, 0 :: v_dual_lshlrev_b32 v17, 2, v31
	v_mul_lo_u32 v13, v31, s7
	v_mad_u64_u32 v[3:4], null, v8, s2, v[2:3]
	v_max_i32_e32 v4, v30, v31
	s_delay_alu instid0(VALU_DEP_4) | instskip(SKIP_4) | instid1(VALU_DEP_4)
	v_mov_b32_e32 v14, v12
	s_mov_b32 s3, 0
	s_cmp_lg_u32 s4, 0
	s_mov_b32 s10, s7
	v_cmp_gt_i32_e64 s0, s7, v4
	v_mov_b32_e32 v2, v3
	v_lshlrev_b64 v[3:4], 2, v[11:12]
	v_lshlrev_b64 v[15:16], 2, v[13:14]
	s_cselect_b32 s14, -1, 0
	s_cmp_gt_i32 s7, 0
	v_lshlrev_b64 v[1:2], 2, v[1:2]
	s_mov_b32 s11, s3
	s_mov_b32 s13, s37
	s_cselect_b32 s15, -1, 0
	s_lshl_b64 s[8:9], s[2:3], 2
	s_lshl_b64 s[10:11], s[10:11], 2
	v_add_co_u32 v13, vcc_lo, v1, v17
	v_add_co_ci_u32_e32 v14, vcc_lo, 0, v2, vcc_lo
	v_add_co_u32 v11, vcc_lo, s46, v3
	v_lshlrev_b32_e32 v3, 2, v30
	v_add_co_ci_u32_e32 v12, vcc_lo, s47, v4, vcc_lo
	v_add_co_u32 v13, vcc_lo, s28, v13
	v_add_co_ci_u32_e32 v14, vcc_lo, s29, v14, vcc_lo
	v_add_co_u32 v1, vcc_lo, v1, v15
	v_add_co_ci_u32_e32 v2, vcc_lo, v2, v16, vcc_lo
	v_add_co_u32 v15, s1, s46, v3
	s_delay_alu instid0(VALU_DEP_3) | instskip(SKIP_1) | instid1(VALU_DEP_4)
	v_add_co_u32 v17, vcc_lo, s28, v1
	v_add_co_ci_u32_e64 v16, null, s47, 0, s1
	v_add_co_ci_u32_e32 v18, vcc_lo, s29, v2, vcc_lo
	s_branch .LBB180_17
.LBB180_16:                             ;   in Loop: Header=BB180_17 Depth=1
	s_or_b32 exec_lo, exec_lo, s24
	v_add_co_u32 v7, vcc_lo, v7, 1
	v_add_co_ci_u32_e32 v8, vcc_lo, 0, v8, vcc_lo
	v_add_co_u32 v13, vcc_lo, v13, s8
	v_add_co_ci_u32_e32 v14, vcc_lo, s9, v14, vcc_lo
	s_delay_alu instid0(VALU_DEP_3) | instskip(SKIP_1) | instid1(VALU_DEP_1)
	v_cmp_ge_i64_e32 vcc_lo, v[7:8], v[9:10]
	v_add_co_u32 v17, s1, v17, s8
	v_add_co_ci_u32_e64 v18, s1, s9, v18, s1
	s_or_b32 s3, vcc_lo, s3
	s_delay_alu instid0(SALU_CYCLE_1)
	s_and_not1_b32 exec_lo, exec_lo, s3
	s_cbranch_execz .LBB180_42
.LBB180_17:                             ; =>This Loop Header: Depth=1
                                        ;     Child Loop BB180_20 Depth 2
                                        ;       Child Loop BB180_24 Depth 3
                                        ;       Child Loop BB180_29 Depth 3
	;; [unrolled: 1-line block ×3, first 2 shown]
	v_lshlrev_b64 v[1:2], 2, v[7:8]
	s_mov_b32 s24, exec_lo
	s_delay_alu instid0(VALU_DEP_1) | instskip(NEXT) | instid1(VALU_DEP_2)
	v_add_co_u32 v1, vcc_lo, s26, v1
	v_add_co_ci_u32_e32 v2, vcc_lo, s27, v2, vcc_lo
	global_load_b32 v1, v[1:2], off
	s_waitcnt vmcnt(0)
	v_subrev_nc_u32_e32 v1, s36, v1
	s_delay_alu instid0(VALU_DEP_1) | instskip(NEXT) | instid1(VALU_DEP_1)
	v_ashrrev_i32_e32 v2, 31, v1
	v_lshlrev_b64 v[1:2], 3, v[1:2]
	s_delay_alu instid0(VALU_DEP_1) | instskip(NEXT) | instid1(VALU_DEP_2)
	v_add_co_u32 v1, vcc_lo, s30, v1
	v_add_co_ci_u32_e32 v2, vcc_lo, s31, v2, vcc_lo
	global_load_b128 v[1:4], v[1:2], off
	s_waitcnt vmcnt(0)
	v_cmpx_lt_i64_e64 v[1:2], v[3:4]
	s_cbranch_execz .LBB180_16
; %bb.18:                               ;   in Loop: Header=BB180_17 Depth=1
	v_sub_co_u32 v1, vcc_lo, v1, s13
	v_subrev_co_ci_u32_e32 v2, vcc_lo, 0, v2, vcc_lo
	v_sub_co_u32 v3, vcc_lo, v3, s13
	s_delay_alu instid0(VALU_DEP_3) | instskip(NEXT) | instid1(VALU_DEP_3)
	v_mad_u64_u32 v[19:20], null, s8, v1, v[11:12]
	v_mul_lo_u32 v23, s8, v2
	v_mul_lo_u32 v24, s9, v1
	v_mad_u64_u32 v[21:22], null, s8, v1, v[15:16]
	v_subrev_co_ci_u32_e32 v4, vcc_lo, 0, v4, vcc_lo
	s_mov_b32 s25, 0
	s_delay_alu instid0(VALU_DEP_3) | instskip(NEXT) | instid1(VALU_DEP_3)
	v_add3_u32 v20, v24, v20, v23
	v_add3_u32 v22, v24, v22, v23
	s_branch .LBB180_20
.LBB180_19:                             ;   in Loop: Header=BB180_20 Depth=2
	s_or_b32 exec_lo, exec_lo, s28
	v_add_co_u32 v1, vcc_lo, v1, 1
	v_add_co_ci_u32_e32 v2, vcc_lo, 0, v2, vcc_lo
	v_add_co_u32 v19, vcc_lo, v19, s8
	v_add_co_ci_u32_e32 v20, vcc_lo, s9, v20, vcc_lo
	s_delay_alu instid0(VALU_DEP_3) | instskip(SKIP_1) | instid1(VALU_DEP_1)
	v_cmp_ge_i64_e32 vcc_lo, v[1:2], v[3:4]
	v_add_co_u32 v21, s1, v21, s8
	v_add_co_ci_u32_e64 v22, s1, s9, v22, s1
	s_or_b32 s25, vcc_lo, s25
	s_delay_alu instid0(SALU_CYCLE_1)
	s_and_not1_b32 exec_lo, exec_lo, s25
	s_cbranch_execz .LBB180_16
.LBB180_20:                             ;   Parent Loop BB180_17 Depth=1
                                        ; =>  This Loop Header: Depth=2
                                        ;       Child Loop BB180_24 Depth 3
                                        ;       Child Loop BB180_29 Depth 3
	;; [unrolled: 1-line block ×3, first 2 shown]
	s_and_saveexec_b32 s28, s0
	s_cbranch_execz .LBB180_19
; %bb.21:                               ;   in Loop: Header=BB180_20 Depth=2
	v_lshlrev_b64 v[23:24], 2, v[1:2]
	s_delay_alu instid0(VALU_DEP_1) | instskip(NEXT) | instid1(VALU_DEP_2)
	v_add_co_u32 v23, vcc_lo, s44, v23
	v_add_co_ci_u32_e32 v24, vcc_lo, s45, v24, vcc_lo
	s_and_not1_b32 vcc_lo, exec_lo, s14
	global_load_b32 v35, v[23:24], off
	v_cndmask_b32_e64 v23, 0, 1, s15
	s_delay_alu instid0(VALU_DEP_1)
	v_cmp_ne_u32_e64 s1, 1, v23
	s_cbranch_vccnz .LBB180_26
; %bb.22:                               ;   in Loop: Header=BB180_20 Depth=2
	v_mov_b32_e32 v36, 0
	s_delay_alu instid0(VALU_DEP_2)
	s_and_b32 vcc_lo, exec_lo, s1
	s_cbranch_vccnz .LBB180_25
; %bb.23:                               ;   in Loop: Header=BB180_20 Depth=2
	v_dual_mov_b32 v24, v14 :: v_dual_mov_b32 v23, v13
	v_dual_mov_b32 v26, v20 :: v_dual_mov_b32 v25, v19
	s_mov_b32 s1, s7
.LBB180_24:                             ;   Parent Loop BB180_17 Depth=1
                                        ;     Parent Loop BB180_20 Depth=2
                                        ; =>    This Inner Loop Header: Depth=3
	global_load_b32 v37, v[23:24], off
	global_load_b32 v38, v[25:26], off
	v_add_co_u32 v25, vcc_lo, v25, 4
	v_add_co_ci_u32_e32 v26, vcc_lo, 0, v26, vcc_lo
	v_add_co_u32 v23, vcc_lo, v23, s10
	v_add_co_ci_u32_e32 v24, vcc_lo, s11, v24, vcc_lo
	s_add_i32 s1, s1, -1
	s_delay_alu instid0(SALU_CYCLE_1)
	s_cmp_lg_u32 s1, 0
	s_waitcnt vmcnt(0)
	v_fmac_f32_e32 v36, v37, v38
	s_cbranch_scc1 .LBB180_24
.LBB180_25:                             ;   in Loop: Header=BB180_20 Depth=2
	s_cbranch_execz .LBB180_27
	s_branch .LBB180_30
.LBB180_26:                             ;   in Loop: Header=BB180_20 Depth=2
                                        ; implicit-def: $vgpr36
.LBB180_27:                             ;   in Loop: Header=BB180_20 Depth=2
	v_mov_b32_e32 v36, 0
	s_and_not1_b32 vcc_lo, exec_lo, s15
	s_cbranch_vccnz .LBB180_30
; %bb.28:                               ;   in Loop: Header=BB180_20 Depth=2
	v_dual_mov_b32 v24, v18 :: v_dual_mov_b32 v23, v17
	v_dual_mov_b32 v26, v22 :: v_dual_mov_b32 v25, v21
	s_mov_b32 s1, s7
.LBB180_29:                             ;   Parent Loop BB180_17 Depth=1
                                        ;     Parent Loop BB180_20 Depth=2
                                        ; =>    This Inner Loop Header: Depth=3
	global_load_b32 v37, v[23:24], off
	global_load_b32 v38, v[25:26], off
	v_add_co_u32 v25, vcc_lo, v25, s10
	v_add_co_ci_u32_e32 v26, vcc_lo, s11, v26, vcc_lo
	v_add_co_u32 v23, vcc_lo, v23, 4
	v_add_co_ci_u32_e32 v24, vcc_lo, 0, v24, vcc_lo
	s_add_i32 s1, s1, -1
	s_delay_alu instid0(SALU_CYCLE_1)
	s_cmp_eq_u32 s1, 0
	s_waitcnt vmcnt(0)
	v_fmac_f32_e32 v36, v37, v38
	s_cbranch_scc0 .LBB180_29
.LBB180_30:                             ;   in Loop: Header=BB180_20 Depth=2
	s_waitcnt vmcnt(0)
	v_subrev_nc_u32_e32 v23, s37, v35
	s_delay_alu instid0(VALU_DEP_2) | instskip(SKIP_1) | instid1(VALU_DEP_2)
	v_mul_f32_e32 v24, v34, v36
	s_mov_b32 s1, 0
	v_and_b32_e32 v25, 7, v23
	s_branch .LBB180_32
.LBB180_31:                             ;   in Loop: Header=BB180_32 Depth=3
	s_or_b32 exec_lo, exec_lo, s29
	s_xor_b32 s29, s33, -1
	s_delay_alu instid0(SALU_CYCLE_1) | instskip(NEXT) | instid1(SALU_CYCLE_1)
	s_and_b32 s29, exec_lo, s29
	s_or_b32 s1, s29, s1
	s_delay_alu instid0(SALU_CYCLE_1)
	s_and_not1_b32 exec_lo, exec_lo, s1
	s_cbranch_execz .LBB180_19
.LBB180_32:                             ;   Parent Loop BB180_17 Depth=1
                                        ;     Parent Loop BB180_20 Depth=2
                                        ; =>    This Inner Loop Header: Depth=3
	s_delay_alu instid0(VALU_DEP_1)
	v_lshl_add_u32 v26, v25, 2, v27
	s_mov_b32 s29, exec_lo
                                        ; implicit-def: $sgpr33
	ds_load_b32 v35, v26
	s_waitcnt lgkmcnt(0)
	v_cmpx_ne_u32_e64 v35, v23
	s_xor_b32 s29, exec_lo, s29
	s_cbranch_execz .LBB180_40
; %bb.33:                               ;   in Loop: Header=BB180_32 Depth=3
	s_mov_b32 s34, exec_lo
                                        ; implicit-def: $sgpr33
	v_cmpx_ne_u32_e64 s6, v35
	s_xor_b32 s34, exec_lo, s34
; %bb.34:                               ;   in Loop: Header=BB180_32 Depth=3
	v_add_nc_u32_e32 v25, 1, v25
	s_mov_b32 s33, -1
                                        ; implicit-def: $vgpr26
	s_delay_alu instid0(VALU_DEP_1)
	v_and_b32_e32 v25, 7, v25
; %bb.35:                               ;   in Loop: Header=BB180_32 Depth=3
	s_and_not1_saveexec_b32 s34, s34
	s_cbranch_execz .LBB180_39
; %bb.36:                               ;   in Loop: Header=BB180_32 Depth=3
	v_mov_b32_e32 v35, s6
	s_mov_b32 s46, -1
	s_mov_b32 s35, exec_lo
	ds_cmpstore_rtn_b32 v26, v26, v23, v35
	s_waitcnt lgkmcnt(0)
	v_cmpx_eq_u32_e64 s6, v26
	s_cbranch_execz .LBB180_38
; %bb.37:                               ;   in Loop: Header=BB180_32 Depth=3
	v_lshlrev_b32_e32 v26, 2, v33
	s_xor_b32 s46, exec_lo, -1
	s_delay_alu instid0(VALU_DEP_1) | instskip(NEXT) | instid1(VALU_DEP_1)
	v_lshl_or_b32 v26, v25, 8, v26
	v_add_nc_u32_e32 v26, v32, v26
	ds_add_f32 v26, v24
.LBB180_38:                             ;   in Loop: Header=BB180_32 Depth=3
	s_or_b32 exec_lo, exec_lo, s35
	s_delay_alu instid0(SALU_CYCLE_1) | instskip(SKIP_1) | instid1(SALU_CYCLE_1)
	s_and_not1_b32 s33, s33, exec_lo
	s_and_b32 s35, s46, exec_lo
	s_or_b32 s33, s33, s35
.LBB180_39:                             ;   in Loop: Header=BB180_32 Depth=3
	s_or_b32 exec_lo, exec_lo, s34
	s_delay_alu instid0(SALU_CYCLE_1)
	s_and_b32 s33, s33, exec_lo
.LBB180_40:                             ;   in Loop: Header=BB180_32 Depth=3
	s_and_not1_saveexec_b32 s29, s29
	s_cbranch_execz .LBB180_31
; %bb.41:                               ;   in Loop: Header=BB180_32 Depth=3
	v_lshlrev_b32_e32 v26, 2, v33
	s_and_not1_b32 s33, s33, exec_lo
	s_delay_alu instid0(VALU_DEP_1) | instskip(NEXT) | instid1(VALU_DEP_1)
	v_lshl_or_b32 v26, v25, 8, v26
	v_add_nc_u32_e32 v26, v32, v26
	ds_add_f32 v26, v24
	s_branch .LBB180_31
.LBB180_42:
	s_or_b32 exec_lo, exec_lo, s5
.LBB180_43:
	s_delay_alu instid0(SALU_CYCLE_1)
	s_and_not1_b32 vcc_lo, exec_lo, s12
	s_waitcnt lgkmcnt(0)
	s_barrier
	buffer_gl0_inv
	s_cbranch_vccnz .LBB180_61
; %bb.44:
	v_add_co_u32 v1, vcc_lo, s16, v5
	v_add_co_ci_u32_e32 v2, vcc_lo, s17, v6, vcc_lo
	s_mov_b32 s1, exec_lo
	global_load_b128 v[1:4], v[1:2], off
	s_waitcnt vmcnt(0)
	v_cmpx_lt_i64_e64 v[1:2], v[3:4]
	s_cbranch_execz .LBB180_60
; %bb.45:
	v_mul_lo_u32 v7, v30, s7
	v_dual_mov_b32 v8, 0 :: v_dual_lshlrev_b32 v13, 2, v30
	v_sub_co_u32 v3, vcc_lo, v3, s39
	v_subrev_co_ci_u32_e32 v4, vcc_lo, 0, v4, vcc_lo
	v_lshlrev_b32_e32 v12, 2, v31
	s_delay_alu instid0(VALU_DEP_4)
	v_lshlrev_b64 v[9:10], 2, v[7:8]
	v_mul_lo_u32 v7, v31, s7
	v_max_i32_e32 v11, v30, v31
	s_cmp_eq_u32 s4, 0
	s_mov_b32 s3, 0
	s_cselect_b32 s0, -1, 0
	v_add_co_u32 v9, vcc_lo, s20, v9
	v_add_co_ci_u32_e32 v10, vcc_lo, s21, v10, vcc_lo
	s_delay_alu instid0(VALU_DEP_4) | instskip(NEXT) | instid1(VALU_DEP_1)
	v_lshlrev_b64 v[7:8], 2, v[7:8]
	v_add_co_u32 v7, vcc_lo, s20, v7
	s_delay_alu instid0(VALU_DEP_2) | instskip(SKIP_2) | instid1(VALU_DEP_4)
	v_add_co_ci_u32_e32 v8, vcc_lo, s21, v8, vcc_lo
	v_add_co_u32 v9, vcc_lo, v9, v12
	v_add_co_ci_u32_e32 v10, vcc_lo, 0, v10, vcc_lo
	v_add_co_u32 v12, vcc_lo, v7, v13
	s_delay_alu instid0(VALU_DEP_4) | instskip(SKIP_3) | instid1(VALU_DEP_4)
	v_add_co_ci_u32_e32 v7, vcc_lo, 0, v8, vcc_lo
	v_sub_co_u32 v1, vcc_lo, v1, s39
	v_subrev_co_ci_u32_e32 v2, vcc_lo, 0, v2, vcc_lo
	v_cmp_gt_i32_e32 vcc_lo, s7, v11
	v_cndmask_b32_e64 v7, v10, v7, s0
	v_cndmask_b32_e64 v8, v9, v12, s0
	v_lshlrev_b32_e32 v9, 2, v33
	s_branch .LBB180_47
.LBB180_46:                             ;   in Loop: Header=BB180_47 Depth=1
	s_or_b32 exec_lo, exec_lo, s5
	v_add_co_u32 v1, s0, v1, 1
	s_delay_alu instid0(VALU_DEP_1) | instskip(NEXT) | instid1(VALU_DEP_1)
	v_add_co_ci_u32_e64 v2, s0, 0, v2, s0
	v_cmp_ge_i64_e64 s0, v[1:2], v[3:4]
	s_delay_alu instid0(VALU_DEP_1) | instskip(NEXT) | instid1(SALU_CYCLE_1)
	s_or_b32 s3, s0, s3
	s_and_not1_b32 exec_lo, exec_lo, s3
	s_cbranch_execz .LBB180_60
.LBB180_47:                             ; =>This Loop Header: Depth=1
                                        ;     Child Loop BB180_50 Depth 2
	s_and_saveexec_b32 s5, vcc_lo
	s_cbranch_execz .LBB180_46
; %bb.48:                               ;   in Loop: Header=BB180_47 Depth=1
	v_mad_u64_u32 v[10:11], null, v1, s2, 0
	s_mov_b32 s8, 0
	s_delay_alu instid0(VALU_DEP_1) | instskip(NEXT) | instid1(VALU_DEP_1)
	v_mad_u64_u32 v[12:13], null, v2, s2, v[11:12]
	v_mov_b32_e32 v11, v12
	v_lshlrev_b64 v[12:13], 2, v[1:2]
	s_delay_alu instid0(VALU_DEP_2) | instskip(NEXT) | instid1(VALU_DEP_2)
	v_lshlrev_b64 v[10:11], 2, v[10:11]
	v_add_co_u32 v12, s0, s18, v12
	s_delay_alu instid0(VALU_DEP_1) | instskip(NEXT) | instid1(VALU_DEP_3)
	v_add_co_ci_u32_e64 v13, s0, s19, v13, s0
	v_add_co_u32 v10, s0, v8, v10
	s_delay_alu instid0(VALU_DEP_1)
	v_add_co_ci_u32_e64 v11, s0, v7, v11, s0
	global_load_b32 v12, v[12:13], off
	global_load_b32 v11, v[10:11], off
	s_waitcnt vmcnt(1)
	v_subrev_nc_u32_e32 v10, s39, v12
	s_waitcnt vmcnt(0)
	s_delay_alu instid0(VALU_DEP_1)
	v_dual_mul_f32 v11, v29, v11 :: v_dual_and_b32 v12, 7, v10
	s_branch .LBB180_50
.LBB180_49:                             ;   in Loop: Header=BB180_50 Depth=2
	s_or_b32 exec_lo, exec_lo, s0
	s_xor_b32 s0, s10, -1
	s_delay_alu instid0(SALU_CYCLE_1) | instskip(NEXT) | instid1(SALU_CYCLE_1)
	s_and_b32 s0, exec_lo, s0
	s_or_b32 s8, s0, s8
	s_delay_alu instid0(SALU_CYCLE_1)
	s_and_not1_b32 exec_lo, exec_lo, s8
	s_cbranch_execz .LBB180_46
.LBB180_50:                             ;   Parent Loop BB180_47 Depth=1
                                        ; =>  This Inner Loop Header: Depth=2
	s_delay_alu instid0(VALU_DEP_1)
	v_lshl_add_u32 v13, v12, 2, v27
	s_mov_b32 s9, exec_lo
                                        ; implicit-def: $sgpr10
	ds_load_b32 v14, v13
	s_waitcnt lgkmcnt(0)
	v_cmpx_ne_u32_e64 v14, v10
	s_xor_b32 s9, exec_lo, s9
	s_cbranch_execz .LBB180_58
; %bb.51:                               ;   in Loop: Header=BB180_50 Depth=2
	v_cmp_ne_u32_e64 s0, s6, v14
                                        ; implicit-def: $sgpr10
	s_delay_alu instid0(VALU_DEP_1) | instskip(NEXT) | instid1(SALU_CYCLE_1)
	s_and_saveexec_b32 s11, s0
	s_xor_b32 s0, exec_lo, s11
; %bb.52:                               ;   in Loop: Header=BB180_50 Depth=2
	v_add_nc_u32_e32 v12, 1, v12
	s_mov_b32 s10, -1
                                        ; implicit-def: $vgpr13
	s_delay_alu instid0(VALU_DEP_1)
	v_and_b32_e32 v12, 7, v12
; %bb.53:                               ;   in Loop: Header=BB180_50 Depth=2
	s_and_not1_saveexec_b32 s11, s0
	s_cbranch_execz .LBB180_57
; %bb.54:                               ;   in Loop: Header=BB180_50 Depth=2
	v_mov_b32_e32 v14, s6
	s_mov_b32 s12, -1
	s_mov_b32 s13, exec_lo
	ds_cmpstore_rtn_b32 v13, v13, v10, v14
	s_waitcnt lgkmcnt(0)
	v_cmpx_eq_u32_e64 s6, v13
	s_cbranch_execz .LBB180_56
; %bb.55:                               ;   in Loop: Header=BB180_50 Depth=2
	v_lshl_or_b32 v13, v12, 8, v9
	s_xor_b32 s12, exec_lo, -1
	s_delay_alu instid0(VALU_DEP_1)
	v_add_nc_u32_e32 v13, v32, v13
	ds_add_f32 v13, v11
.LBB180_56:                             ;   in Loop: Header=BB180_50 Depth=2
	s_or_b32 exec_lo, exec_lo, s13
	s_delay_alu instid0(SALU_CYCLE_1) | instskip(SKIP_1) | instid1(SALU_CYCLE_1)
	s_and_not1_b32 s0, s10, exec_lo
	s_and_b32 s10, s12, exec_lo
	s_or_b32 s10, s0, s10
.LBB180_57:                             ;   in Loop: Header=BB180_50 Depth=2
	s_or_b32 exec_lo, exec_lo, s11
	s_delay_alu instid0(SALU_CYCLE_1)
	s_and_b32 s10, s10, exec_lo
.LBB180_58:                             ;   in Loop: Header=BB180_50 Depth=2
	s_and_not1_saveexec_b32 s0, s9
	s_cbranch_execz .LBB180_49
; %bb.59:                               ;   in Loop: Header=BB180_50 Depth=2
	v_lshl_or_b32 v13, v12, 8, v9
	s_and_not1_b32 s10, s10, exec_lo
	s_delay_alu instid0(VALU_DEP_1)
	v_add_nc_u32_e32 v13, v32, v13
	ds_add_f32 v13, v11
	s_branch .LBB180_49
.LBB180_60:
	s_or_b32 exec_lo, exec_lo, s1
.LBB180_61:
	v_add_co_u32 v1, vcc_lo, s22, v5
	v_add_co_ci_u32_e32 v2, vcc_lo, s23, v6, vcc_lo
	s_waitcnt lgkmcnt(0)
	s_barrier
	buffer_gl0_inv
	global_load_b64 v[4:5], v[1:2], off
	v_mul_lo_u32 v1, v31, s7
	v_dual_mov_b32 v2, 0 :: v_dual_and_b32 v7, 56, v0
	v_max_i32_e32 v3, v30, v31
	v_lshlrev_b32_e32 v6, 3, v30
	s_cmp_eq_u32 s4, 0
	v_lshlrev_b32_e32 v8, 2, v30
	s_cselect_b32 s0, -1, 0
	v_lshlrev_b64 v[0:1], 2, v[1:2]
	v_cmp_gt_i32_e32 vcc_lo, s7, v3
	v_cndmask_b32_e64 v2, v6, v7, s0
	v_cndmask_b32_e64 v3, v31, v30, s0
	s_mov_b32 s1, 0
	s_delay_alu instid0(VALU_DEP_4) | instskip(NEXT) | instid1(VALU_DEP_1)
	v_add_co_u32 v0, s0, s42, v0
	v_add_co_ci_u32_e64 v1, s0, s43, v1, s0
	s_delay_alu instid0(VALU_DEP_3) | instskip(NEXT) | instid1(VALU_DEP_3)
	v_or_b32_e32 v6, v3, v2
	v_add_co_u32 v2, s0, v0, v8
	s_delay_alu instid0(VALU_DEP_1) | instskip(NEXT) | instid1(VALU_DEP_3)
	v_add_co_ci_u32_e64 v3, s0, 0, v1, s0
	v_lshl_add_u32 v6, v6, 2, v28
	s_waitcnt vmcnt(0)
	v_sub_co_u32 v4, s0, v4, s38
	s_delay_alu instid0(VALU_DEP_1)
	v_subrev_co_ci_u32_e64 v5, s0, 0, v5, s0
	s_branch .LBB180_63
.LBB180_62:                             ;   in Loop: Header=BB180_63 Depth=1
	s_or_b32 exec_lo, exec_lo, s3
	v_add_nc_u32_e32 v6, 0x100, v6
	s_add_i32 s1, s1, 4
	s_delay_alu instid0(SALU_CYCLE_1)
	s_cmp_lg_u32 s1, 32
	s_cbranch_scc0 .LBB180_66
.LBB180_63:                             ; =>This Inner Loop Header: Depth=1
	v_add_nc_u32_e32 v0, s1, v27
	s_mov_b32 s3, exec_lo
	ds_load_b32 v7, v0
	s_waitcnt lgkmcnt(0)
	v_cmpx_gt_i32_e64 s6, v7
	s_cbranch_execz .LBB180_62
; %bb.64:                               ;   in Loop: Header=BB180_63 Depth=1
	ds_load_b128 v[8:11], v27
	ds_load_b128 v[12:15], v27 offset:16
	s_waitcnt lgkmcnt(1)
	v_cmp_gt_i32_e64 s0, v7, v8
	s_delay_alu instid0(VALU_DEP_1) | instskip(SKIP_1) | instid1(VALU_DEP_1)
	v_cndmask_b32_e64 v0, 0, 1, s0
	v_cmp_gt_i32_e64 s0, v7, v9
	v_cndmask_b32_e64 v1, 0, 1, s0
	s_delay_alu instid0(VALU_DEP_3) | instskip(NEXT) | instid1(VALU_DEP_1)
	v_add_co_u32 v0, s0, v4, v0
	v_add_co_ci_u32_e64 v8, s0, 0, v5, s0
	v_cmp_gt_i32_e64 s0, v7, v10
	v_add_nc_u32_e32 v10, s38, v7
	s_delay_alu instid0(VALU_DEP_2) | instskip(SKIP_1) | instid1(VALU_DEP_1)
	v_cndmask_b32_e64 v9, 0, 1, s0
	v_add_co_u32 v0, s0, v0, v1
	v_add_co_ci_u32_e64 v1, s0, 0, v8, s0
	v_cmp_gt_i32_e64 s0, v7, v11
	s_delay_alu instid0(VALU_DEP_1) | instskip(NEXT) | instid1(VALU_DEP_4)
	v_cndmask_b32_e64 v8, 0, 1, s0
	v_add_co_u32 v0, s0, v0, v9
	s_delay_alu instid0(VALU_DEP_1) | instskip(SKIP_2) | instid1(VALU_DEP_1)
	v_add_co_ci_u32_e64 v1, s0, 0, v1, s0
	s_waitcnt lgkmcnt(0)
	v_cmp_gt_i32_e64 s0, v7, v12
	v_cndmask_b32_e64 v9, 0, 1, s0
	v_add_co_u32 v0, s0, v0, v8
	s_delay_alu instid0(VALU_DEP_1) | instskip(SKIP_1) | instid1(VALU_DEP_1)
	v_add_co_ci_u32_e64 v1, s0, 0, v1, s0
	v_cmp_gt_i32_e64 s0, v7, v13
	v_cndmask_b32_e64 v8, 0, 1, s0
	s_delay_alu instid0(VALU_DEP_4) | instskip(NEXT) | instid1(VALU_DEP_1)
	v_add_co_u32 v0, s0, v0, v9
	v_add_co_ci_u32_e64 v1, s0, 0, v1, s0
	v_cmp_gt_i32_e64 s0, v7, v14
	s_delay_alu instid0(VALU_DEP_1) | instskip(NEXT) | instid1(VALU_DEP_4)
	v_cndmask_b32_e64 v9, 0, 1, s0
	v_add_co_u32 v0, s0, v0, v8
	s_delay_alu instid0(VALU_DEP_1) | instskip(SKIP_1) | instid1(VALU_DEP_1)
	v_add_co_ci_u32_e64 v1, s0, 0, v1, s0
	v_cmp_gt_i32_e64 s0, v7, v15
	v_cndmask_b32_e64 v8, 0, 1, s0
	s_delay_alu instid0(VALU_DEP_4) | instskip(NEXT) | instid1(VALU_DEP_1)
	v_add_co_u32 v0, s0, v0, v9
	v_add_co_ci_u32_e64 v1, s0, 0, v1, s0
	s_delay_alu instid0(VALU_DEP_2) | instskip(NEXT) | instid1(VALU_DEP_1)
	v_add_co_u32 v0, s0, v0, v8
	v_add_co_ci_u32_e64 v1, s0, 0, v1, s0
	s_delay_alu instid0(VALU_DEP_1) | instskip(NEXT) | instid1(VALU_DEP_1)
	v_lshlrev_b64 v[8:9], 2, v[0:1]
	v_add_co_u32 v7, s0, s40, v8
	s_delay_alu instid0(VALU_DEP_1)
	v_add_co_ci_u32_e64 v8, s0, s41, v9, s0
	global_store_b32 v[7:8], v10, off
	s_and_b32 exec_lo, exec_lo, vcc_lo
	s_cbranch_execz .LBB180_62
; %bb.65:                               ;   in Loop: Header=BB180_63 Depth=1
	v_mad_u64_u32 v[7:8], null, v0, s2, 0
	s_delay_alu instid0(VALU_DEP_1) | instskip(NEXT) | instid1(VALU_DEP_1)
	v_mov_b32_e32 v0, v8
	v_mad_u64_u32 v[8:9], null, v1, s2, v[0:1]
	ds_load_b32 v9, v6
	v_lshlrev_b64 v[0:1], 2, v[7:8]
	s_delay_alu instid0(VALU_DEP_1) | instskip(NEXT) | instid1(VALU_DEP_1)
	v_add_co_u32 v0, s0, v2, v0
	v_add_co_ci_u32_e64 v1, s0, v3, v1, s0
	s_waitcnt lgkmcnt(0)
	global_store_b32 v[0:1], v9, off
	s_branch .LBB180_62
.LBB180_66:
	s_nop 0
	s_sendmsg sendmsg(MSG_DEALLOC_VGPRS)
	s_endpgm
	.section	.rodata,"a",@progbits
	.p2align	6, 0x0
	.amdhsa_kernel _ZN9rocsparseL23bsrgemm_fill_wf_per_rowILj256ELj64ELj8ELj137ELj8ElifEEv20rocsparse_direction_T5_S2_S2_PKS2_S4_NS_24const_host_device_scalarIT6_EEPKT4_S4_PKS6_SA_S4_SC_S7_SA_S4_SC_SA_PS2_PS6_21rocsparse_index_base_SF_SF_SF_bbb
		.amdhsa_group_segment_fixed_size 8320
		.amdhsa_private_segment_fixed_size 0
		.amdhsa_kernarg_size 164
		.amdhsa_user_sgpr_count 15
		.amdhsa_user_sgpr_dispatch_ptr 0
		.amdhsa_user_sgpr_queue_ptr 0
		.amdhsa_user_sgpr_kernarg_segment_ptr 1
		.amdhsa_user_sgpr_dispatch_id 0
		.amdhsa_user_sgpr_private_segment_size 0
		.amdhsa_wavefront_size32 1
		.amdhsa_uses_dynamic_stack 0
		.amdhsa_enable_private_segment 0
		.amdhsa_system_sgpr_workgroup_id_x 1
		.amdhsa_system_sgpr_workgroup_id_y 0
		.amdhsa_system_sgpr_workgroup_id_z 0
		.amdhsa_system_sgpr_workgroup_info 0
		.amdhsa_system_vgpr_workitem_id 0
		.amdhsa_next_free_vgpr 39
		.amdhsa_next_free_sgpr 48
		.amdhsa_reserve_vcc 1
		.amdhsa_float_round_mode_32 0
		.amdhsa_float_round_mode_16_64 0
		.amdhsa_float_denorm_mode_32 3
		.amdhsa_float_denorm_mode_16_64 3
		.amdhsa_dx10_clamp 1
		.amdhsa_ieee_mode 1
		.amdhsa_fp16_overflow 0
		.amdhsa_workgroup_processor_mode 1
		.amdhsa_memory_ordered 1
		.amdhsa_forward_progress 0
		.amdhsa_shared_vgpr_count 0
		.amdhsa_exception_fp_ieee_invalid_op 0
		.amdhsa_exception_fp_denorm_src 0
		.amdhsa_exception_fp_ieee_div_zero 0
		.amdhsa_exception_fp_ieee_overflow 0
		.amdhsa_exception_fp_ieee_underflow 0
		.amdhsa_exception_fp_ieee_inexact 0
		.amdhsa_exception_int_div_zero 0
	.end_amdhsa_kernel
	.section	.text._ZN9rocsparseL23bsrgemm_fill_wf_per_rowILj256ELj64ELj8ELj137ELj8ElifEEv20rocsparse_direction_T5_S2_S2_PKS2_S4_NS_24const_host_device_scalarIT6_EEPKT4_S4_PKS6_SA_S4_SC_S7_SA_S4_SC_SA_PS2_PS6_21rocsparse_index_base_SF_SF_SF_bbb,"axG",@progbits,_ZN9rocsparseL23bsrgemm_fill_wf_per_rowILj256ELj64ELj8ELj137ELj8ElifEEv20rocsparse_direction_T5_S2_S2_PKS2_S4_NS_24const_host_device_scalarIT6_EEPKT4_S4_PKS6_SA_S4_SC_S7_SA_S4_SC_SA_PS2_PS6_21rocsparse_index_base_SF_SF_SF_bbb,comdat
.Lfunc_end180:
	.size	_ZN9rocsparseL23bsrgemm_fill_wf_per_rowILj256ELj64ELj8ELj137ELj8ElifEEv20rocsparse_direction_T5_S2_S2_PKS2_S4_NS_24const_host_device_scalarIT6_EEPKT4_S4_PKS6_SA_S4_SC_S7_SA_S4_SC_SA_PS2_PS6_21rocsparse_index_base_SF_SF_SF_bbb, .Lfunc_end180-_ZN9rocsparseL23bsrgemm_fill_wf_per_rowILj256ELj64ELj8ELj137ELj8ElifEEv20rocsparse_direction_T5_S2_S2_PKS2_S4_NS_24const_host_device_scalarIT6_EEPKT4_S4_PKS6_SA_S4_SC_S7_SA_S4_SC_SA_PS2_PS6_21rocsparse_index_base_SF_SF_SF_bbb
                                        ; -- End function
	.section	.AMDGPU.csdata,"",@progbits
; Kernel info:
; codeLenInByte = 3088
; NumSgprs: 50
; NumVgprs: 39
; ScratchSize: 0
; MemoryBound: 0
; FloatMode: 240
; IeeeMode: 1
; LDSByteSize: 8320 bytes/workgroup (compile time only)
; SGPRBlocks: 6
; VGPRBlocks: 4
; NumSGPRsForWavesPerEU: 50
; NumVGPRsForWavesPerEU: 39
; Occupancy: 16
; WaveLimiterHint : 1
; COMPUTE_PGM_RSRC2:SCRATCH_EN: 0
; COMPUTE_PGM_RSRC2:USER_SGPR: 15
; COMPUTE_PGM_RSRC2:TRAP_HANDLER: 0
; COMPUTE_PGM_RSRC2:TGID_X_EN: 1
; COMPUTE_PGM_RSRC2:TGID_Y_EN: 0
; COMPUTE_PGM_RSRC2:TGID_Z_EN: 0
; COMPUTE_PGM_RSRC2:TIDIG_COMP_CNT: 0
	.section	.text._ZN9rocsparseL38bsrgemm_block_per_row_atomic_multipassILj256ELj16ELj8ElifEEv20rocsparse_direction_T3_S2_PKS2_S4_NS_24const_host_device_scalarIT4_EEPKT2_S4_PKS6_SA_S4_SC_S7_SA_S4_SC_SA_PS2_PS6_PS8_21rocsparse_index_base_SG_SG_SG_bbb,"axG",@progbits,_ZN9rocsparseL38bsrgemm_block_per_row_atomic_multipassILj256ELj16ELj8ElifEEv20rocsparse_direction_T3_S2_PKS2_S4_NS_24const_host_device_scalarIT4_EEPKT2_S4_PKS6_SA_S4_SC_S7_SA_S4_SC_SA_PS2_PS6_PS8_21rocsparse_index_base_SG_SG_SG_bbb,comdat
	.globl	_ZN9rocsparseL38bsrgemm_block_per_row_atomic_multipassILj256ELj16ELj8ElifEEv20rocsparse_direction_T3_S2_PKS2_S4_NS_24const_host_device_scalarIT4_EEPKT2_S4_PKS6_SA_S4_SC_S7_SA_S4_SC_SA_PS2_PS6_PS8_21rocsparse_index_base_SG_SG_SG_bbb ; -- Begin function _ZN9rocsparseL38bsrgemm_block_per_row_atomic_multipassILj256ELj16ELj8ElifEEv20rocsparse_direction_T3_S2_PKS2_S4_NS_24const_host_device_scalarIT4_EEPKT2_S4_PKS6_SA_S4_SC_S7_SA_S4_SC_SA_PS2_PS6_PS8_21rocsparse_index_base_SG_SG_SG_bbb
	.p2align	8
	.type	_ZN9rocsparseL38bsrgemm_block_per_row_atomic_multipassILj256ELj16ELj8ElifEEv20rocsparse_direction_T3_S2_PKS2_S4_NS_24const_host_device_scalarIT4_EEPKT2_S4_PKS6_SA_S4_SC_S7_SA_S4_SC_SA_PS2_PS6_PS8_21rocsparse_index_base_SG_SG_SG_bbb,@function
_ZN9rocsparseL38bsrgemm_block_per_row_atomic_multipassILj256ELj16ELj8ElifEEv20rocsparse_direction_T3_S2_PKS2_S4_NS_24const_host_device_scalarIT4_EEPKT2_S4_PKS6_SA_S4_SC_S7_SA_S4_SC_SA_PS2_PS6_PS8_21rocsparse_index_base_SG_SG_SG_bbb: ; @_ZN9rocsparseL38bsrgemm_block_per_row_atomic_multipassILj256ELj16ELj8ElifEEv20rocsparse_direction_T3_S2_PKS2_S4_NS_24const_host_device_scalarIT4_EEPKT2_S4_PKS6_SA_S4_SC_S7_SA_S4_SC_SA_PS2_PS6_PS8_21rocsparse_index_base_SG_SG_SG_bbb
; %bb.0:
	s_clause 0x3
	s_load_b32 s3, s[0:1], 0xa8
	s_load_b128 s[28:31], s[0:1], 0x98
	s_load_b64 s[6:7], s[0:1], 0x20
	s_load_b64 s[4:5], s[0:1], 0x58
	s_mov_b32 s2, s15
	s_waitcnt lgkmcnt(0)
	s_bitcmp1_b32 s3, 0
	s_cselect_b32 s52, -1, 0
	s_bitcmp1_b32 s3, 16
	s_cselect_b32 s8, -1, 0
	s_xor_b32 s9, s52, -1
	s_delay_alu instid0(SALU_CYCLE_1) | instskip(NEXT) | instid1(SALU_CYCLE_1)
	s_or_b32 s9, s9, s8
	s_and_b32 vcc_lo, exec_lo, s9
	s_cbranch_vccnz .LBB181_2
; %bb.1:
	s_load_b32 s6, s[6:7], 0x0
	s_waitcnt lgkmcnt(0)
	v_mov_b32_e32 v23, s6
	s_branch .LBB181_3
.LBB181_2:
	v_cndmask_b32_e64 v23, 0, s6, s52
.LBB181_3:
	s_load_b64 s[6:7], s[0:1], 0x18
	s_bitcmp1_b32 s3, 8
	s_cselect_b32 s33, -1, 0
	s_delay_alu instid0(SALU_CYCLE_1) | instskip(NEXT) | instid1(SALU_CYCLE_1)
	s_xor_b32 s3, s33, -1
	s_or_b32 s3, s3, s8
	s_delay_alu instid0(SALU_CYCLE_1)
	s_and_b32 vcc_lo, exec_lo, s3
	s_cbranch_vccnz .LBB181_5
; %bb.4:
	s_load_b32 s3, s[4:5], 0x0
	s_waitcnt lgkmcnt(0)
	v_mov_b32_e32 v24, s3
	s_load_b64 s[4:5], s[0:1], 0x28
	s_cmp_eq_u64 s[6:7], 0
	s_mov_b64 s[34:35], 0
	s_cbranch_scc0 .LBB181_6
	s_branch .LBB181_7
.LBB181_5:
	v_cndmask_b32_e64 v24, 0, s4, s33
	s_load_b64 s[4:5], s[0:1], 0x28
	s_waitcnt lgkmcnt(0)
	s_cmp_eq_u64 s[6:7], 0
	s_mov_b64 s[34:35], 0
	s_cbranch_scc1 .LBB181_7
.LBB181_6:
	s_load_b64 s[8:9], s[0:1], 0x10
	s_waitcnt lgkmcnt(0)
	s_load_b32 s3, s[8:9], 0x0
	s_waitcnt lgkmcnt(0)
	s_add_i32 s2, s3, s2
	s_mov_b32 s3, 0
	s_delay_alu instid0(SALU_CYCLE_1) | instskip(NEXT) | instid1(SALU_CYCLE_1)
	s_lshl_b64 s[2:3], s[2:3], 2
	s_add_u32 s2, s6, s2
	s_addc_u32 s3, s7, s3
	s_load_b32 s2, s[2:3], 0x0
.LBB181_7:
	s_and_not1_b32 vcc_lo, exec_lo, s52
	s_cbranch_vccz .LBB181_10
; %bb.8:
	s_and_not1_b32 vcc_lo, exec_lo, s52
	s_mov_b64 s[40:41], 0
	s_cbranch_vccz .LBB181_11
.LBB181_9:
	s_load_b128 s[36:39], s[0:1], 0x0
	s_waitcnt lgkmcnt(0)
	s_cmp_lt_i32 s37, 1
	s_cbranch_scc0 .LBB181_12
	s_branch .LBB181_90
.LBB181_10:
	s_waitcnt lgkmcnt(0)
	s_ashr_i32 s3, s2, 31
	s_delay_alu instid0(SALU_CYCLE_1) | instskip(NEXT) | instid1(SALU_CYCLE_1)
	s_lshl_b64 s[6:7], s[2:3], 3
	s_add_u32 s6, s4, s6
	s_addc_u32 s7, s5, s7
	s_load_b64 s[6:7], s[6:7], 0x0
	s_waitcnt lgkmcnt(0)
	s_sub_u32 s34, s6, s28
	s_subb_u32 s35, s7, 0
	s_and_not1_b32 vcc_lo, exec_lo, s52
	s_mov_b64 s[40:41], 0
	s_cbranch_vccnz .LBB181_9
.LBB181_11:
	s_waitcnt lgkmcnt(0)
	s_ashr_i32 s3, s2, 31
	s_delay_alu instid0(SALU_CYCLE_1) | instskip(NEXT) | instid1(SALU_CYCLE_1)
	s_lshl_b64 s[6:7], s[2:3], 3
	s_add_u32 s4, s4, s6
	s_addc_u32 s5, s5, s7
	s_load_b64 s[4:5], s[4:5], 0x8
	s_waitcnt lgkmcnt(0)
	s_sub_u32 s40, s4, s28
	s_subb_u32 s41, s5, 0
	s_load_b128 s[36:39], s[0:1], 0x0
	s_waitcnt lgkmcnt(0)
	s_cmp_lt_i32 s37, 1
	s_cbranch_scc1 .LBB181_90
.LBB181_12:
	s_clause 0x4
	s_load_b256 s[12:19], s[0:1], 0x60
	s_load_b64 s[42:43], s[0:1], 0x90
	s_load_b128 s[8:11], s[0:1], 0x80
	s_load_b64 s[46:47], s[0:1], 0x50
	s_load_b256 s[20:27], s[0:1], 0x30
	v_bfe_u32 v5, v0, 3, 3
	v_dual_mov_b32 v2, 0 :: v_dual_and_b32 v7, 63, v0
	v_and_b32_e32 v26, 7, v0
	s_ashr_i32 s3, s2, 31
	s_delay_alu instid0(VALU_DEP_3)
	v_mul_lo_u32 v1, v5, s38
	s_lshl_b64 s[4:5], s[2:3], 3
	v_lshlrev_b32_e32 v9, 2, v5
	v_max_i32_e32 v6, v26, v5
	v_lshlrev_b32_e32 v8, 2, v26
	v_lshrrev_b32_e32 v25, 6, v0
	v_cmp_lt_i64_e64 s39, s[34:35], s[40:41]
	v_dual_mov_b32 v48, 1 :: v_dual_and_b32 v15, 15, v0
	v_lshlrev_b64 v[3:4], 2, v[1:2]
	s_waitcnt lgkmcnt(0)
	s_add_u32 s2, s18, s4
	v_mul_lo_u32 v1, v26, s38
	s_addc_u32 s3, s19, s5
	v_cmp_gt_u32_e64 s0, 16, v0
	s_load_b64 s[6:7], s[2:3], 0x0
	v_cmp_gt_i32_e64 s2, s38, v6
	v_add_co_u32 v10, vcc_lo, s22, v3
	v_add_co_ci_u32_e32 v11, vcc_lo, s23, v4, vcc_lo
	v_lshlrev_b64 v[5:6], 2, v[1:2]
	v_add_co_u32 v1, vcc_lo, s10, v3
	v_add_co_ci_u32_e32 v12, vcc_lo, s11, v4, vcc_lo
	v_add_co_u32 v29, s3, v10, v8
	s_delay_alu instid0(VALU_DEP_4) | instskip(SKIP_2) | instid1(VALU_DEP_3)
	v_add_co_u32 v13, vcc_lo, s10, v5
	v_add_co_ci_u32_e32 v14, vcc_lo, s11, v6, vcc_lo
	v_add_co_ci_u32_e64 v30, s3, 0, v11, s3
	v_add_co_u32 v13, vcc_lo, v13, v9
	s_delay_alu instid0(VALU_DEP_3)
	v_add_co_ci_u32_e32 v14, vcc_lo, 0, v14, vcc_lo
	v_add_co_u32 v1, vcc_lo, v1, v8
	s_waitcnt lgkmcnt(0)
	s_sub_u32 s10, s6, s30
	s_subb_u32 s11, s7, 0
	v_add_co_ci_u32_e32 v12, vcc_lo, 0, v12, vcc_lo
	v_add_co_u32 v10, s3, s16, v5
	s_cmp_eq_u32 s36, 0
	v_add_co_ci_u32_e64 v11, s3, s17, v6, s3
	s_cselect_b32 vcc_lo, -1, 0
	v_sub_co_u32 v32, s3, v25, s31
	s_delay_alu instid0(VALU_DEP_1) | instskip(SKIP_2) | instid1(VALU_DEP_1)
	v_sub_co_ci_u32_e64 v33, null, 0, 0, s3
	v_cndmask_b32_e32 v40, v14, v12, vcc_lo
	v_add_co_u32 v10, s3, v10, v9
	v_add_co_ci_u32_e64 v11, s3, 0, v11, s3
	v_add_co_u32 v3, s3, s16, v3
	s_delay_alu instid0(VALU_DEP_1) | instskip(SKIP_1) | instid1(VALU_DEP_2)
	v_add_co_ci_u32_e64 v4, s3, s17, v4, s3
	s_cmp_lg_u32 s36, 0
	v_add_co_u32 v3, s3, v3, v8
	s_delay_alu instid0(VALU_DEP_1)
	v_add_co_ci_u32_e64 v4, s3, 0, v4, s3
	s_cselect_b32 s36, -1, 0
	s_cmp_gt_i32 s38, 0
	v_cndmask_b32_e32 v41, v13, v1, vcc_lo
	s_cselect_b32 s49, -1, 0
	s_add_u32 s12, s12, s4
	v_dual_cndmask_b32 v4, v11, v4 :: v_dual_lshlrev_b32 v1, 8, v25
	s_addc_u32 s13, s13, s5
	s_and_b32 s52, s52, s39
	s_add_u32 s53, s24, 8
	v_cmp_eq_u32_e64 s1, 0, v0
	v_dual_mov_b32 v50, 16 :: v_dual_lshlrev_b32 v27, 2, v0
	v_and_b32_e32 v31, 56, v0
	v_lshlrev_b32_e32 v16, 2, v15
	v_add_co_u32 v17, s51, v15, -1
	v_cndmask_b32_e32 v3, v10, v3, vcc_lo
	s_addc_u32 s54, s25, 0
	v_or_b32_e32 v42, 0xffffff00, v0
	v_add_co_u32 v0, vcc_lo, s46, v5
	s_add_u32 s55, s8, -4
	v_add_co_u32 v5, s8, s46, v8
	v_or3_b32 v43, v1, v9, 0x1000
	v_add_co_ci_u32_e32 v1, vcc_lo, s47, v6, vcc_lo
	v_add_co_ci_u32_e64 v6, null, s47, 0, s8
	s_movk_i32 s8, 0x3e0
	v_add_co_u32 v45, vcc_lo, v32, 4
	s_mov_b32 s45, 0
	v_cmp_eq_u32_e64 s3, 63, v7
	v_mov_b32_e32 v7, s10
	v_or_b32_e32 v28, 0x1000, v27
	v_or_b32_e32 v34, 0x1400, v16
	v_lshl_add_u32 v35, v17, 2, 0x1400
	v_or_b32_e32 v36, 0x1400, v27
	v_cmp_ne_u32_e64 s4, 0, v15
	v_cmp_lt_u32_e64 s5, 1, v15
	v_add_nc_u32_e32 v37, 0x13f8, v16
	v_cmp_lt_u32_e64 s6, 3, v15
	v_dual_mov_b32 v49, 0 :: v_dual_add_nc_u32 v38, 0x13f0, v16
	v_cmp_lt_u32_e64 s7, 7, v15
	v_add_nc_u32_e32 v39, 0x13e0, v16
	v_and_or_b32 v44, v27, s8, 0x1000
	v_add_co_ci_u32_e32 v46, vcc_lo, 0, v33, vcc_lo
	v_lshl_or_b32 v47, v25, 2, 0x1400
	v_mov_b32_e32 v8, s11
	s_mul_i32 s44, s38, s38
	s_mov_b32 s39, s45
	s_mov_b32 s48, s29
	;; [unrolled: 1-line block ×3, first 2 shown]
	s_addc_u32 s56, s9, -1
	s_lshl_b64 s[16:17], s[44:45], 2
	s_lshl_b64 s[18:19], s[38:39], 2
	;; [unrolled: 1-line block ×3, first 2 shown]
	s_branch .LBB181_14
.LBB181_13:                             ;   in Loop: Header=BB181_14 Depth=1
	s_set_inst_prefetch_distance 0x2
	s_or_b32 exec_lo, exec_lo, s8
	s_waitcnt_vscnt null, 0x0
	s_barrier
	buffer_gl0_inv
	ds_load_b32 v49, v2 offset:5184
	v_ashrrev_i32_e32 v10, 31, v9
	v_add_co_u32 v7, s8, v7, v9
	s_waitcnt lgkmcnt(0)
	s_barrier
	s_delay_alu instid0(VALU_DEP_2)
	v_add_co_ci_u32_e64 v8, s8, v8, v10, s8
	buffer_gl0_inv
	v_cmp_le_i32_e32 vcc_lo, s37, v49
	v_add_nc_u32_e32 v50, 16, v49
	s_cbranch_vccnz .LBB181_90
.LBB181_14:                             ; =>This Loop Header: Depth=1
                                        ;     Child Loop BB181_17 Depth 2
                                        ;     Child Loop BB181_23 Depth 2
                                        ;       Child Loop BB181_36 Depth 3
                                        ;         Child Loop BB181_45 Depth 4
                                        ;         Child Loop BB181_50 Depth 4
                                        ;     Child Loop BB181_61 Depth 2
                                        ;     Child Loop BB181_70 Depth 2
	;; [unrolled: 1-line block ×3, first 2 shown]
	s_and_saveexec_b32 s8, s0
	s_cbranch_execz .LBB181_16
; %bb.15:                               ;   in Loop: Header=BB181_14 Depth=1
	ds_store_b32 v36, v2
.LBB181_16:                             ;   in Loop: Header=BB181_14 Depth=1
	s_or_b32 exec_lo, exec_lo, s8
	v_dual_mov_b32 v9, v27 :: v_dual_mov_b32 v10, v42
	s_mov_b32 s8, 0
.LBB181_17:                             ;   Parent Loop BB181_14 Depth=1
                                        ; =>  This Inner Loop Header: Depth=2
	s_delay_alu instid0(VALU_DEP_1) | instskip(SKIP_4) | instid1(SALU_CYCLE_1)
	v_add_nc_u32_e32 v10, 0x100, v10
	ds_store_b32 v9, v2
	v_add_nc_u32_e32 v9, 0x400, v9
	v_cmp_lt_u32_e32 vcc_lo, 0x2ff, v10
	s_or_b32 s8, vcc_lo, s8
	s_and_not1_b32 exec_lo, exec_lo, s8
	s_cbranch_execnz .LBB181_17
; %bb.18:                               ;   in Loop: Header=BB181_14 Depth=1
	s_or_b32 exec_lo, exec_lo, s8
	s_and_saveexec_b32 s8, s1
	s_cbranch_execz .LBB181_20
; %bb.19:                               ;   in Loop: Header=BB181_14 Depth=1
	v_mov_b32_e32 v9, s37
	ds_store_b32 v2, v9 offset:5184
.LBB181_20:                             ;   in Loop: Header=BB181_14 Depth=1
	s_or_b32 exec_lo, exec_lo, s8
	v_mov_b32_e32 v51, s37
	s_and_not1_b32 vcc_lo, exec_lo, s52
	s_waitcnt lgkmcnt(0)
	s_barrier
	buffer_gl0_inv
	s_cbranch_vccnz .LBB181_56
; %bb.21:                               ;   in Loop: Header=BB181_14 Depth=1
	v_cmp_ne_u32_e64 s8, 0, v49
	v_mov_b32_e32 v51, s37
	s_mov_b64 s[46:47], s[34:35]
	s_branch .LBB181_23
.LBB181_22:                             ;   in Loop: Header=BB181_23 Depth=2
	s_or_b32 exec_lo, exec_lo, s10
	s_add_u32 s46, s46, 4
	s_addc_u32 s47, s47, 0
	s_delay_alu instid0(SALU_CYCLE_1) | instskip(NEXT) | instid1(VALU_DEP_1)
	v_cmp_lt_i64_e64 s9, s[46:47], s[40:41]
	s_and_b32 vcc_lo, exec_lo, s9
	s_cbranch_vccz .LBB181_56
.LBB181_23:                             ;   Parent Loop BB181_14 Depth=1
                                        ; =>  This Loop Header: Depth=2
                                        ;       Child Loop BB181_36 Depth 3
                                        ;         Child Loop BB181_45 Depth 4
                                        ;         Child Loop BB181_50 Depth 4
	v_add_co_u32 v9, s9, s46, v25
	s_delay_alu instid0(VALU_DEP_1) | instskip(NEXT) | instid1(VALU_DEP_1)
	v_add_co_ci_u32_e64 v10, null, s47, 0, s9
	s_waitcnt_vscnt null, 0x0
	s_barrier
	buffer_gl0_inv
	v_cmp_gt_i64_e64 s9, s[40:41], v[9:10]
	s_delay_alu instid0(VALU_DEP_1)
	s_and_saveexec_b32 s10, s9
	s_cbranch_execz .LBB181_27
; %bb.24:                               ;   in Loop: Header=BB181_23 Depth=2
	v_mov_b32_e32 v11, 0
	s_and_saveexec_b32 s11, s2
	s_cbranch_execz .LBB181_26
; %bb.25:                               ;   in Loop: Header=BB181_23 Depth=2
	v_mad_u64_u32 v[11:12], null, v9, s44, 0
	s_delay_alu instid0(VALU_DEP_1) | instskip(NEXT) | instid1(VALU_DEP_1)
	v_mad_u64_u32 v[13:14], null, v10, s44, v[12:13]
	v_mov_b32_e32 v12, v13
	s_delay_alu instid0(VALU_DEP_1) | instskip(NEXT) | instid1(VALU_DEP_1)
	v_lshlrev_b64 v[11:12], 2, v[11:12]
	v_add_co_u32 v11, vcc_lo, v29, v11
	s_delay_alu instid0(VALU_DEP_2)
	v_add_co_ci_u32_e32 v12, vcc_lo, v30, v12, vcc_lo
	global_load_b32 v11, v[11:12], off
.LBB181_26:                             ;   in Loop: Header=BB181_23 Depth=2
	s_or_b32 exec_lo, exec_lo, s11
	s_waitcnt vmcnt(0)
	ds_store_b32 v28, v11
.LBB181_27:                             ;   in Loop: Header=BB181_23 Depth=2
	s_or_b32 exec_lo, exec_lo, s10
	v_mov_b32_e32 v11, 0
	v_mov_b32_e32 v12, 0
	s_waitcnt lgkmcnt(0)
	s_barrier
	buffer_gl0_inv
	s_and_saveexec_b32 s11, s9
	s_cbranch_execz .LBB181_53
; %bb.28:                               ;   in Loop: Header=BB181_23 Depth=2
	v_lshlrev_b64 v[11:12], 2, v[9:10]
	s_delay_alu instid0(VALU_DEP_1) | instskip(NEXT) | instid1(VALU_DEP_2)
	v_add_co_u32 v11, vcc_lo, s20, v11
	v_add_co_ci_u32_e32 v12, vcc_lo, s21, v12, vcc_lo
	s_and_b32 vcc_lo, exec_lo, s8
	global_load_b32 v11, v[11:12], off
	s_waitcnt vmcnt(0)
	v_subrev_nc_u32_e32 v13, s28, v11
	s_delay_alu instid0(VALU_DEP_1)
	v_ashrrev_i32_e32 v14, 31, v13
	s_cbranch_vccz .LBB181_55
; %bb.29:                               ;   in Loop: Header=BB181_23 Depth=2
	v_lshlrev_b64 v[11:12], 3, v[9:10]
	s_delay_alu instid0(VALU_DEP_1) | instskip(NEXT) | instid1(VALU_DEP_2)
	v_add_co_u32 v11, vcc_lo, s42, v11
	v_add_co_ci_u32_e32 v12, vcc_lo, s43, v12, vcc_lo
	global_load_b64 v[11:12], v[11:12], off
	s_cbranch_execnz .LBB181_31
.LBB181_30:                             ;   in Loop: Header=BB181_23 Depth=2
	s_waitcnt vmcnt(0)
	s_delay_alu instid0(VALU_DEP_1) | instskip(NEXT) | instid1(VALU_DEP_1)
	v_lshlrev_b64 v[11:12], 3, v[13:14]
	v_add_co_u32 v11, vcc_lo, s24, v11
	s_delay_alu instid0(VALU_DEP_2)
	v_add_co_ci_u32_e32 v12, vcc_lo, s25, v12, vcc_lo
	global_load_b64 v[11:12], v[11:12], off
	s_waitcnt vmcnt(0)
	v_sub_co_u32 v11, vcc_lo, v11, s48
	v_subrev_co_ci_u32_e32 v12, vcc_lo, 0, v12, vcc_lo
.LBB181_31:                             ;   in Loop: Header=BB181_23 Depth=2
	v_lshlrev_b64 v[13:14], 3, v[13:14]
	s_mov_b32 s39, exec_lo
	s_delay_alu instid0(VALU_DEP_1) | instskip(NEXT) | instid1(VALU_DEP_2)
	v_add_co_u32 v13, vcc_lo, s53, v13
	v_add_co_ci_u32_e32 v14, vcc_lo, s54, v14, vcc_lo
	global_load_b64 v[13:14], v[13:14], off
	s_waitcnt vmcnt(0)
	v_sub_co_u32 v13, vcc_lo, v13, s48
	v_subrev_co_ci_u32_e32 v14, vcc_lo, 0, v14, vcc_lo
	s_delay_alu instid0(VALU_DEP_1)
	v_cmpx_lt_i64_e64 v[11:12], v[13:14]
	s_cbranch_execz .LBB181_52
; %bb.32:                               ;   in Loop: Header=BB181_23 Depth=2
	v_mad_u64_u32 v[15:16], null, s16, v11, v[0:1]
	v_mul_lo_u32 v19, s16, v12
	v_mul_lo_u32 v20, s17, v11
	v_mad_u64_u32 v[17:18], null, s16, v11, v[5:6]
	s_mov_b32 s45, 0
	s_delay_alu instid0(VALU_DEP_2) | instskip(NEXT) | instid1(VALU_DEP_2)
	v_add3_u32 v16, v20, v16, v19
	v_add3_u32 v18, v20, v18, v19
	v_dual_mov_b32 v20, v12 :: v_dual_mov_b32 v19, v11
	s_branch .LBB181_36
.LBB181_33:                             ;   in Loop: Header=BB181_36 Depth=3
	s_delay_alu instid0(VALU_DEP_1) | instskip(NEXT) | instid1(VALU_DEP_1)
	v_dual_mul_f32 v22, v23, v53 :: v_dual_lshlrev_b32 v21, 6, v52
	v_or3_b32 v21, v21, v31, v26
	s_delay_alu instid0(VALU_DEP_1)
	v_lshlrev_b32_e32 v21, 2, v21
	ds_add_f32 v21, v22
.LBB181_34:                             ;   in Loop: Header=BB181_36 Depth=3
	s_or_b32 exec_lo, exec_lo, s59
	s_delay_alu instid0(SALU_CYCLE_1)
	s_or_b32 s57, s57, exec_lo
.LBB181_35:                             ;   in Loop: Header=BB181_36 Depth=3
	s_or_b32 exec_lo, exec_lo, s58
	v_add_co_u32 v11, vcc_lo, v11, 1
	v_add_co_ci_u32_e32 v12, vcc_lo, 0, v12, vcc_lo
	v_add_co_u32 v15, s10, v15, s16
	s_xor_b32 s57, s57, -1
	s_delay_alu instid0(VALU_DEP_2)
	v_cmp_ge_i64_e32 vcc_lo, v[11:12], v[13:14]
	v_add_co_ci_u32_e64 v16, s10, s17, v16, s10
	s_or_b32 s10, s57, vcc_lo
	v_add_co_u32 v17, vcc_lo, v17, s16
	v_add_co_ci_u32_e32 v18, vcc_lo, s17, v18, vcc_lo
	s_and_b32 s10, exec_lo, s10
	s_delay_alu instid0(SALU_CYCLE_1) | instskip(NEXT) | instid1(SALU_CYCLE_1)
	s_or_b32 s45, s10, s45
	s_and_not1_b32 exec_lo, exec_lo, s45
	s_cbranch_execz .LBB181_51
.LBB181_36:                             ;   Parent Loop BB181_14 Depth=1
                                        ;     Parent Loop BB181_23 Depth=2
                                        ; =>    This Loop Header: Depth=3
                                        ;         Child Loop BB181_45 Depth 4
                                        ;         Child Loop BB181_50 Depth 4
	v_lshlrev_b64 v[21:22], 2, v[11:12]
                                        ; implicit-def: $sgpr57
	s_delay_alu instid0(VALU_DEP_1) | instskip(NEXT) | instid1(VALU_DEP_2)
	v_add_co_u32 v21, vcc_lo, s26, v21
	v_add_co_ci_u32_e32 v22, vcc_lo, s27, v22, vcc_lo
	global_load_b32 v21, v[21:22], off
	s_waitcnt vmcnt(0)
	v_subrev_nc_u32_e32 v21, s29, v21
	s_delay_alu instid0(VALU_DEP_1) | instskip(SKIP_1) | instid1(VALU_DEP_2)
	v_cmp_lt_i32_e64 s10, v21, v49
	v_cmp_ge_i32_e32 vcc_lo, v21, v50
	s_or_b32 s10, s10, vcc_lo
	s_delay_alu instid0(SALU_CYCLE_1) | instskip(NEXT) | instid1(SALU_CYCLE_1)
	s_and_saveexec_b32 s58, s10
	s_xor_b32 s10, exec_lo, s58
	s_cbranch_execz .LBB181_40
; %bb.37:                               ;   in Loop: Header=BB181_36 Depth=3
	s_mov_b32 s57, -1
	s_and_saveexec_b32 s58, vcc_lo
; %bb.38:                               ;   in Loop: Header=BB181_36 Depth=3
	v_min_i32_e32 v51, v21, v51
	v_dual_mov_b32 v20, v12 :: v_dual_mov_b32 v19, v11
	s_xor_b32 s57, exec_lo, -1
; %bb.39:                               ;   in Loop: Header=BB181_36 Depth=3
	s_or_b32 exec_lo, exec_lo, s58
	s_delay_alu instid0(SALU_CYCLE_1)
	s_and_b32 s57, s57, exec_lo
                                        ; implicit-def: $vgpr21
.LBB181_40:                             ;   in Loop: Header=BB181_36 Depth=3
	s_and_not1_saveexec_b32 s58, s10
	s_cbranch_execz .LBB181_35
; %bb.41:                               ;   in Loop: Header=BB181_36 Depth=3
	v_sub_nc_u32_e32 v52, v21, v49
	s_delay_alu instid0(VALU_DEP_1)
	v_lshlrev_b32_e32 v21, 2, v52
	ds_store_b32 v21, v48 offset:5120
	s_and_saveexec_b32 s59, s2
	s_cbranch_execz .LBB181_34
; %bb.42:                               ;   in Loop: Header=BB181_36 Depth=3
	v_cndmask_b32_e64 v21, 0, 1, s49
	s_and_not1_b32 vcc_lo, exec_lo, s36
	s_delay_alu instid0(VALU_DEP_1)
	v_cmp_ne_u32_e64 s10, 1, v21
	s_cbranch_vccnz .LBB181_47
; %bb.43:                               ;   in Loop: Header=BB181_36 Depth=3
	v_mov_b32_e32 v53, 0
	s_delay_alu instid0(VALU_DEP_2)
	s_and_b32 vcc_lo, exec_lo, s10
	s_cbranch_vccnz .LBB181_46
; %bb.44:                               ;   in Loop: Header=BB181_36 Depth=3
	v_dual_mov_b32 v22, v16 :: v_dual_mov_b32 v21, v15
	v_mov_b32_e32 v54, v43
	s_mov_b32 s10, s38
.LBB181_45:                             ;   Parent Loop BB181_14 Depth=1
                                        ;     Parent Loop BB181_23 Depth=2
                                        ;       Parent Loop BB181_36 Depth=3
                                        ; =>      This Inner Loop Header: Depth=4
	global_load_b32 v55, v[21:22], off
	ds_load_b32 v56, v54
	v_add_co_u32 v21, vcc_lo, v21, 4
	v_add_nc_u32_e32 v54, 32, v54
	v_add_co_ci_u32_e32 v22, vcc_lo, 0, v22, vcc_lo
	s_add_i32 s10, s10, -1
	s_delay_alu instid0(SALU_CYCLE_1)
	s_cmp_lg_u32 s10, 0
	s_waitcnt vmcnt(0) lgkmcnt(0)
	v_fmac_f32_e32 v53, v56, v55
	s_cbranch_scc1 .LBB181_45
.LBB181_46:                             ;   in Loop: Header=BB181_36 Depth=3
	s_cbranch_execnz .LBB181_33
	s_branch .LBB181_48
.LBB181_47:                             ;   in Loop: Header=BB181_36 Depth=3
                                        ; implicit-def: $vgpr53
.LBB181_48:                             ;   in Loop: Header=BB181_36 Depth=3
	v_mov_b32_e32 v53, 0
	s_and_not1_b32 vcc_lo, exec_lo, s49
	s_cbranch_vccnz .LBB181_33
; %bb.49:                               ;   in Loop: Header=BB181_36 Depth=3
	v_mov_b32_e32 v22, v18
	v_dual_mov_b32 v54, v44 :: v_dual_mov_b32 v21, v17
	s_mov_b32 s10, s38
.LBB181_50:                             ;   Parent Loop BB181_14 Depth=1
                                        ;     Parent Loop BB181_23 Depth=2
                                        ;       Parent Loop BB181_36 Depth=3
                                        ; =>      This Inner Loop Header: Depth=4
	global_load_b32 v55, v[21:22], off
	ds_load_b32 v56, v54
	v_add_co_u32 v21, vcc_lo, v21, s18
	v_add_co_ci_u32_e32 v22, vcc_lo, s19, v22, vcc_lo
	v_add_nc_u32_e32 v54, 4, v54
	s_add_i32 s10, s10, -1
	s_delay_alu instid0(SALU_CYCLE_1)
	s_cmp_eq_u32 s10, 0
	s_waitcnt vmcnt(0) lgkmcnt(0)
	v_fmac_f32_e32 v53, v56, v55
	s_cbranch_scc0 .LBB181_50
	s_branch .LBB181_33
.LBB181_51:                             ;   in Loop: Header=BB181_23 Depth=2
	s_or_b32 exec_lo, exec_lo, s45
	v_dual_mov_b32 v11, v19 :: v_dual_mov_b32 v12, v20
.LBB181_52:                             ;   in Loop: Header=BB181_23 Depth=2
	s_or_b32 exec_lo, exec_lo, s39
.LBB181_53:                             ;   in Loop: Header=BB181_23 Depth=2
	s_delay_alu instid0(SALU_CYCLE_1)
	s_or_b32 exec_lo, exec_lo, s11
	s_waitcnt lgkmcnt(0)
	s_barrier
	buffer_gl0_inv
	s_and_saveexec_b32 s10, s9
	s_cbranch_execz .LBB181_22
; %bb.54:                               ;   in Loop: Header=BB181_23 Depth=2
	v_lshlrev_b64 v[9:10], 3, v[9:10]
	s_delay_alu instid0(VALU_DEP_1) | instskip(NEXT) | instid1(VALU_DEP_2)
	v_add_co_u32 v9, vcc_lo, s42, v9
	v_add_co_ci_u32_e32 v10, vcc_lo, s43, v10, vcc_lo
	global_store_b64 v[9:10], v[11:12], off
	s_branch .LBB181_22
.LBB181_55:                             ;   in Loop: Header=BB181_23 Depth=2
                                        ; implicit-def: $vgpr11_vgpr12
	s_branch .LBB181_30
.LBB181_56:                             ;   in Loop: Header=BB181_14 Depth=1
	s_and_not1_b32 vcc_lo, exec_lo, s33
	s_cbranch_vccnz .LBB181_68
; %bb.57:                               ;   in Loop: Header=BB181_14 Depth=1
	s_load_b128 s[8:11], s[12:13], 0x0
	s_mov_b32 s39, exec_lo
	s_waitcnt lgkmcnt(0)
	v_add_co_u32 v11, vcc_lo, s8, v32
	v_add_co_ci_u32_e32 v12, vcc_lo, s9, v33, vcc_lo
	s_sub_u32 s10, s10, s50
	s_subb_u32 s11, s11, 0
	s_delay_alu instid0(VALU_DEP_1) | instid1(SALU_CYCLE_1)
	v_cmpx_gt_i64_e64 s[10:11], v[11:12]
	s_cbranch_execz .LBB181_67
; %bb.58:                               ;   in Loop: Header=BB181_14 Depth=1
	v_lshlrev_b64 v[13:14], 2, v[11:12]
	v_mad_u64_u32 v[9:10], null, s16, v11, v[3:4]
	v_mul_lo_u32 v15, s16, v12
	v_mul_lo_u32 v16, s17, v11
	s_mov_b32 s45, 0
	s_delay_alu instid0(VALU_DEP_4) | instskip(SKIP_2) | instid1(VALU_DEP_4)
	v_add_co_u32 v11, vcc_lo, s14, v13
	v_add_co_ci_u32_e32 v12, vcc_lo, s15, v14, vcc_lo
	v_add_co_u32 v13, vcc_lo, v45, s8
	v_add3_u32 v10, v16, v10, v15
	v_add_co_ci_u32_e32 v14, vcc_lo, s9, v46, vcc_lo
	s_branch .LBB181_61
.LBB181_59:                             ;   in Loop: Header=BB181_61 Depth=2
	s_or_b32 exec_lo, exec_lo, s46
	s_delay_alu instid0(SALU_CYCLE_1)
	s_or_b32 s8, s8, exec_lo
.LBB181_60:                             ;   in Loop: Header=BB181_61 Depth=2
	s_or_b32 exec_lo, exec_lo, s9
	v_cmp_le_i64_e32 vcc_lo, s[10:11], v[13:14]
	s_xor_b32 s9, s8, -1
	v_add_co_u32 v11, s8, v11, 16
	s_delay_alu instid0(VALU_DEP_1)
	v_add_co_ci_u32_e64 v12, s8, 0, v12, s8
	s_or_b32 s8, s9, vcc_lo
	v_add_co_u32 v9, vcc_lo, v9, s22
	v_add_co_ci_u32_e32 v10, vcc_lo, s23, v10, vcc_lo
	v_add_co_u32 v13, vcc_lo, v13, 4
	v_add_co_ci_u32_e32 v14, vcc_lo, 0, v14, vcc_lo
	s_and_b32 s8, exec_lo, s8
	s_delay_alu instid0(SALU_CYCLE_1) | instskip(NEXT) | instid1(SALU_CYCLE_1)
	s_or_b32 s45, s8, s45
	s_and_not1_b32 exec_lo, exec_lo, s45
	s_cbranch_execz .LBB181_66
.LBB181_61:                             ;   Parent Loop BB181_14 Depth=1
                                        ; =>  This Inner Loop Header: Depth=2
	global_load_b32 v15, v[11:12], off
	s_waitcnt vmcnt(0)
	v_subrev_nc_u32_e32 v15, s31, v15
	s_delay_alu instid0(VALU_DEP_1) | instskip(SKIP_2) | instid1(VALU_DEP_2)
	v_cmp_lt_i32_e64 s8, v15, v49
	v_cmp_ge_i32_e64 s9, v15, v50
	v_cmp_lt_i32_e32 vcc_lo, v15, v50
	s_or_b32 s9, s8, s9
                                        ; implicit-def: $sgpr8
	s_delay_alu instid0(SALU_CYCLE_1) | instskip(NEXT) | instid1(SALU_CYCLE_1)
	s_and_saveexec_b32 s46, s9
	s_xor_b32 s9, exec_lo, s46
; %bb.62:                               ;   in Loop: Header=BB181_61 Depth=2
	v_min_i32_e32 v15, v15, v51
	s_and_b32 s8, vcc_lo, exec_lo
	s_delay_alu instid0(VALU_DEP_1)
	v_cndmask_b32_e32 v51, v15, v51, vcc_lo
                                        ; implicit-def: $vgpr15
; %bb.63:                               ;   in Loop: Header=BB181_61 Depth=2
	s_and_not1_saveexec_b32 s9, s9
	s_cbranch_execz .LBB181_60
; %bb.64:                               ;   in Loop: Header=BB181_61 Depth=2
	v_sub_nc_u32_e32 v15, v15, v49
	s_delay_alu instid0(VALU_DEP_1)
	v_lshlrev_b32_e32 v16, 2, v15
	ds_store_b32 v16, v48 offset:5120
	s_and_saveexec_b32 s46, s2
	s_cbranch_execz .LBB181_59
; %bb.65:                               ;   in Loop: Header=BB181_61 Depth=2
	global_load_b32 v16, v[9:10], off
	s_waitcnt vmcnt(0)
	v_dual_mul_f32 v16, v24, v16 :: v_dual_lshlrev_b32 v15, 6, v15
	s_delay_alu instid0(VALU_DEP_1) | instskip(NEXT) | instid1(VALU_DEP_1)
	v_or3_b32 v15, v15, v31, v26
	v_lshlrev_b32_e32 v15, 2, v15
	ds_add_f32 v15, v16
	s_branch .LBB181_59
.LBB181_66:                             ;   in Loop: Header=BB181_14 Depth=1
	s_or_b32 exec_lo, exec_lo, s45
.LBB181_67:                             ;   in Loop: Header=BB181_14 Depth=1
	s_delay_alu instid0(SALU_CYCLE_1)
	s_or_b32 exec_lo, exec_lo, s39
.LBB181_68:                             ;   in Loop: Header=BB181_14 Depth=1
	s_and_saveexec_b32 s8, s3
	s_cbranch_execz .LBB181_73
; %bb.69:                               ;   in Loop: Header=BB181_14 Depth=1
	s_mov_b32 s10, exec_lo
	s_brev_b32 s9, -2
.LBB181_70:                             ;   Parent Loop BB181_14 Depth=1
                                        ; =>  This Inner Loop Header: Depth=2
	s_ctz_i32_b32 s11, s10
	s_delay_alu instid0(SALU_CYCLE_1) | instskip(SKIP_1) | instid1(SALU_CYCLE_1)
	v_readlane_b32 s39, v51, s11
	s_lshl_b32 s11, 1, s11
	s_and_not1_b32 s10, s10, s11
	s_delay_alu instid0(VALU_DEP_1)
	s_min_i32 s9, s9, s39
	s_cmp_lg_u32 s10, 0
	s_cbranch_scc1 .LBB181_70
; %bb.71:                               ;   in Loop: Header=BB181_14 Depth=1
	v_mbcnt_lo_u32_b32 v9, exec_lo, 0
	s_mov_b32 s10, exec_lo
	s_delay_alu instid0(VALU_DEP_1)
	v_cmpx_eq_u32_e32 0, v9
	s_xor_b32 s10, exec_lo, s10
	s_cbranch_execz .LBB181_73
; %bb.72:                               ;   in Loop: Header=BB181_14 Depth=1
	v_mov_b32_e32 v9, s9
	ds_min_i32 v2, v9 offset:5184
.LBB181_73:                             ;   in Loop: Header=BB181_14 Depth=1
	s_or_b32 exec_lo, exec_lo, s8
	s_waitcnt lgkmcnt(0)
	s_waitcnt_vscnt null, 0x0
	s_barrier
	buffer_gl0_inv
	ds_load_b32 v10, v34
	s_waitcnt lgkmcnt(0)
	s_barrier
	buffer_gl0_inv
	s_and_saveexec_b32 s8, s4
	s_cbranch_execz .LBB181_75
; %bb.74:                               ;   in Loop: Header=BB181_14 Depth=1
	ds_load_b32 v9, v35
	s_waitcnt lgkmcnt(0)
	v_add_nc_u32_e32 v10, v9, v10
.LBB181_75:                             ;   in Loop: Header=BB181_14 Depth=1
	s_or_b32 exec_lo, exec_lo, s8
	s_barrier
	buffer_gl0_inv
	ds_store_b32 v34, v10
	s_waitcnt lgkmcnt(0)
	s_barrier
	buffer_gl0_inv
	s_and_saveexec_b32 s8, s5
	s_cbranch_execz .LBB181_77
; %bb.76:                               ;   in Loop: Header=BB181_14 Depth=1
	ds_load_b32 v9, v37
	s_waitcnt lgkmcnt(0)
	v_add_nc_u32_e32 v10, v9, v10
.LBB181_77:                             ;   in Loop: Header=BB181_14 Depth=1
	s_or_b32 exec_lo, exec_lo, s8
	s_barrier
	buffer_gl0_inv
	ds_store_b32 v34, v10
	;; [unrolled: 14-line block ×4, first 2 shown]
	s_waitcnt lgkmcnt(0)
	s_barrier
	buffer_gl0_inv
	ds_load_b32 v9, v2 offset:5180
	v_mov_b32_e32 v11, 0
	s_and_saveexec_b32 s8, s51
	s_cbranch_execz .LBB181_83
; %bb.82:                               ;   in Loop: Header=BB181_14 Depth=1
	ds_load_b32 v11, v35
.LBB181_83:                             ;   in Loop: Header=BB181_14 Depth=1
	s_or_b32 exec_lo, exec_lo, s8
	s_waitcnt lgkmcnt(0)
	v_cmp_eq_u32_e32 vcc_lo, v10, v11
	s_barrier
	buffer_gl0_inv
	s_and_b32 s9, s51, vcc_lo
	s_delay_alu instid0(SALU_CYCLE_1)
	s_and_saveexec_b32 s8, s9
	s_cbranch_execz .LBB181_85
; %bb.84:                               ;   in Loop: Header=BB181_14 Depth=1
	ds_store_b32 v34, v2
.LBB181_85:                             ;   in Loop: Header=BB181_14 Depth=1
	s_or_b32 exec_lo, exec_lo, s8
	v_add_co_u32 v10, vcc_lo, v7, -1
	v_add_co_ci_u32_e32 v11, vcc_lo, -1, v8, vcc_lo
	v_dual_mov_b32 v13, v47 :: v_dual_add_nc_u32 v12, s30, v49
	v_dual_mov_b32 v14, v27 :: v_dual_mov_b32 v15, v25
	s_mov_b32 s8, 0
	s_waitcnt lgkmcnt(0)
	s_barrier
	buffer_gl0_inv
	s_set_inst_prefetch_distance 0x1
	s_branch .LBB181_87
	.p2align	6
.LBB181_86:                             ;   in Loop: Header=BB181_87 Depth=2
	s_or_b32 exec_lo, exec_lo, s9
	v_add_nc_u32_e32 v16, 4, v15
	v_cmp_lt_u32_e32 vcc_lo, 11, v15
	v_add_nc_u32_e32 v14, 0x400, v14
	v_add_nc_u32_e32 v13, 16, v13
	s_delay_alu instid0(VALU_DEP_4) | instskip(SKIP_1) | instid1(SALU_CYCLE_1)
	v_mov_b32_e32 v15, v16
	s_or_b32 s8, vcc_lo, s8
	s_and_not1_b32 exec_lo, exec_lo, s8
	s_cbranch_execz .LBB181_13
.LBB181_87:                             ;   Parent Loop BB181_14 Depth=1
                                        ; =>  This Inner Loop Header: Depth=2
	ds_load_b32 v16, v13
	s_mov_b32 s9, exec_lo
	s_waitcnt lgkmcnt(0)
	v_cmpx_ne_u32_e32 0, v16
	s_cbranch_execz .LBB181_86
; %bb.88:                               ;   in Loop: Header=BB181_87 Depth=2
	v_ashrrev_i32_e32 v17, 31, v16
	v_add_co_u32 v18, vcc_lo, v7, v16
	v_add_nc_u32_e32 v20, v12, v15
	s_delay_alu instid0(VALU_DEP_3) | instskip(NEXT) | instid1(VALU_DEP_1)
	v_add_co_ci_u32_e32 v19, vcc_lo, v8, v17, vcc_lo
	v_lshlrev_b64 v[18:19], 2, v[18:19]
	s_delay_alu instid0(VALU_DEP_1) | instskip(NEXT) | instid1(VALU_DEP_2)
	v_add_co_u32 v18, vcc_lo, s55, v18
	v_add_co_ci_u32_e32 v19, vcc_lo, s56, v19, vcc_lo
	global_store_b32 v[18:19], v20, off
	s_and_b32 exec_lo, exec_lo, s2
	s_cbranch_execz .LBB181_86
; %bb.89:                               ;   in Loop: Header=BB181_87 Depth=2
	v_add_co_u32 v18, vcc_lo, v10, v16
	v_add_co_ci_u32_e32 v20, vcc_lo, v11, v17, vcc_lo
	s_delay_alu instid0(VALU_DEP_2) | instskip(NEXT) | instid1(VALU_DEP_1)
	v_mad_u64_u32 v[16:17], null, v18, s44, 0
	v_mad_u64_u32 v[18:19], null, v20, s44, v[17:18]
	ds_load_b32 v19, v14
	v_mov_b32_e32 v17, v18
	s_delay_alu instid0(VALU_DEP_1) | instskip(NEXT) | instid1(VALU_DEP_1)
	v_lshlrev_b64 v[16:17], 2, v[16:17]
	v_add_co_u32 v16, vcc_lo, v41, v16
	s_delay_alu instid0(VALU_DEP_2)
	v_add_co_ci_u32_e32 v17, vcc_lo, v40, v17, vcc_lo
	s_waitcnt lgkmcnt(0)
	global_store_b32 v[16:17], v19, off
	s_branch .LBB181_86
.LBB181_90:
	s_endpgm
	.section	.rodata,"a",@progbits
	.p2align	6, 0x0
	.amdhsa_kernel _ZN9rocsparseL38bsrgemm_block_per_row_atomic_multipassILj256ELj16ELj8ElifEEv20rocsparse_direction_T3_S2_PKS2_S4_NS_24const_host_device_scalarIT4_EEPKT2_S4_PKS6_SA_S4_SC_S7_SA_S4_SC_SA_PS2_PS6_PS8_21rocsparse_index_base_SG_SG_SG_bbb
		.amdhsa_group_segment_fixed_size 5188
		.amdhsa_private_segment_fixed_size 0
		.amdhsa_kernarg_size 172
		.amdhsa_user_sgpr_count 15
		.amdhsa_user_sgpr_dispatch_ptr 0
		.amdhsa_user_sgpr_queue_ptr 0
		.amdhsa_user_sgpr_kernarg_segment_ptr 1
		.amdhsa_user_sgpr_dispatch_id 0
		.amdhsa_user_sgpr_private_segment_size 0
		.amdhsa_wavefront_size32 1
		.amdhsa_uses_dynamic_stack 0
		.amdhsa_enable_private_segment 0
		.amdhsa_system_sgpr_workgroup_id_x 1
		.amdhsa_system_sgpr_workgroup_id_y 0
		.amdhsa_system_sgpr_workgroup_id_z 0
		.amdhsa_system_sgpr_workgroup_info 0
		.amdhsa_system_vgpr_workitem_id 0
		.amdhsa_next_free_vgpr 57
		.amdhsa_next_free_sgpr 60
		.amdhsa_reserve_vcc 1
		.amdhsa_float_round_mode_32 0
		.amdhsa_float_round_mode_16_64 0
		.amdhsa_float_denorm_mode_32 3
		.amdhsa_float_denorm_mode_16_64 3
		.amdhsa_dx10_clamp 1
		.amdhsa_ieee_mode 1
		.amdhsa_fp16_overflow 0
		.amdhsa_workgroup_processor_mode 1
		.amdhsa_memory_ordered 1
		.amdhsa_forward_progress 0
		.amdhsa_shared_vgpr_count 0
		.amdhsa_exception_fp_ieee_invalid_op 0
		.amdhsa_exception_fp_denorm_src 0
		.amdhsa_exception_fp_ieee_div_zero 0
		.amdhsa_exception_fp_ieee_overflow 0
		.amdhsa_exception_fp_ieee_underflow 0
		.amdhsa_exception_fp_ieee_inexact 0
		.amdhsa_exception_int_div_zero 0
	.end_amdhsa_kernel
	.section	.text._ZN9rocsparseL38bsrgemm_block_per_row_atomic_multipassILj256ELj16ELj8ElifEEv20rocsparse_direction_T3_S2_PKS2_S4_NS_24const_host_device_scalarIT4_EEPKT2_S4_PKS6_SA_S4_SC_S7_SA_S4_SC_SA_PS2_PS6_PS8_21rocsparse_index_base_SG_SG_SG_bbb,"axG",@progbits,_ZN9rocsparseL38bsrgemm_block_per_row_atomic_multipassILj256ELj16ELj8ElifEEv20rocsparse_direction_T3_S2_PKS2_S4_NS_24const_host_device_scalarIT4_EEPKT2_S4_PKS6_SA_S4_SC_S7_SA_S4_SC_SA_PS2_PS6_PS8_21rocsparse_index_base_SG_SG_SG_bbb,comdat
.Lfunc_end181:
	.size	_ZN9rocsparseL38bsrgemm_block_per_row_atomic_multipassILj256ELj16ELj8ElifEEv20rocsparse_direction_T3_S2_PKS2_S4_NS_24const_host_device_scalarIT4_EEPKT2_S4_PKS6_SA_S4_SC_S7_SA_S4_SC_SA_PS2_PS6_PS8_21rocsparse_index_base_SG_SG_SG_bbb, .Lfunc_end181-_ZN9rocsparseL38bsrgemm_block_per_row_atomic_multipassILj256ELj16ELj8ElifEEv20rocsparse_direction_T3_S2_PKS2_S4_NS_24const_host_device_scalarIT4_EEPKT2_S4_PKS6_SA_S4_SC_S7_SA_S4_SC_SA_PS2_PS6_PS8_21rocsparse_index_base_SG_SG_SG_bbb
                                        ; -- End function
	.section	.AMDGPU.csdata,"",@progbits
; Kernel info:
; codeLenInByte = 3612
; NumSgprs: 62
; NumVgprs: 57
; ScratchSize: 0
; MemoryBound: 0
; FloatMode: 240
; IeeeMode: 1
; LDSByteSize: 5188 bytes/workgroup (compile time only)
; SGPRBlocks: 7
; VGPRBlocks: 7
; NumSGPRsForWavesPerEU: 62
; NumVGPRsForWavesPerEU: 57
; Occupancy: 16
; WaveLimiterHint : 1
; COMPUTE_PGM_RSRC2:SCRATCH_EN: 0
; COMPUTE_PGM_RSRC2:USER_SGPR: 15
; COMPUTE_PGM_RSRC2:TRAP_HANDLER: 0
; COMPUTE_PGM_RSRC2:TGID_X_EN: 1
; COMPUTE_PGM_RSRC2:TGID_Y_EN: 0
; COMPUTE_PGM_RSRC2:TGID_Z_EN: 0
; COMPUTE_PGM_RSRC2:TIDIG_COMP_CNT: 0
	.section	.text._ZN9rocsparseL38bsrgemm_block_per_row_atomic_multipassILj256ELj32ELj8ElifEEv20rocsparse_direction_T3_S2_PKS2_S4_NS_24const_host_device_scalarIT4_EEPKT2_S4_PKS6_SA_S4_SC_S7_SA_S4_SC_SA_PS2_PS6_PS8_21rocsparse_index_base_SG_SG_SG_bbb,"axG",@progbits,_ZN9rocsparseL38bsrgemm_block_per_row_atomic_multipassILj256ELj32ELj8ElifEEv20rocsparse_direction_T3_S2_PKS2_S4_NS_24const_host_device_scalarIT4_EEPKT2_S4_PKS6_SA_S4_SC_S7_SA_S4_SC_SA_PS2_PS6_PS8_21rocsparse_index_base_SG_SG_SG_bbb,comdat
	.globl	_ZN9rocsparseL38bsrgemm_block_per_row_atomic_multipassILj256ELj32ELj8ElifEEv20rocsparse_direction_T3_S2_PKS2_S4_NS_24const_host_device_scalarIT4_EEPKT2_S4_PKS6_SA_S4_SC_S7_SA_S4_SC_SA_PS2_PS6_PS8_21rocsparse_index_base_SG_SG_SG_bbb ; -- Begin function _ZN9rocsparseL38bsrgemm_block_per_row_atomic_multipassILj256ELj32ELj8ElifEEv20rocsparse_direction_T3_S2_PKS2_S4_NS_24const_host_device_scalarIT4_EEPKT2_S4_PKS6_SA_S4_SC_S7_SA_S4_SC_SA_PS2_PS6_PS8_21rocsparse_index_base_SG_SG_SG_bbb
	.p2align	8
	.type	_ZN9rocsparseL38bsrgemm_block_per_row_atomic_multipassILj256ELj32ELj8ElifEEv20rocsparse_direction_T3_S2_PKS2_S4_NS_24const_host_device_scalarIT4_EEPKT2_S4_PKS6_SA_S4_SC_S7_SA_S4_SC_SA_PS2_PS6_PS8_21rocsparse_index_base_SG_SG_SG_bbb,@function
_ZN9rocsparseL38bsrgemm_block_per_row_atomic_multipassILj256ELj32ELj8ElifEEv20rocsparse_direction_T3_S2_PKS2_S4_NS_24const_host_device_scalarIT4_EEPKT2_S4_PKS6_SA_S4_SC_S7_SA_S4_SC_SA_PS2_PS6_PS8_21rocsparse_index_base_SG_SG_SG_bbb: ; @_ZN9rocsparseL38bsrgemm_block_per_row_atomic_multipassILj256ELj32ELj8ElifEEv20rocsparse_direction_T3_S2_PKS2_S4_NS_24const_host_device_scalarIT4_EEPKT2_S4_PKS6_SA_S4_SC_S7_SA_S4_SC_SA_PS2_PS6_PS8_21rocsparse_index_base_SG_SG_SG_bbb
; %bb.0:
	s_clause 0x3
	s_load_b32 s3, s[0:1], 0xa8
	s_load_b128 s[36:39], s[0:1], 0x98
	s_load_b64 s[6:7], s[0:1], 0x20
	s_load_b64 s[4:5], s[0:1], 0x58
	s_mov_b32 s2, s15
	s_waitcnt lgkmcnt(0)
	s_bitcmp1_b32 s3, 0
	s_cselect_b32 s8, -1, 0
	s_bitcmp1_b32 s3, 16
	s_cselect_b32 s9, -1, 0
	s_xor_b32 s10, s8, -1
	s_delay_alu instid0(SALU_CYCLE_1) | instskip(NEXT) | instid1(SALU_CYCLE_1)
	s_or_b32 s10, s10, s9
	s_and_b32 vcc_lo, exec_lo, s10
	s_cbranch_vccnz .LBB182_2
; %bb.1:
	s_load_b32 s6, s[6:7], 0x0
	s_waitcnt lgkmcnt(0)
	v_mov_b32_e32 v23, s6
	s_branch .LBB182_3
.LBB182_2:
	v_cndmask_b32_e64 v23, 0, s6, s8
.LBB182_3:
	s_load_b64 s[6:7], s[0:1], 0x18
	s_bitcmp1_b32 s3, 8
	s_cselect_b32 s33, -1, 0
	s_delay_alu instid0(SALU_CYCLE_1) | instskip(NEXT) | instid1(SALU_CYCLE_1)
	s_xor_b32 s3, s33, -1
	s_or_b32 s3, s3, s9
	s_delay_alu instid0(SALU_CYCLE_1)
	s_and_b32 vcc_lo, exec_lo, s3
	s_cbranch_vccnz .LBB182_5
; %bb.4:
	s_load_b32 s3, s[4:5], 0x0
	s_waitcnt lgkmcnt(0)
	v_mov_b32_e32 v24, s3
	s_load_b64 s[4:5], s[0:1], 0x28
	s_cmp_eq_u64 s[6:7], 0
	s_mov_b64 s[34:35], 0
	s_cbranch_scc0 .LBB182_6
	s_branch .LBB182_7
.LBB182_5:
	v_cndmask_b32_e64 v24, 0, s4, s33
	s_load_b64 s[4:5], s[0:1], 0x28
	s_waitcnt lgkmcnt(0)
	s_cmp_eq_u64 s[6:7], 0
	s_mov_b64 s[34:35], 0
	s_cbranch_scc1 .LBB182_7
.LBB182_6:
	s_load_b64 s[10:11], s[0:1], 0x10
	s_waitcnt lgkmcnt(0)
	s_load_b32 s3, s[10:11], 0x0
	s_waitcnt lgkmcnt(0)
	s_add_i32 s2, s3, s2
	s_mov_b32 s3, 0
	s_delay_alu instid0(SALU_CYCLE_1) | instskip(NEXT) | instid1(SALU_CYCLE_1)
	s_lshl_b64 s[2:3], s[2:3], 2
	s_add_u32 s2, s6, s2
	s_addc_u32 s3, s7, s3
	s_load_b32 s2, s[2:3], 0x0
.LBB182_7:
	s_and_not1_b32 vcc_lo, exec_lo, s8
	s_cbranch_vccz .LBB182_10
; %bb.8:
	s_and_not1_b32 vcc_lo, exec_lo, s8
	s_mov_b64 s[44:45], 0
	s_cbranch_vccz .LBB182_11
.LBB182_9:
	s_load_b128 s[40:43], s[0:1], 0x0
	s_waitcnt lgkmcnt(0)
	s_cmp_lt_i32 s41, 1
	s_cbranch_scc0 .LBB182_12
	s_branch .LBB182_96
.LBB182_10:
	s_waitcnt lgkmcnt(0)
	s_ashr_i32 s3, s2, 31
	s_delay_alu instid0(SALU_CYCLE_1) | instskip(NEXT) | instid1(SALU_CYCLE_1)
	s_lshl_b64 s[6:7], s[2:3], 3
	s_add_u32 s6, s4, s6
	s_addc_u32 s7, s5, s7
	s_load_b64 s[6:7], s[6:7], 0x0
	s_waitcnt lgkmcnt(0)
	s_sub_u32 s34, s6, s36
	s_subb_u32 s35, s7, 0
	s_and_not1_b32 vcc_lo, exec_lo, s8
	s_mov_b64 s[44:45], 0
	s_cbranch_vccnz .LBB182_9
.LBB182_11:
	s_waitcnt lgkmcnt(0)
	s_ashr_i32 s3, s2, 31
	s_delay_alu instid0(SALU_CYCLE_1) | instskip(NEXT) | instid1(SALU_CYCLE_1)
	s_lshl_b64 s[6:7], s[2:3], 3
	s_add_u32 s4, s4, s6
	s_addc_u32 s5, s5, s7
	s_load_b64 s[4:5], s[4:5], 0x8
	s_waitcnt lgkmcnt(0)
	s_sub_u32 s44, s4, s36
	s_subb_u32 s45, s5, 0
	s_load_b128 s[40:43], s[0:1], 0x0
	s_waitcnt lgkmcnt(0)
	s_cmp_lt_i32 s41, 1
	s_cbranch_scc1 .LBB182_96
.LBB182_12:
	v_bfe_u32 v5, v0, 3, 3
	s_clause 0x4
	s_load_b256 s[16:23], s[0:1], 0x60
	s_load_b64 s[46:47], s[0:1], 0x90
	s_load_b128 s[12:15], s[0:1], 0x80
	s_load_b64 s[50:51], s[0:1], 0x50
	s_load_b256 s[24:31], s[0:1], 0x30
	v_dual_mov_b32 v2, 0 :: v_dual_and_b32 v7, 63, v0
	v_and_b32_e32 v26, 7, v0
	v_mul_lo_u32 v1, v5, s42
	s_ashr_i32 s3, s2, 31
	v_lshlrev_b32_e32 v9, 2, v5
	s_lshl_b64 s[4:5], s[2:3], 3
	v_max_i32_e32 v6, v26, v5
	v_lshrrev_b32_e32 v25, 6, v0
	v_cmp_lt_i64_e64 s9, s[34:35], s[44:45]
	v_cmp_gt_u32_e64 s0, 32, v0
	v_lshlrev_b64 v[3:4], 2, v[1:2]
	v_mul_lo_u32 v1, v26, s42
	v_cmp_eq_u32_e64 s1, 0, v0
	v_dual_mov_b32 v50, 32 :: v_dual_and_b32 v31, 56, v0
	s_waitcnt lgkmcnt(0)
	s_add_u32 s2, s22, s4
	s_addc_u32 s3, s23, s5
	v_cmp_gt_u32_e64 s10, 0x200, v0
	s_load_b64 s[6:7], s[2:3], 0x0
	v_cmp_gt_i32_e64 s2, s42, v6
	v_add_co_u32 v10, vcc_lo, s26, v3
	v_lshlrev_b64 v[5:6], 2, v[1:2]
	v_add_co_ci_u32_e32 v11, vcc_lo, s27, v4, vcc_lo
	v_add_co_u32 v1, vcc_lo, s14, v3
	v_add_co_ci_u32_e32 v12, vcc_lo, s15, v4, vcc_lo
	s_delay_alu instid0(VALU_DEP_4) | instskip(SKIP_2) | instid1(VALU_DEP_3)
	v_add_co_u32 v13, vcc_lo, s14, v5
	v_add_co_ci_u32_e32 v14, vcc_lo, s15, v6, vcc_lo
	v_cmp_gt_u32_e64 s11, 0x100, v0
	v_add_co_u32 v13, vcc_lo, v13, v9
	s_delay_alu instid0(VALU_DEP_3)
	v_add_co_ci_u32_e32 v14, vcc_lo, 0, v14, vcc_lo
	v_lshlrev_b32_e32 v8, 2, v26
	s_waitcnt lgkmcnt(0)
	s_sub_u32 s14, s6, s38
	s_subb_u32 s15, s7, 0
	s_cmp_eq_u32 s40, 0
	v_and_b32_e32 v15, 31, v0
	v_add_co_u32 v1, vcc_lo, v1, v8
	v_add_co_ci_u32_e32 v12, vcc_lo, 0, v12, vcc_lo
	s_cselect_b32 vcc_lo, -1, 0
	s_cmp_lg_u32 s40, 0
	s_delay_alu instid0(VALU_DEP_2) | instskip(NEXT) | instid1(VALU_DEP_2)
	v_dual_cndmask_b32 v42, v13, v1 :: v_dual_lshlrev_b32 v27, 2, v0
	v_cndmask_b32_e32 v41, v14, v12, vcc_lo
	v_add_co_u32 v29, s3, v10, v8
	s_delay_alu instid0(VALU_DEP_1) | instskip(SKIP_1) | instid1(VALU_DEP_1)
	v_add_co_ci_u32_e64 v30, s3, 0, v11, s3
	v_add_co_u32 v10, s3, s20, v5
	v_add_co_ci_u32_e64 v11, s3, s21, v6, s3
	v_sub_co_u32 v32, s3, v25, s39
	s_delay_alu instid0(VALU_DEP_1) | instskip(NEXT) | instid1(VALU_DEP_4)
	v_sub_co_ci_u32_e64 v33, null, 0, 0, s3
	v_add_co_u32 v10, s3, v10, v9
	s_delay_alu instid0(VALU_DEP_1) | instskip(SKIP_1) | instid1(VALU_DEP_1)
	v_add_co_ci_u32_e64 v11, s3, 0, v11, s3
	v_add_co_u32 v3, s3, s20, v3
	v_add_co_ci_u32_e64 v4, s3, s21, v4, s3
	s_cselect_b32 s40, -1, 0
	s_delay_alu instid0(VALU_DEP_2) | instskip(SKIP_1) | instid1(VALU_DEP_2)
	v_add_co_u32 v3, s3, v3, v8
	s_cmp_gt_i32 s42, 0
	v_add_co_ci_u32_e64 v4, s3, 0, v4, s3
	v_cmp_eq_u32_e64 s3, 63, v7
	v_or_b32_e32 v7, 0x400, v0
	v_lshlrev_b32_e32 v0, 8, v25
	s_cselect_b32 s53, -1, 0
	s_add_u32 s16, s16, s4
	s_addc_u32 s17, s17, s5
	s_and_b32 s56, s8, s9
	s_add_u32 s57, s28, 8
	s_addc_u32 s58, s29, 0
	v_dual_cndmask_b32 v4, v11, v4 :: v_dual_cndmask_b32 v3, v10, v3
	v_cmp_gt_u32_e64 s9, 0x700, v7
	s_add_u32 s59, s12, -4
	v_or3_b32 v43, v0, v9, 0x2000
	v_add_co_u32 v0, vcc_lo, s50, v5
	v_add_co_u32 v5, s12, s50, v8
	v_dual_mov_b32 v7, s14 :: v_dual_mov_b32 v8, s15
	v_dual_mov_b32 v49, 0 :: v_dual_lshlrev_b32 v16, 2, v15
	v_add_co_u32 v17, s55, v15, -1
	v_add_co_ci_u32_e32 v1, vcc_lo, s51, v6, vcc_lo
	v_add_co_ci_u32_e64 v6, null, s51, 0, s12
	s_movk_i32 s12, 0x3e0
	v_add_co_u32 v45, vcc_lo, v32, 4
	s_mov_b32 s49, 0
	v_or_b32_e32 v28, 0x2000, v27
	v_or_b32_e32 v34, 0x2400, v16
	v_lshl_add_u32 v35, v17, 2, 0x2400
	v_or_b32_e32 v36, 0x2400, v27
	v_cmp_ne_u32_e64 s4, 0, v15
	v_cmp_lt_u32_e64 s5, 1, v15
	v_dual_mov_b32 v48, 1 :: v_dual_add_nc_u32 v37, 0x23f8, v16
	v_cmp_lt_u32_e64 s6, 3, v15
	v_add_nc_u32_e32 v38, 0x23f0, v16
	v_cmp_lt_u32_e64 s7, 7, v15
	v_add_nc_u32_e32 v39, 0x23e0, v16
	;; [unrolled: 2-line block ×3, first 2 shown]
	v_and_or_b32 v44, v27, s12, 0x2000
	v_add_co_ci_u32_e32 v46, vcc_lo, 0, v33, vcc_lo
	v_lshl_or_b32 v47, v25, 2, 0x2400
	s_mul_i32 s48, s42, s42
	s_mov_b32 s43, s49
	s_mov_b32 s52, s37
	;; [unrolled: 1-line block ×3, first 2 shown]
	s_addc_u32 s60, s13, -1
	s_lshl_b64 s[20:21], s[48:49], 2
	s_lshl_b64 s[22:23], s[42:43], 2
	;; [unrolled: 1-line block ×3, first 2 shown]
	s_branch .LBB182_14
.LBB182_13:                             ;   in Loop: Header=BB182_14 Depth=1
	s_set_inst_prefetch_distance 0x2
	s_or_b32 exec_lo, exec_lo, s12
	s_waitcnt_vscnt null, 0x0
	s_barrier
	buffer_gl0_inv
	ds_load_b32 v49, v2 offset:9344
	v_ashrrev_i32_e32 v10, 31, v9
	v_add_co_u32 v7, s12, v7, v9
	s_waitcnt lgkmcnt(0)
	s_barrier
	s_delay_alu instid0(VALU_DEP_2)
	v_add_co_ci_u32_e64 v8, s12, v8, v10, s12
	buffer_gl0_inv
	v_cmp_le_i32_e32 vcc_lo, s41, v49
	v_add_nc_u32_e32 v50, 32, v49
	s_cbranch_vccnz .LBB182_96
.LBB182_14:                             ; =>This Loop Header: Depth=1
                                        ;     Child Loop BB182_27 Depth 2
                                        ;       Child Loop BB182_40 Depth 3
                                        ;         Child Loop BB182_49 Depth 4
                                        ;         Child Loop BB182_54 Depth 4
                                        ;     Child Loop BB182_65 Depth 2
                                        ;     Child Loop BB182_74 Depth 2
	;; [unrolled: 1-line block ×3, first 2 shown]
	s_and_saveexec_b32 s12, s0
	s_cbranch_execz .LBB182_16
; %bb.15:                               ;   in Loop: Header=BB182_14 Depth=1
	ds_store_b32 v36, v2
.LBB182_16:                             ;   in Loop: Header=BB182_14 Depth=1
	s_or_b32 exec_lo, exec_lo, s12
	ds_store_2addr_stride64_b32 v27, v2, v2 offset1:4
	ds_store_2addr_stride64_b32 v27, v2, v2 offset0:8 offset1:12
	ds_store_b32 v27, v2 offset:4096
	s_and_saveexec_b32 s12, s9
	s_delay_alu instid0(SALU_CYCLE_1)
	s_xor_b32 s12, exec_lo, s12
	s_cbranch_execz .LBB182_22
; %bb.17:                               ;   in Loop: Header=BB182_14 Depth=1
	ds_store_b32 v27, v2 offset:5120
	s_and_saveexec_b32 s13, s10
	s_delay_alu instid0(SALU_CYCLE_1)
	s_xor_b32 s13, exec_lo, s13
	s_cbranch_execz .LBB182_21
; %bb.18:                               ;   in Loop: Header=BB182_14 Depth=1
	;; [unrolled: 6-line block ×3, first 2 shown]
	ds_store_b32 v27, v2 offset:7168
.LBB182_20:                             ;   in Loop: Header=BB182_14 Depth=1
	s_or_b32 exec_lo, exec_lo, s14
.LBB182_21:                             ;   in Loop: Header=BB182_14 Depth=1
	s_delay_alu instid0(SALU_CYCLE_1)
	s_or_b32 exec_lo, exec_lo, s13
.LBB182_22:                             ;   in Loop: Header=BB182_14 Depth=1
	s_delay_alu instid0(SALU_CYCLE_1)
	s_or_b32 exec_lo, exec_lo, s12
	s_and_saveexec_b32 s12, s1
	s_cbranch_execz .LBB182_24
; %bb.23:                               ;   in Loop: Header=BB182_14 Depth=1
	v_mov_b32_e32 v9, s41
	ds_store_b32 v2, v9 offset:9344
.LBB182_24:                             ;   in Loop: Header=BB182_14 Depth=1
	s_or_b32 exec_lo, exec_lo, s12
	v_mov_b32_e32 v51, s41
	s_and_not1_b32 vcc_lo, exec_lo, s56
	s_waitcnt lgkmcnt(0)
	s_barrier
	buffer_gl0_inv
	s_cbranch_vccnz .LBB182_60
; %bb.25:                               ;   in Loop: Header=BB182_14 Depth=1
	v_cmp_ne_u32_e64 s12, 0, v49
	v_mov_b32_e32 v51, s41
	s_mov_b64 s[50:51], s[34:35]
	s_branch .LBB182_27
.LBB182_26:                             ;   in Loop: Header=BB182_27 Depth=2
	s_or_b32 exec_lo, exec_lo, s14
	s_add_u32 s50, s50, 4
	s_addc_u32 s51, s51, 0
	s_delay_alu instid0(SALU_CYCLE_1) | instskip(NEXT) | instid1(VALU_DEP_1)
	v_cmp_lt_i64_e64 s13, s[50:51], s[44:45]
	s_and_b32 vcc_lo, exec_lo, s13
	s_cbranch_vccz .LBB182_60
.LBB182_27:                             ;   Parent Loop BB182_14 Depth=1
                                        ; =>  This Loop Header: Depth=2
                                        ;       Child Loop BB182_40 Depth 3
                                        ;         Child Loop BB182_49 Depth 4
                                        ;         Child Loop BB182_54 Depth 4
	v_add_co_u32 v9, s13, s50, v25
	s_delay_alu instid0(VALU_DEP_1) | instskip(NEXT) | instid1(VALU_DEP_1)
	v_add_co_ci_u32_e64 v10, null, s51, 0, s13
	s_waitcnt_vscnt null, 0x0
	s_barrier
	buffer_gl0_inv
	v_cmp_gt_i64_e64 s13, s[44:45], v[9:10]
	s_delay_alu instid0(VALU_DEP_1)
	s_and_saveexec_b32 s14, s13
	s_cbranch_execz .LBB182_31
; %bb.28:                               ;   in Loop: Header=BB182_27 Depth=2
	v_mov_b32_e32 v11, 0
	s_and_saveexec_b32 s15, s2
	s_cbranch_execz .LBB182_30
; %bb.29:                               ;   in Loop: Header=BB182_27 Depth=2
	v_mad_u64_u32 v[11:12], null, v9, s48, 0
	s_delay_alu instid0(VALU_DEP_1) | instskip(NEXT) | instid1(VALU_DEP_1)
	v_mad_u64_u32 v[13:14], null, v10, s48, v[12:13]
	v_mov_b32_e32 v12, v13
	s_delay_alu instid0(VALU_DEP_1) | instskip(NEXT) | instid1(VALU_DEP_1)
	v_lshlrev_b64 v[11:12], 2, v[11:12]
	v_add_co_u32 v11, vcc_lo, v29, v11
	s_delay_alu instid0(VALU_DEP_2)
	v_add_co_ci_u32_e32 v12, vcc_lo, v30, v12, vcc_lo
	global_load_b32 v11, v[11:12], off
.LBB182_30:                             ;   in Loop: Header=BB182_27 Depth=2
	s_or_b32 exec_lo, exec_lo, s15
	s_waitcnt vmcnt(0)
	ds_store_b32 v28, v11
.LBB182_31:                             ;   in Loop: Header=BB182_27 Depth=2
	s_or_b32 exec_lo, exec_lo, s14
	v_mov_b32_e32 v11, 0
	v_mov_b32_e32 v12, 0
	s_waitcnt lgkmcnt(0)
	s_barrier
	buffer_gl0_inv
	s_and_saveexec_b32 s15, s13
	s_cbranch_execz .LBB182_57
; %bb.32:                               ;   in Loop: Header=BB182_27 Depth=2
	v_lshlrev_b64 v[11:12], 2, v[9:10]
	s_delay_alu instid0(VALU_DEP_1) | instskip(NEXT) | instid1(VALU_DEP_2)
	v_add_co_u32 v11, vcc_lo, s24, v11
	v_add_co_ci_u32_e32 v12, vcc_lo, s25, v12, vcc_lo
	s_and_b32 vcc_lo, exec_lo, s12
	global_load_b32 v11, v[11:12], off
	s_waitcnt vmcnt(0)
	v_subrev_nc_u32_e32 v13, s36, v11
	s_delay_alu instid0(VALU_DEP_1)
	v_ashrrev_i32_e32 v14, 31, v13
	s_cbranch_vccz .LBB182_59
; %bb.33:                               ;   in Loop: Header=BB182_27 Depth=2
	v_lshlrev_b64 v[11:12], 3, v[9:10]
	s_delay_alu instid0(VALU_DEP_1) | instskip(NEXT) | instid1(VALU_DEP_2)
	v_add_co_u32 v11, vcc_lo, s46, v11
	v_add_co_ci_u32_e32 v12, vcc_lo, s47, v12, vcc_lo
	global_load_b64 v[11:12], v[11:12], off
	s_cbranch_execnz .LBB182_35
.LBB182_34:                             ;   in Loop: Header=BB182_27 Depth=2
	s_waitcnt vmcnt(0)
	s_delay_alu instid0(VALU_DEP_1) | instskip(NEXT) | instid1(VALU_DEP_1)
	v_lshlrev_b64 v[11:12], 3, v[13:14]
	v_add_co_u32 v11, vcc_lo, s28, v11
	s_delay_alu instid0(VALU_DEP_2)
	v_add_co_ci_u32_e32 v12, vcc_lo, s29, v12, vcc_lo
	global_load_b64 v[11:12], v[11:12], off
	s_waitcnt vmcnt(0)
	v_sub_co_u32 v11, vcc_lo, v11, s52
	v_subrev_co_ci_u32_e32 v12, vcc_lo, 0, v12, vcc_lo
.LBB182_35:                             ;   in Loop: Header=BB182_27 Depth=2
	v_lshlrev_b64 v[13:14], 3, v[13:14]
	s_mov_b32 s43, exec_lo
	s_delay_alu instid0(VALU_DEP_1) | instskip(NEXT) | instid1(VALU_DEP_2)
	v_add_co_u32 v13, vcc_lo, s57, v13
	v_add_co_ci_u32_e32 v14, vcc_lo, s58, v14, vcc_lo
	global_load_b64 v[13:14], v[13:14], off
	s_waitcnt vmcnt(0)
	v_sub_co_u32 v13, vcc_lo, v13, s52
	v_subrev_co_ci_u32_e32 v14, vcc_lo, 0, v14, vcc_lo
	s_delay_alu instid0(VALU_DEP_1)
	v_cmpx_lt_i64_e64 v[11:12], v[13:14]
	s_cbranch_execz .LBB182_56
; %bb.36:                               ;   in Loop: Header=BB182_27 Depth=2
	v_mad_u64_u32 v[15:16], null, s20, v11, v[0:1]
	v_mul_lo_u32 v19, s20, v12
	v_mul_lo_u32 v20, s21, v11
	v_mad_u64_u32 v[17:18], null, s20, v11, v[5:6]
	s_mov_b32 s49, 0
	s_delay_alu instid0(VALU_DEP_2) | instskip(NEXT) | instid1(VALU_DEP_2)
	v_add3_u32 v16, v20, v16, v19
	v_add3_u32 v18, v20, v18, v19
	v_dual_mov_b32 v20, v12 :: v_dual_mov_b32 v19, v11
	s_branch .LBB182_40
.LBB182_37:                             ;   in Loop: Header=BB182_40 Depth=3
	s_delay_alu instid0(VALU_DEP_1) | instskip(NEXT) | instid1(VALU_DEP_1)
	v_dual_mul_f32 v22, v23, v53 :: v_dual_lshlrev_b32 v21, 6, v52
	v_or3_b32 v21, v21, v31, v26
	s_delay_alu instid0(VALU_DEP_1)
	v_lshlrev_b32_e32 v21, 2, v21
	ds_add_f32 v21, v22
.LBB182_38:                             ;   in Loop: Header=BB182_40 Depth=3
	s_or_b32 exec_lo, exec_lo, s63
	s_delay_alu instid0(SALU_CYCLE_1)
	s_or_b32 s61, s61, exec_lo
.LBB182_39:                             ;   in Loop: Header=BB182_40 Depth=3
	s_or_b32 exec_lo, exec_lo, s62
	v_add_co_u32 v11, vcc_lo, v11, 1
	v_add_co_ci_u32_e32 v12, vcc_lo, 0, v12, vcc_lo
	v_add_co_u32 v15, s14, v15, s20
	s_xor_b32 s61, s61, -1
	s_delay_alu instid0(VALU_DEP_2)
	v_cmp_ge_i64_e32 vcc_lo, v[11:12], v[13:14]
	v_add_co_ci_u32_e64 v16, s14, s21, v16, s14
	s_or_b32 s14, s61, vcc_lo
	v_add_co_u32 v17, vcc_lo, v17, s20
	v_add_co_ci_u32_e32 v18, vcc_lo, s21, v18, vcc_lo
	s_and_b32 s14, exec_lo, s14
	s_delay_alu instid0(SALU_CYCLE_1) | instskip(NEXT) | instid1(SALU_CYCLE_1)
	s_or_b32 s49, s14, s49
	s_and_not1_b32 exec_lo, exec_lo, s49
	s_cbranch_execz .LBB182_55
.LBB182_40:                             ;   Parent Loop BB182_14 Depth=1
                                        ;     Parent Loop BB182_27 Depth=2
                                        ; =>    This Loop Header: Depth=3
                                        ;         Child Loop BB182_49 Depth 4
                                        ;         Child Loop BB182_54 Depth 4
	v_lshlrev_b64 v[21:22], 2, v[11:12]
                                        ; implicit-def: $sgpr61
	s_delay_alu instid0(VALU_DEP_1) | instskip(NEXT) | instid1(VALU_DEP_2)
	v_add_co_u32 v21, vcc_lo, s30, v21
	v_add_co_ci_u32_e32 v22, vcc_lo, s31, v22, vcc_lo
	global_load_b32 v21, v[21:22], off
	s_waitcnt vmcnt(0)
	v_subrev_nc_u32_e32 v21, s37, v21
	s_delay_alu instid0(VALU_DEP_1) | instskip(SKIP_1) | instid1(VALU_DEP_2)
	v_cmp_lt_i32_e64 s14, v21, v49
	v_cmp_ge_i32_e32 vcc_lo, v21, v50
	s_or_b32 s14, s14, vcc_lo
	s_delay_alu instid0(SALU_CYCLE_1) | instskip(NEXT) | instid1(SALU_CYCLE_1)
	s_and_saveexec_b32 s62, s14
	s_xor_b32 s14, exec_lo, s62
	s_cbranch_execz .LBB182_44
; %bb.41:                               ;   in Loop: Header=BB182_40 Depth=3
	s_mov_b32 s61, -1
	s_and_saveexec_b32 s62, vcc_lo
; %bb.42:                               ;   in Loop: Header=BB182_40 Depth=3
	v_min_i32_e32 v51, v21, v51
	v_dual_mov_b32 v20, v12 :: v_dual_mov_b32 v19, v11
	s_xor_b32 s61, exec_lo, -1
; %bb.43:                               ;   in Loop: Header=BB182_40 Depth=3
	s_or_b32 exec_lo, exec_lo, s62
	s_delay_alu instid0(SALU_CYCLE_1)
	s_and_b32 s61, s61, exec_lo
                                        ; implicit-def: $vgpr21
.LBB182_44:                             ;   in Loop: Header=BB182_40 Depth=3
	s_and_not1_saveexec_b32 s62, s14
	s_cbranch_execz .LBB182_39
; %bb.45:                               ;   in Loop: Header=BB182_40 Depth=3
	v_sub_nc_u32_e32 v52, v21, v49
	s_delay_alu instid0(VALU_DEP_1)
	v_lshlrev_b32_e32 v21, 2, v52
	ds_store_b32 v21, v48 offset:9216
	s_and_saveexec_b32 s63, s2
	s_cbranch_execz .LBB182_38
; %bb.46:                               ;   in Loop: Header=BB182_40 Depth=3
	v_cndmask_b32_e64 v21, 0, 1, s53
	s_and_not1_b32 vcc_lo, exec_lo, s40
	s_delay_alu instid0(VALU_DEP_1)
	v_cmp_ne_u32_e64 s14, 1, v21
	s_cbranch_vccnz .LBB182_51
; %bb.47:                               ;   in Loop: Header=BB182_40 Depth=3
	v_mov_b32_e32 v53, 0
	s_delay_alu instid0(VALU_DEP_2)
	s_and_b32 vcc_lo, exec_lo, s14
	s_cbranch_vccnz .LBB182_50
; %bb.48:                               ;   in Loop: Header=BB182_40 Depth=3
	v_dual_mov_b32 v22, v16 :: v_dual_mov_b32 v21, v15
	v_mov_b32_e32 v54, v43
	s_mov_b32 s14, s42
.LBB182_49:                             ;   Parent Loop BB182_14 Depth=1
                                        ;     Parent Loop BB182_27 Depth=2
                                        ;       Parent Loop BB182_40 Depth=3
                                        ; =>      This Inner Loop Header: Depth=4
	global_load_b32 v55, v[21:22], off
	ds_load_b32 v56, v54
	v_add_co_u32 v21, vcc_lo, v21, 4
	v_add_nc_u32_e32 v54, 32, v54
	v_add_co_ci_u32_e32 v22, vcc_lo, 0, v22, vcc_lo
	s_add_i32 s14, s14, -1
	s_delay_alu instid0(SALU_CYCLE_1)
	s_cmp_lg_u32 s14, 0
	s_waitcnt vmcnt(0) lgkmcnt(0)
	v_fmac_f32_e32 v53, v56, v55
	s_cbranch_scc1 .LBB182_49
.LBB182_50:                             ;   in Loop: Header=BB182_40 Depth=3
	s_cbranch_execnz .LBB182_37
	s_branch .LBB182_52
.LBB182_51:                             ;   in Loop: Header=BB182_40 Depth=3
                                        ; implicit-def: $vgpr53
.LBB182_52:                             ;   in Loop: Header=BB182_40 Depth=3
	v_mov_b32_e32 v53, 0
	s_and_not1_b32 vcc_lo, exec_lo, s53
	s_cbranch_vccnz .LBB182_37
; %bb.53:                               ;   in Loop: Header=BB182_40 Depth=3
	v_mov_b32_e32 v22, v18
	v_dual_mov_b32 v54, v44 :: v_dual_mov_b32 v21, v17
	s_mov_b32 s14, s42
.LBB182_54:                             ;   Parent Loop BB182_14 Depth=1
                                        ;     Parent Loop BB182_27 Depth=2
                                        ;       Parent Loop BB182_40 Depth=3
                                        ; =>      This Inner Loop Header: Depth=4
	global_load_b32 v55, v[21:22], off
	ds_load_b32 v56, v54
	v_add_co_u32 v21, vcc_lo, v21, s22
	v_add_co_ci_u32_e32 v22, vcc_lo, s23, v22, vcc_lo
	v_add_nc_u32_e32 v54, 4, v54
	s_add_i32 s14, s14, -1
	s_delay_alu instid0(SALU_CYCLE_1)
	s_cmp_eq_u32 s14, 0
	s_waitcnt vmcnt(0) lgkmcnt(0)
	v_fmac_f32_e32 v53, v56, v55
	s_cbranch_scc0 .LBB182_54
	s_branch .LBB182_37
.LBB182_55:                             ;   in Loop: Header=BB182_27 Depth=2
	s_or_b32 exec_lo, exec_lo, s49
	v_dual_mov_b32 v11, v19 :: v_dual_mov_b32 v12, v20
.LBB182_56:                             ;   in Loop: Header=BB182_27 Depth=2
	s_or_b32 exec_lo, exec_lo, s43
.LBB182_57:                             ;   in Loop: Header=BB182_27 Depth=2
	s_delay_alu instid0(SALU_CYCLE_1)
	s_or_b32 exec_lo, exec_lo, s15
	s_waitcnt lgkmcnt(0)
	s_barrier
	buffer_gl0_inv
	s_and_saveexec_b32 s14, s13
	s_cbranch_execz .LBB182_26
; %bb.58:                               ;   in Loop: Header=BB182_27 Depth=2
	v_lshlrev_b64 v[9:10], 3, v[9:10]
	s_delay_alu instid0(VALU_DEP_1) | instskip(NEXT) | instid1(VALU_DEP_2)
	v_add_co_u32 v9, vcc_lo, s46, v9
	v_add_co_ci_u32_e32 v10, vcc_lo, s47, v10, vcc_lo
	global_store_b64 v[9:10], v[11:12], off
	s_branch .LBB182_26
.LBB182_59:                             ;   in Loop: Header=BB182_27 Depth=2
                                        ; implicit-def: $vgpr11_vgpr12
	s_branch .LBB182_34
.LBB182_60:                             ;   in Loop: Header=BB182_14 Depth=1
	s_and_not1_b32 vcc_lo, exec_lo, s33
	s_cbranch_vccnz .LBB182_72
; %bb.61:                               ;   in Loop: Header=BB182_14 Depth=1
	s_load_b128 s[12:15], s[16:17], 0x0
	s_mov_b32 s43, exec_lo
	s_waitcnt lgkmcnt(0)
	v_add_co_u32 v11, vcc_lo, s12, v32
	v_add_co_ci_u32_e32 v12, vcc_lo, s13, v33, vcc_lo
	s_sub_u32 s14, s14, s54
	s_subb_u32 s15, s15, 0
	s_delay_alu instid0(VALU_DEP_1) | instid1(SALU_CYCLE_1)
	v_cmpx_gt_i64_e64 s[14:15], v[11:12]
	s_cbranch_execz .LBB182_71
; %bb.62:                               ;   in Loop: Header=BB182_14 Depth=1
	v_lshlrev_b64 v[13:14], 2, v[11:12]
	v_mad_u64_u32 v[9:10], null, s20, v11, v[3:4]
	v_mul_lo_u32 v15, s20, v12
	v_mul_lo_u32 v16, s21, v11
	s_mov_b32 s49, 0
	s_delay_alu instid0(VALU_DEP_4) | instskip(SKIP_2) | instid1(VALU_DEP_4)
	v_add_co_u32 v11, vcc_lo, s18, v13
	v_add_co_ci_u32_e32 v12, vcc_lo, s19, v14, vcc_lo
	v_add_co_u32 v13, vcc_lo, v45, s12
	v_add3_u32 v10, v16, v10, v15
	v_add_co_ci_u32_e32 v14, vcc_lo, s13, v46, vcc_lo
	s_branch .LBB182_65
.LBB182_63:                             ;   in Loop: Header=BB182_65 Depth=2
	s_or_b32 exec_lo, exec_lo, s50
	s_delay_alu instid0(SALU_CYCLE_1)
	s_or_b32 s12, s12, exec_lo
.LBB182_64:                             ;   in Loop: Header=BB182_65 Depth=2
	s_or_b32 exec_lo, exec_lo, s13
	v_cmp_le_i64_e32 vcc_lo, s[14:15], v[13:14]
	s_xor_b32 s13, s12, -1
	v_add_co_u32 v11, s12, v11, 16
	s_delay_alu instid0(VALU_DEP_1)
	v_add_co_ci_u32_e64 v12, s12, 0, v12, s12
	s_or_b32 s12, s13, vcc_lo
	v_add_co_u32 v9, vcc_lo, v9, s26
	v_add_co_ci_u32_e32 v10, vcc_lo, s27, v10, vcc_lo
	v_add_co_u32 v13, vcc_lo, v13, 4
	v_add_co_ci_u32_e32 v14, vcc_lo, 0, v14, vcc_lo
	s_and_b32 s12, exec_lo, s12
	s_delay_alu instid0(SALU_CYCLE_1) | instskip(NEXT) | instid1(SALU_CYCLE_1)
	s_or_b32 s49, s12, s49
	s_and_not1_b32 exec_lo, exec_lo, s49
	s_cbranch_execz .LBB182_70
.LBB182_65:                             ;   Parent Loop BB182_14 Depth=1
                                        ; =>  This Inner Loop Header: Depth=2
	global_load_b32 v15, v[11:12], off
	s_waitcnt vmcnt(0)
	v_subrev_nc_u32_e32 v15, s39, v15
	s_delay_alu instid0(VALU_DEP_1) | instskip(SKIP_2) | instid1(VALU_DEP_2)
	v_cmp_lt_i32_e64 s12, v15, v49
	v_cmp_ge_i32_e64 s13, v15, v50
	v_cmp_lt_i32_e32 vcc_lo, v15, v50
	s_or_b32 s13, s12, s13
                                        ; implicit-def: $sgpr12
	s_delay_alu instid0(SALU_CYCLE_1) | instskip(NEXT) | instid1(SALU_CYCLE_1)
	s_and_saveexec_b32 s50, s13
	s_xor_b32 s13, exec_lo, s50
; %bb.66:                               ;   in Loop: Header=BB182_65 Depth=2
	v_min_i32_e32 v15, v15, v51
	s_and_b32 s12, vcc_lo, exec_lo
	s_delay_alu instid0(VALU_DEP_1)
	v_cndmask_b32_e32 v51, v15, v51, vcc_lo
                                        ; implicit-def: $vgpr15
; %bb.67:                               ;   in Loop: Header=BB182_65 Depth=2
	s_and_not1_saveexec_b32 s13, s13
	s_cbranch_execz .LBB182_64
; %bb.68:                               ;   in Loop: Header=BB182_65 Depth=2
	v_sub_nc_u32_e32 v15, v15, v49
	s_delay_alu instid0(VALU_DEP_1)
	v_lshlrev_b32_e32 v16, 2, v15
	ds_store_b32 v16, v48 offset:9216
	s_and_saveexec_b32 s50, s2
	s_cbranch_execz .LBB182_63
; %bb.69:                               ;   in Loop: Header=BB182_65 Depth=2
	global_load_b32 v16, v[9:10], off
	s_waitcnt vmcnt(0)
	v_dual_mul_f32 v16, v24, v16 :: v_dual_lshlrev_b32 v15, 6, v15
	s_delay_alu instid0(VALU_DEP_1) | instskip(NEXT) | instid1(VALU_DEP_1)
	v_or3_b32 v15, v15, v31, v26
	v_lshlrev_b32_e32 v15, 2, v15
	ds_add_f32 v15, v16
	s_branch .LBB182_63
.LBB182_70:                             ;   in Loop: Header=BB182_14 Depth=1
	s_or_b32 exec_lo, exec_lo, s49
.LBB182_71:                             ;   in Loop: Header=BB182_14 Depth=1
	s_delay_alu instid0(SALU_CYCLE_1)
	s_or_b32 exec_lo, exec_lo, s43
.LBB182_72:                             ;   in Loop: Header=BB182_14 Depth=1
	s_and_saveexec_b32 s12, s3
	s_cbranch_execz .LBB182_77
; %bb.73:                               ;   in Loop: Header=BB182_14 Depth=1
	s_mov_b32 s14, exec_lo
	s_brev_b32 s13, -2
.LBB182_74:                             ;   Parent Loop BB182_14 Depth=1
                                        ; =>  This Inner Loop Header: Depth=2
	s_ctz_i32_b32 s15, s14
	s_delay_alu instid0(SALU_CYCLE_1) | instskip(SKIP_1) | instid1(SALU_CYCLE_1)
	v_readlane_b32 s43, v51, s15
	s_lshl_b32 s15, 1, s15
	s_and_not1_b32 s14, s14, s15
	s_delay_alu instid0(VALU_DEP_1)
	s_min_i32 s13, s13, s43
	s_cmp_lg_u32 s14, 0
	s_cbranch_scc1 .LBB182_74
; %bb.75:                               ;   in Loop: Header=BB182_14 Depth=1
	v_mbcnt_lo_u32_b32 v9, exec_lo, 0
	s_mov_b32 s14, exec_lo
	s_delay_alu instid0(VALU_DEP_1)
	v_cmpx_eq_u32_e32 0, v9
	s_xor_b32 s14, exec_lo, s14
	s_cbranch_execz .LBB182_77
; %bb.76:                               ;   in Loop: Header=BB182_14 Depth=1
	v_mov_b32_e32 v9, s13
	ds_min_i32 v2, v9 offset:9344
.LBB182_77:                             ;   in Loop: Header=BB182_14 Depth=1
	s_or_b32 exec_lo, exec_lo, s12
	s_waitcnt lgkmcnt(0)
	s_waitcnt_vscnt null, 0x0
	s_barrier
	buffer_gl0_inv
	ds_load_b32 v10, v34
	s_waitcnt lgkmcnt(0)
	s_barrier
	buffer_gl0_inv
	s_and_saveexec_b32 s12, s4
	s_cbranch_execz .LBB182_79
; %bb.78:                               ;   in Loop: Header=BB182_14 Depth=1
	ds_load_b32 v9, v35
	s_waitcnt lgkmcnt(0)
	v_add_nc_u32_e32 v10, v9, v10
.LBB182_79:                             ;   in Loop: Header=BB182_14 Depth=1
	s_or_b32 exec_lo, exec_lo, s12
	s_barrier
	buffer_gl0_inv
	ds_store_b32 v34, v10
	s_waitcnt lgkmcnt(0)
	s_barrier
	buffer_gl0_inv
	s_and_saveexec_b32 s12, s5
	s_cbranch_execz .LBB182_81
; %bb.80:                               ;   in Loop: Header=BB182_14 Depth=1
	ds_load_b32 v9, v37
	s_waitcnt lgkmcnt(0)
	v_add_nc_u32_e32 v10, v9, v10
.LBB182_81:                             ;   in Loop: Header=BB182_14 Depth=1
	s_or_b32 exec_lo, exec_lo, s12
	s_barrier
	buffer_gl0_inv
	ds_store_b32 v34, v10
	;; [unrolled: 14-line block ×5, first 2 shown]
	s_waitcnt lgkmcnt(0)
	s_barrier
	buffer_gl0_inv
	ds_load_b32 v9, v2 offset:9340
	v_mov_b32_e32 v11, 0
	s_and_saveexec_b32 s12, s55
	s_cbranch_execz .LBB182_89
; %bb.88:                               ;   in Loop: Header=BB182_14 Depth=1
	ds_load_b32 v11, v35
.LBB182_89:                             ;   in Loop: Header=BB182_14 Depth=1
	s_or_b32 exec_lo, exec_lo, s12
	s_waitcnt lgkmcnt(0)
	v_cmp_eq_u32_e32 vcc_lo, v10, v11
	s_barrier
	buffer_gl0_inv
	s_and_b32 s13, s55, vcc_lo
	s_delay_alu instid0(SALU_CYCLE_1)
	s_and_saveexec_b32 s12, s13
	s_cbranch_execz .LBB182_91
; %bb.90:                               ;   in Loop: Header=BB182_14 Depth=1
	ds_store_b32 v34, v2
.LBB182_91:                             ;   in Loop: Header=BB182_14 Depth=1
	s_or_b32 exec_lo, exec_lo, s12
	v_add_co_u32 v10, vcc_lo, v7, -1
	v_add_co_ci_u32_e32 v11, vcc_lo, -1, v8, vcc_lo
	v_dual_mov_b32 v13, v47 :: v_dual_add_nc_u32 v12, s38, v49
	v_dual_mov_b32 v14, v27 :: v_dual_mov_b32 v15, v25
	s_mov_b32 s12, 0
	s_waitcnt lgkmcnt(0)
	s_barrier
	buffer_gl0_inv
	s_set_inst_prefetch_distance 0x1
	s_branch .LBB182_93
	.p2align	6
.LBB182_92:                             ;   in Loop: Header=BB182_93 Depth=2
	s_or_b32 exec_lo, exec_lo, s13
	v_add_nc_u32_e32 v16, 4, v15
	v_cmp_lt_u32_e32 vcc_lo, 27, v15
	v_add_nc_u32_e32 v14, 0x400, v14
	v_add_nc_u32_e32 v13, 16, v13
	s_delay_alu instid0(VALU_DEP_4) | instskip(SKIP_1) | instid1(SALU_CYCLE_1)
	v_mov_b32_e32 v15, v16
	s_or_b32 s12, vcc_lo, s12
	s_and_not1_b32 exec_lo, exec_lo, s12
	s_cbranch_execz .LBB182_13
.LBB182_93:                             ;   Parent Loop BB182_14 Depth=1
                                        ; =>  This Inner Loop Header: Depth=2
	ds_load_b32 v16, v13
	s_mov_b32 s13, exec_lo
	s_waitcnt lgkmcnt(0)
	v_cmpx_ne_u32_e32 0, v16
	s_cbranch_execz .LBB182_92
; %bb.94:                               ;   in Loop: Header=BB182_93 Depth=2
	v_ashrrev_i32_e32 v17, 31, v16
	v_add_co_u32 v18, vcc_lo, v7, v16
	v_add_nc_u32_e32 v20, v12, v15
	s_delay_alu instid0(VALU_DEP_3) | instskip(NEXT) | instid1(VALU_DEP_1)
	v_add_co_ci_u32_e32 v19, vcc_lo, v8, v17, vcc_lo
	v_lshlrev_b64 v[18:19], 2, v[18:19]
	s_delay_alu instid0(VALU_DEP_1) | instskip(NEXT) | instid1(VALU_DEP_2)
	v_add_co_u32 v18, vcc_lo, s59, v18
	v_add_co_ci_u32_e32 v19, vcc_lo, s60, v19, vcc_lo
	global_store_b32 v[18:19], v20, off
	s_and_b32 exec_lo, exec_lo, s2
	s_cbranch_execz .LBB182_92
; %bb.95:                               ;   in Loop: Header=BB182_93 Depth=2
	v_add_co_u32 v18, vcc_lo, v10, v16
	v_add_co_ci_u32_e32 v20, vcc_lo, v11, v17, vcc_lo
	s_delay_alu instid0(VALU_DEP_2) | instskip(NEXT) | instid1(VALU_DEP_1)
	v_mad_u64_u32 v[16:17], null, v18, s48, 0
	v_mad_u64_u32 v[18:19], null, v20, s48, v[17:18]
	ds_load_b32 v19, v14
	v_mov_b32_e32 v17, v18
	s_delay_alu instid0(VALU_DEP_1) | instskip(NEXT) | instid1(VALU_DEP_1)
	v_lshlrev_b64 v[16:17], 2, v[16:17]
	v_add_co_u32 v16, vcc_lo, v42, v16
	s_delay_alu instid0(VALU_DEP_2)
	v_add_co_ci_u32_e32 v17, vcc_lo, v41, v17, vcc_lo
	s_waitcnt lgkmcnt(0)
	global_store_b32 v[16:17], v19, off
	s_branch .LBB182_92
.LBB182_96:
	s_endpgm
	.section	.rodata,"a",@progbits
	.p2align	6, 0x0
	.amdhsa_kernel _ZN9rocsparseL38bsrgemm_block_per_row_atomic_multipassILj256ELj32ELj8ElifEEv20rocsparse_direction_T3_S2_PKS2_S4_NS_24const_host_device_scalarIT4_EEPKT2_S4_PKS6_SA_S4_SC_S7_SA_S4_SC_SA_PS2_PS6_PS8_21rocsparse_index_base_SG_SG_SG_bbb
		.amdhsa_group_segment_fixed_size 9348
		.amdhsa_private_segment_fixed_size 0
		.amdhsa_kernarg_size 172
		.amdhsa_user_sgpr_count 15
		.amdhsa_user_sgpr_dispatch_ptr 0
		.amdhsa_user_sgpr_queue_ptr 0
		.amdhsa_user_sgpr_kernarg_segment_ptr 1
		.amdhsa_user_sgpr_dispatch_id 0
		.amdhsa_user_sgpr_private_segment_size 0
		.amdhsa_wavefront_size32 1
		.amdhsa_uses_dynamic_stack 0
		.amdhsa_enable_private_segment 0
		.amdhsa_system_sgpr_workgroup_id_x 1
		.amdhsa_system_sgpr_workgroup_id_y 0
		.amdhsa_system_sgpr_workgroup_id_z 0
		.amdhsa_system_sgpr_workgroup_info 0
		.amdhsa_system_vgpr_workitem_id 0
		.amdhsa_next_free_vgpr 57
		.amdhsa_next_free_sgpr 64
		.amdhsa_reserve_vcc 1
		.amdhsa_float_round_mode_32 0
		.amdhsa_float_round_mode_16_64 0
		.amdhsa_float_denorm_mode_32 3
		.amdhsa_float_denorm_mode_16_64 3
		.amdhsa_dx10_clamp 1
		.amdhsa_ieee_mode 1
		.amdhsa_fp16_overflow 0
		.amdhsa_workgroup_processor_mode 1
		.amdhsa_memory_ordered 1
		.amdhsa_forward_progress 0
		.amdhsa_shared_vgpr_count 0
		.amdhsa_exception_fp_ieee_invalid_op 0
		.amdhsa_exception_fp_denorm_src 0
		.amdhsa_exception_fp_ieee_div_zero 0
		.amdhsa_exception_fp_ieee_overflow 0
		.amdhsa_exception_fp_ieee_underflow 0
		.amdhsa_exception_fp_ieee_inexact 0
		.amdhsa_exception_int_div_zero 0
	.end_amdhsa_kernel
	.section	.text._ZN9rocsparseL38bsrgemm_block_per_row_atomic_multipassILj256ELj32ELj8ElifEEv20rocsparse_direction_T3_S2_PKS2_S4_NS_24const_host_device_scalarIT4_EEPKT2_S4_PKS6_SA_S4_SC_S7_SA_S4_SC_SA_PS2_PS6_PS8_21rocsparse_index_base_SG_SG_SG_bbb,"axG",@progbits,_ZN9rocsparseL38bsrgemm_block_per_row_atomic_multipassILj256ELj32ELj8ElifEEv20rocsparse_direction_T3_S2_PKS2_S4_NS_24const_host_device_scalarIT4_EEPKT2_S4_PKS6_SA_S4_SC_S7_SA_S4_SC_SA_PS2_PS6_PS8_21rocsparse_index_base_SG_SG_SG_bbb,comdat
.Lfunc_end182:
	.size	_ZN9rocsparseL38bsrgemm_block_per_row_atomic_multipassILj256ELj32ELj8ElifEEv20rocsparse_direction_T3_S2_PKS2_S4_NS_24const_host_device_scalarIT4_EEPKT2_S4_PKS6_SA_S4_SC_S7_SA_S4_SC_SA_PS2_PS6_PS8_21rocsparse_index_base_SG_SG_SG_bbb, .Lfunc_end182-_ZN9rocsparseL38bsrgemm_block_per_row_atomic_multipassILj256ELj32ELj8ElifEEv20rocsparse_direction_T3_S2_PKS2_S4_NS_24const_host_device_scalarIT4_EEPKT2_S4_PKS6_SA_S4_SC_S7_SA_S4_SC_SA_PS2_PS6_PS8_21rocsparse_index_base_SG_SG_SG_bbb
                                        ; -- End function
	.section	.AMDGPU.csdata,"",@progbits
; Kernel info:
; codeLenInByte = 3784
; NumSgprs: 66
; NumVgprs: 57
; ScratchSize: 0
; MemoryBound: 0
; FloatMode: 240
; IeeeMode: 1
; LDSByteSize: 9348 bytes/workgroup (compile time only)
; SGPRBlocks: 8
; VGPRBlocks: 7
; NumSGPRsForWavesPerEU: 66
; NumVGPRsForWavesPerEU: 57
; Occupancy: 16
; WaveLimiterHint : 1
; COMPUTE_PGM_RSRC2:SCRATCH_EN: 0
; COMPUTE_PGM_RSRC2:USER_SGPR: 15
; COMPUTE_PGM_RSRC2:TRAP_HANDLER: 0
; COMPUTE_PGM_RSRC2:TGID_X_EN: 1
; COMPUTE_PGM_RSRC2:TGID_Y_EN: 0
; COMPUTE_PGM_RSRC2:TGID_Z_EN: 0
; COMPUTE_PGM_RSRC2:TIDIG_COMP_CNT: 0
	.section	.text._ZN9rocsparseL31bsrgemm_block_per_row_multipassILj256ELj8ELj16ElifEEv20rocsparse_direction_T3_S2_PKS2_S4_NS_24const_host_device_scalarIT4_EEPKT2_S4_PKS6_SA_S4_SC_S7_SA_S4_SC_SA_PS2_PS6_PS8_21rocsparse_index_base_SG_SG_SG_bbb,"axG",@progbits,_ZN9rocsparseL31bsrgemm_block_per_row_multipassILj256ELj8ELj16ElifEEv20rocsparse_direction_T3_S2_PKS2_S4_NS_24const_host_device_scalarIT4_EEPKT2_S4_PKS6_SA_S4_SC_S7_SA_S4_SC_SA_PS2_PS6_PS8_21rocsparse_index_base_SG_SG_SG_bbb,comdat
	.globl	_ZN9rocsparseL31bsrgemm_block_per_row_multipassILj256ELj8ELj16ElifEEv20rocsparse_direction_T3_S2_PKS2_S4_NS_24const_host_device_scalarIT4_EEPKT2_S4_PKS6_SA_S4_SC_S7_SA_S4_SC_SA_PS2_PS6_PS8_21rocsparse_index_base_SG_SG_SG_bbb ; -- Begin function _ZN9rocsparseL31bsrgemm_block_per_row_multipassILj256ELj8ELj16ElifEEv20rocsparse_direction_T3_S2_PKS2_S4_NS_24const_host_device_scalarIT4_EEPKT2_S4_PKS6_SA_S4_SC_S7_SA_S4_SC_SA_PS2_PS6_PS8_21rocsparse_index_base_SG_SG_SG_bbb
	.p2align	8
	.type	_ZN9rocsparseL31bsrgemm_block_per_row_multipassILj256ELj8ELj16ElifEEv20rocsparse_direction_T3_S2_PKS2_S4_NS_24const_host_device_scalarIT4_EEPKT2_S4_PKS6_SA_S4_SC_S7_SA_S4_SC_SA_PS2_PS6_PS8_21rocsparse_index_base_SG_SG_SG_bbb,@function
_ZN9rocsparseL31bsrgemm_block_per_row_multipassILj256ELj8ELj16ElifEEv20rocsparse_direction_T3_S2_PKS2_S4_NS_24const_host_device_scalarIT4_EEPKT2_S4_PKS6_SA_S4_SC_S7_SA_S4_SC_SA_PS2_PS6_PS8_21rocsparse_index_base_SG_SG_SG_bbb: ; @_ZN9rocsparseL31bsrgemm_block_per_row_multipassILj256ELj8ELj16ElifEEv20rocsparse_direction_T3_S2_PKS2_S4_NS_24const_host_device_scalarIT4_EEPKT2_S4_PKS6_SA_S4_SC_S7_SA_S4_SC_SA_PS2_PS6_PS8_21rocsparse_index_base_SG_SG_SG_bbb
; %bb.0:
	s_clause 0x3
	s_load_b32 s3, s[0:1], 0xa8
	s_load_b128 s[24:27], s[0:1], 0x98
	s_load_b64 s[6:7], s[0:1], 0x20
	s_load_b64 s[4:5], s[0:1], 0x58
	s_mov_b32 s2, s15
	s_waitcnt lgkmcnt(0)
	s_bitcmp1_b32 s3, 0
	s_cselect_b32 s44, -1, 0
	s_bitcmp1_b32 s3, 16
	s_cselect_b32 s8, -1, 0
	s_xor_b32 s9, s44, -1
	s_delay_alu instid0(SALU_CYCLE_1) | instskip(NEXT) | instid1(SALU_CYCLE_1)
	s_or_b32 s9, s9, s8
	s_and_b32 vcc_lo, exec_lo, s9
	s_cbranch_vccnz .LBB183_2
; %bb.1:
	s_load_b32 s6, s[6:7], 0x0
	s_waitcnt lgkmcnt(0)
	v_mov_b32_e32 v27, s6
	s_branch .LBB183_3
.LBB183_2:
	v_cndmask_b32_e64 v27, 0, s6, s44
.LBB183_3:
	s_load_b64 s[6:7], s[0:1], 0x18
	s_bitcmp1_b32 s3, 8
	s_cselect_b32 s33, -1, 0
	s_delay_alu instid0(SALU_CYCLE_1) | instskip(NEXT) | instid1(SALU_CYCLE_1)
	s_xor_b32 s3, s33, -1
	s_or_b32 s3, s3, s8
	s_delay_alu instid0(SALU_CYCLE_1)
	s_and_b32 vcc_lo, exec_lo, s3
	s_cbranch_vccnz .LBB183_5
; %bb.4:
	s_load_b32 s3, s[4:5], 0x0
	s_waitcnt lgkmcnt(0)
	v_mov_b32_e32 v28, s3
	s_load_b64 s[4:5], s[0:1], 0x28
	s_cmp_eq_u64 s[6:7], 0
	s_mov_b64 s[34:35], 0
	s_cbranch_scc0 .LBB183_6
	s_branch .LBB183_7
.LBB183_5:
	v_cndmask_b32_e64 v28, 0, s4, s33
	s_load_b64 s[4:5], s[0:1], 0x28
	s_waitcnt lgkmcnt(0)
	s_cmp_eq_u64 s[6:7], 0
	s_mov_b64 s[34:35], 0
	s_cbranch_scc1 .LBB183_7
.LBB183_6:
	s_load_b64 s[8:9], s[0:1], 0x10
	s_waitcnt lgkmcnt(0)
	s_load_b32 s3, s[8:9], 0x0
	s_waitcnt lgkmcnt(0)
	s_add_i32 s2, s3, s2
	s_mov_b32 s3, 0
	s_delay_alu instid0(SALU_CYCLE_1) | instskip(NEXT) | instid1(SALU_CYCLE_1)
	s_lshl_b64 s[2:3], s[2:3], 2
	s_add_u32 s2, s6, s2
	s_addc_u32 s3, s7, s3
	s_load_b32 s2, s[2:3], 0x0
.LBB183_7:
	s_and_not1_b32 vcc_lo, exec_lo, s44
	s_cbranch_vccz .LBB183_10
; %bb.8:
	s_and_not1_b32 vcc_lo, exec_lo, s44
	s_mov_b64 s[36:37], 0
	s_cbranch_vccz .LBB183_11
.LBB183_9:
	s_waitcnt lgkmcnt(0)
	s_load_b128 s[4:7], s[0:1], 0x0
	s_waitcnt lgkmcnt(0)
	s_cmp_lt_i32 s5, 1
	s_cbranch_scc0 .LBB183_12
	s_branch .LBB183_99
.LBB183_10:
	s_waitcnt lgkmcnt(0)
	s_ashr_i32 s3, s2, 31
	s_delay_alu instid0(SALU_CYCLE_1) | instskip(NEXT) | instid1(SALU_CYCLE_1)
	s_lshl_b64 s[6:7], s[2:3], 3
	s_add_u32 s6, s4, s6
	s_addc_u32 s7, s5, s7
	s_load_b64 s[6:7], s[6:7], 0x0
	s_waitcnt lgkmcnt(0)
	s_sub_u32 s34, s6, s24
	s_subb_u32 s35, s7, 0
	s_and_not1_b32 vcc_lo, exec_lo, s44
	s_mov_b64 s[36:37], 0
	s_cbranch_vccnz .LBB183_9
.LBB183_11:
	s_waitcnt lgkmcnt(0)
	s_ashr_i32 s3, s2, 31
	s_delay_alu instid0(SALU_CYCLE_1) | instskip(NEXT) | instid1(SALU_CYCLE_1)
	s_lshl_b64 s[6:7], s[2:3], 3
	s_add_u32 s4, s4, s6
	s_addc_u32 s5, s5, s7
	s_load_b64 s[4:5], s[4:5], 0x8
	s_waitcnt lgkmcnt(0)
	s_sub_u32 s36, s4, s24
	s_subb_u32 s37, s5, 0
	s_load_b128 s[4:7], s[0:1], 0x0
	s_waitcnt lgkmcnt(0)
	s_cmp_lt_i32 s5, 1
	s_cbranch_scc1 .LBB183_99
.LBB183_12:
	s_clause 0x4
	s_load_b256 s[16:23], s[0:1], 0x60
	s_load_b64 s[38:39], s[0:1], 0x90
	s_load_b128 s[28:31], s[0:1], 0x80
	s_load_b64 s[42:43], s[0:1], 0x50
	s_load_b256 s[8:15], s[0:1], 0x30
	v_dual_mov_b32 v2, 0 :: v_dual_and_b32 v29, 15, v0
	v_lshrrev_b32_e32 v7, 4, v0
	s_ashr_i32 s3, s2, 31
	s_mul_i32 s40, s6, s6
	s_delay_alu instid0(VALU_DEP_2)
	v_mul_lo_u32 v1, v29, s6
	s_lshl_b64 s[46:47], s[2:3], 3
	v_mul_lo_u32 v3, v7, s6
	v_mov_b32_e32 v4, v2
	v_cmp_gt_i32_e64 s1, s6, v7
	v_lshlrev_b32_e32 v7, 2, v7
	v_cmp_gt_u32_e32 vcc_lo, s6, v29
	s_mul_hi_u32 s7, s34, s40
	v_lshlrev_b64 v[5:6], 2, v[1:2]
	s_mov_b32 s41, 0
	s_waitcnt lgkmcnt(0)
	s_add_u32 s2, s22, s46
	s_addc_u32 s3, s23, s47
	v_lshlrev_b64 v[11:12], 2, v[3:4]
	s_load_b64 s[22:23], s[2:3], 0x0
	v_add_co_u32 v1, s2, s20, v5
	s_delay_alu instid0(VALU_DEP_1) | instskip(NEXT) | instid1(VALU_DEP_3)
	v_add_co_ci_u32_e64 v3, s2, s21, v6, s2
	v_add_co_u32 v4, s2, s20, v11
	s_delay_alu instid0(VALU_DEP_1) | instskip(NEXT) | instid1(VALU_DEP_4)
	v_add_co_ci_u32_e64 v8, s2, s21, v12, s2
	v_add_co_u32 v10, s2, v1, v7
	s_delay_alu instid0(VALU_DEP_1)
	v_add_co_ci_u32_e64 v3, s2, 0, v3, s2
	v_lshlrev_b32_e32 v9, 2, v29
	v_cmp_lt_i64_e64 s2, s[34:35], s[36:37]
	v_cmp_gt_u32_e64 s0, 8, v0
	v_cmp_gt_u32_e64 s3, 0x100, v0
	v_mov_b32_e32 v39, 1
	s_mov_b32 s59, 8
	s_mov_b32 s50, s25
	s_waitcnt lgkmcnt(0)
	s_sub_u32 s60, s22, s26
	s_subb_u32 s61, s23, 0
	s_and_b32 s48, vcc_lo, s1
	v_add_co_u32 v13, vcc_lo, v4, v9
	v_add_co_ci_u32_e32 v4, vcc_lo, 0, v8, vcc_lo
	v_add_co_u32 v8, s1, s30, v5
	s_delay_alu instid0(VALU_DEP_1) | instskip(SKIP_1) | instid1(VALU_DEP_2)
	v_add_co_ci_u32_e64 v14, s1, s31, v6, s1
	s_cmp_eq_u32 s4, 0
	v_add_co_u32 v30, s1, v8, v7
	s_cselect_b32 vcc_lo, -1, 0
	s_cmp_lg_u32 s4, 0
	v_cndmask_b32_e32 v4, v3, v4, vcc_lo
	v_add_co_ci_u32_e64 v31, s1, 0, v14, s1
	s_cselect_b32 s49, -1, 0
	s_cmp_gt_i32 s6, 0
	v_add_co_u32 v8, s1, s30, v11
	s_cselect_b32 s51, -1, 0
	s_add_u32 s20, s16, s46
	v_add_co_ci_u32_e64 v14, s1, s31, v12, s1
	s_addc_u32 s21, s17, s47
	s_and_b32 s52, s44, s2
	s_add_u32 s53, s12, 8
	v_add_co_u32 v32, s1, v8, v9
	s_addc_u32 s54, s13, 0
	s_mul_i32 s4, s35, s40
	s_add_u32 s55, s28, -4
	v_add_co_ci_u32_e64 v33, s1, 0, v14, s1
	v_and_b32_e32 v1, 0xf0, v0
	s_addc_u32 s56, s29, -1
	s_add_i32 s17, s7, s4
	s_delay_alu instid0(VALU_DEP_2)
	v_cndmask_b32_e32 v36, v31, v33, vcc_lo
	s_mul_i32 s16, s34, s40
	v_or_b32_e32 v8, 0x400, v0
	s_lshl_b64 s[16:17], s[16:17], 2
	s_lshl_b64 s[30:31], s[40:41], 2
	s_add_u32 s4, s10, s16
	v_or_b32_e32 v15, v1, v29
	v_dual_cndmask_b32 v3, v10, v13 :: v_dual_lshlrev_b32 v34, 2, v0
	v_cndmask_b32_e32 v37, v30, v32, vcc_lo
	v_add_co_u32 v5, vcc_lo, s42, v5
	s_mov_b32 s22, s27
	s_mov_b32 s23, s41
	s_addc_u32 s44, s11, s17
	s_mov_b32 s7, s41
	v_add_co_u32 v7, s10, s4, v7
	v_add_co_ci_u32_e32 v6, vcc_lo, s43, v6, vcc_lo
	v_cmp_gt_u32_e64 s1, 0x700, v8
	v_add_co_ci_u32_e64 v8, null, s44, 0, s10
	s_lshl_b64 s[10:11], s[6:7], 2
	v_add_co_u32 v9, s7, s42, v9
	s_lshl_b64 s[16:17], s[22:23], 2
	v_add_co_u32 v11, vcc_lo, s4, v11
	v_mov_b32_e32 v13, s60
	v_dual_mov_b32 v14, s61 :: v_dual_lshlrev_b32 v35, 2, v15
	v_cmp_gt_u32_e64 s2, 0x200, v0
	v_add_co_ci_u32_e64 v10, null, s43, 0, s7
	v_add_co_ci_u32_e32 v12, vcc_lo, s44, v12, vcc_lo
	s_sub_u32 s7, s18, s16
	v_cndmask_b32_e64 v38, 0, 1, s51
	s_subb_u32 s23, s19, s17
	s_sub_u32 s57, 1, s27
	s_subb_u32 s58, 0, 0
	s_branch .LBB183_15
.LBB183_13:                             ;   in Loop: Header=BB183_15 Depth=1
	s_or_b32 exec_lo, exec_lo, s4
.LBB183_14:                             ;   in Loop: Header=BB183_15 Depth=1
	s_min_i32 s41, s60, s5
	s_delay_alu instid0(VALU_DEP_1)
	v_dual_mov_b32 v13, v15 :: v_dual_mov_b32 v14, v16
	s_add_i32 s59, s41, 8
	s_cmp_lt_i32 s60, s5
	s_waitcnt lgkmcnt(0)
	s_waitcnt_vscnt null, 0x0
	s_barrier
	buffer_gl0_inv
	s_barrier
	buffer_gl0_inv
	s_cbranch_scc0 .LBB183_99
.LBB183_15:                             ; =>This Loop Header: Depth=1
                                        ;     Child Loop BB183_25 Depth 2
                                        ;       Child Loop BB183_30 Depth 3
                                        ;         Child Loop BB183_39 Depth 4
                                        ;         Child Loop BB183_44 Depth 4
                                        ;     Child Loop BB183_58 Depth 2
	s_and_saveexec_b32 s4, s0
	s_cbranch_execz .LBB183_17
; %bb.16:                               ;   in Loop: Header=BB183_15 Depth=1
	ds_store_b8 v0, v2 offset:8192
.LBB183_17:                             ;   in Loop: Header=BB183_15 Depth=1
	s_or_b32 exec_lo, exec_lo, s4
	ds_store_2addr_stride64_b32 v34, v2, v2 offset1:4
	ds_store_2addr_stride64_b32 v34, v2, v2 offset0:8 offset1:12
	ds_store_b32 v34, v2 offset:4096
	s_and_saveexec_b32 s4, s1
	s_delay_alu instid0(SALU_CYCLE_1)
	s_xor_b32 s4, exec_lo, s4
	s_cbranch_execz .LBB183_23
; %bb.18:                               ;   in Loop: Header=BB183_15 Depth=1
	ds_store_b32 v34, v2 offset:5120
	s_and_saveexec_b32 s16, s2
	s_delay_alu instid0(SALU_CYCLE_1)
	s_xor_b32 s16, exec_lo, s16
	s_cbranch_execz .LBB183_22
; %bb.19:                               ;   in Loop: Header=BB183_15 Depth=1
	;; [unrolled: 6-line block ×3, first 2 shown]
	ds_store_b32 v34, v2 offset:7168
.LBB183_21:                             ;   in Loop: Header=BB183_15 Depth=1
	s_or_b32 exec_lo, exec_lo, s17
.LBB183_22:                             ;   in Loop: Header=BB183_15 Depth=1
	s_delay_alu instid0(SALU_CYCLE_1)
	s_or_b32 exec_lo, exec_lo, s16
.LBB183_23:                             ;   in Loop: Header=BB183_15 Depth=1
	s_delay_alu instid0(SALU_CYCLE_1) | instskip(NEXT) | instid1(SALU_CYCLE_1)
	s_or_b32 exec_lo, exec_lo, s4
	s_and_not1_b32 vcc_lo, exec_lo, s52
	s_mov_b32 s60, s5
	s_waitcnt lgkmcnt(0)
	s_barrier
	buffer_gl0_inv
	s_cbranch_vccnz .LBB183_53
; %bb.24:                               ;   in Loop: Header=BB183_15 Depth=1
	v_dual_mov_b32 v16, v12 :: v_dual_mov_b32 v15, v11
	v_dual_mov_b32 v18, v8 :: v_dual_mov_b32 v17, v7
	s_cmp_lg_u32 s41, 0
	s_mov_b32 s62, s5
	s_cselect_b32 s61, -1, 0
	s_mov_b64 s[16:17], s[34:35]
.LBB183_25:                             ;   Parent Loop BB183_15 Depth=1
                                        ; =>  This Loop Header: Depth=2
                                        ;       Child Loop BB183_30 Depth 3
                                        ;         Child Loop BB183_39 Depth 4
                                        ;         Child Loop BB183_44 Depth 4
	s_delay_alu instid0(SALU_CYCLE_1) | instskip(NEXT) | instid1(SALU_CYCLE_1)
	s_lshl_b64 s[18:19], s[16:17], 2
	s_add_u32 s18, s8, s18
	s_addc_u32 s19, s9, s19
	s_and_b32 vcc_lo, exec_lo, s61
	s_load_b32 s4, s[18:19], 0x0
	s_waitcnt lgkmcnt(0)
	s_sub_i32 s42, s4, s24
	s_cbranch_vccz .LBB183_52
; %bb.26:                               ;   in Loop: Header=BB183_25 Depth=2
	s_lshl_b64 s[18:19], s[16:17], 3
	s_delay_alu instid0(SALU_CYCLE_1)
	s_add_u32 s18, s38, s18
	s_addc_u32 s19, s39, s19
	s_ashr_i32 s43, s42, 31
	global_load_b64 v[19:20], v2, s[18:19]
	s_waitcnt vmcnt(0)
	v_readfirstlane_b32 s18, v19
	v_readfirstlane_b32 s19, v20
	s_cbranch_execnz .LBB183_28
.LBB183_27:                             ;   in Loop: Header=BB183_25 Depth=2
	s_ashr_i32 s43, s42, 31
	s_delay_alu instid0(SALU_CYCLE_1) | instskip(NEXT) | instid1(SALU_CYCLE_1)
	s_lshl_b64 s[18:19], s[42:43], 3
	s_add_u32 s18, s12, s18
	s_addc_u32 s19, s13, s19
	s_load_b64 s[18:19], s[18:19], 0x0
	s_waitcnt lgkmcnt(0)
	s_sub_u32 s18, s18, s50
	s_subb_u32 s19, s19, 0
.LBB183_28:                             ;   in Loop: Header=BB183_25 Depth=2
	s_lshl_b64 s[42:43], s[42:43], 3
	s_delay_alu instid0(SALU_CYCLE_1)
	s_add_u32 s42, s53, s42
	s_addc_u32 s43, s54, s43
	s_load_b64 s[42:43], s[42:43], 0x0
	s_waitcnt lgkmcnt(0)
	s_sub_u32 s42, s42, s50
	s_subb_u32 s43, s43, 0
	s_delay_alu instid0(SALU_CYCLE_1) | instskip(NEXT) | instid1(VALU_DEP_1)
	v_cmp_ge_i64_e64 s4, s[18:19], s[42:43]
	s_and_b32 vcc_lo, exec_lo, s4
	s_cbranch_vccnz .LBB183_49
; %bb.29:                               ;   in Loop: Header=BB183_25 Depth=2
	v_mad_u64_u32 v[19:20], null, s30, s18, v[5:6]
	v_mad_u64_u32 v[21:22], null, s30, s18, v[9:10]
	s_mul_i32 s4, s31, s18
	s_mul_i32 s44, s30, s19
	s_delay_alu instid0(SALU_CYCLE_1)
	s_add_i32 s44, s44, s4
	s_delay_alu instid0(VALU_DEP_2) | instid1(SALU_CYCLE_1)
	v_add_nc_u32_e32 v20, s44, v20
	s_delay_alu instid0(VALU_DEP_2)
	v_add_nc_u32_e32 v22, s44, v22
	s_mov_b64 s[44:45], s[18:19]
.LBB183_30:                             ;   Parent Loop BB183_15 Depth=1
                                        ;     Parent Loop BB183_25 Depth=2
                                        ; =>    This Loop Header: Depth=3
                                        ;         Child Loop BB183_39 Depth 4
                                        ;         Child Loop BB183_44 Depth 4
	s_lshl_b64 s[46:47], s[18:19], 2
	s_mov_b32 s64, -1
	s_add_u32 s46, s14, s46
	s_addc_u32 s47, s15, s47
                                        ; implicit-def: $sgpr60
	s_load_b32 s4, s[46:47], 0x0
                                        ; implicit-def: $sgpr46_sgpr47
	s_waitcnt lgkmcnt(0)
	s_sub_i32 s63, s4, s25
	s_delay_alu instid0(SALU_CYCLE_1) | instskip(SKIP_3) | instid1(SALU_CYCLE_1)
	s_cmp_lt_i32 s63, s41
	s_cselect_b32 s4, -1, 0
	s_cmp_ge_i32 s63, s59
	s_cselect_b32 s65, -1, 0
	s_or_b32 s4, s4, s65
	s_delay_alu instid0(SALU_CYCLE_1)
	s_and_b32 vcc_lo, exec_lo, s4
                                        ; implicit-def: $sgpr4
	s_cbranch_vccz .LBB183_34
; %bb.31:                               ;   in Loop: Header=BB183_30 Depth=3
	s_mov_b32 s4, -1
	s_and_not1_b32 vcc_lo, exec_lo, s65
	s_mov_b64 s[46:47], s[44:45]
	s_mov_b32 s60, s62
	s_cbranch_vccnz .LBB183_33
; %bb.32:                               ;   in Loop: Header=BB183_30 Depth=3
	s_min_i32 s60, s63, s62
	s_mov_b32 s4, 0
	s_mov_b64 s[46:47], s[18:19]
.LBB183_33:                             ;   in Loop: Header=BB183_30 Depth=3
	s_mov_b32 s64, 0
.LBB183_34:                             ;   in Loop: Header=BB183_30 Depth=3
	s_delay_alu instid0(SALU_CYCLE_1)
	s_and_not1_b32 vcc_lo, exec_lo, s64
	s_cbranch_vccnz .LBB183_47
; %bb.35:                               ;   in Loop: Header=BB183_30 Depth=3
	s_sub_i32 s47, s63, s41
	s_delay_alu instid0(SALU_CYCLE_1)
	v_mov_b32_e32 v23, s47
	ds_store_b8 v23, v39 offset:8192
	s_and_saveexec_b32 s46, s48
	s_cbranch_execz .LBB183_46
; %bb.36:                               ;   in Loop: Header=BB183_30 Depth=3
	v_cmp_ne_u32_e64 s4, 1, v38
	s_and_not1_b32 vcc_lo, exec_lo, s49
	s_cbranch_vccnz .LBB183_41
; %bb.37:                               ;   in Loop: Header=BB183_30 Depth=3
	v_mov_b32_e32 v40, 0
	s_delay_alu instid0(VALU_DEP_2)
	s_and_b32 vcc_lo, exec_lo, s4
	s_cbranch_vccnz .LBB183_40
; %bb.38:                               ;   in Loop: Header=BB183_30 Depth=3
	v_dual_mov_b32 v24, v18 :: v_dual_mov_b32 v23, v17
	v_dual_mov_b32 v26, v20 :: v_dual_mov_b32 v25, v19
	s_mov_b32 s4, s6
.LBB183_39:                             ;   Parent Loop BB183_15 Depth=1
                                        ;     Parent Loop BB183_25 Depth=2
                                        ;       Parent Loop BB183_30 Depth=3
                                        ; =>      This Inner Loop Header: Depth=4
	global_load_b32 v41, v[23:24], off
	global_load_b32 v42, v[25:26], off
	v_add_co_u32 v25, vcc_lo, v25, 4
	v_add_co_ci_u32_e32 v26, vcc_lo, 0, v26, vcc_lo
	v_add_co_u32 v23, vcc_lo, v23, s10
	v_add_co_ci_u32_e32 v24, vcc_lo, s11, v24, vcc_lo
	s_add_i32 s4, s4, -1
	s_delay_alu instid0(SALU_CYCLE_1)
	s_cmp_lg_u32 s4, 0
	s_waitcnt vmcnt(0)
	v_fmac_f32_e32 v40, v41, v42
	s_cbranch_scc1 .LBB183_39
.LBB183_40:                             ;   in Loop: Header=BB183_30 Depth=3
	s_cbranch_execz .LBB183_42
	s_branch .LBB183_45
.LBB183_41:                             ;   in Loop: Header=BB183_30 Depth=3
                                        ; implicit-def: $vgpr40
.LBB183_42:                             ;   in Loop: Header=BB183_30 Depth=3
	v_mov_b32_e32 v40, 0
	s_and_not1_b32 vcc_lo, exec_lo, s51
	s_cbranch_vccnz .LBB183_45
; %bb.43:                               ;   in Loop: Header=BB183_30 Depth=3
	v_dual_mov_b32 v24, v16 :: v_dual_mov_b32 v23, v15
	v_dual_mov_b32 v26, v22 :: v_dual_mov_b32 v25, v21
	s_mov_b32 s4, s6
.LBB183_44:                             ;   Parent Loop BB183_15 Depth=1
                                        ;     Parent Loop BB183_25 Depth=2
                                        ;       Parent Loop BB183_30 Depth=3
                                        ; =>      This Inner Loop Header: Depth=4
	global_load_b32 v41, v[23:24], off
	global_load_b32 v42, v[25:26], off
	v_add_co_u32 v25, vcc_lo, v25, s10
	v_add_co_ci_u32_e32 v26, vcc_lo, s11, v26, vcc_lo
	v_add_co_u32 v23, vcc_lo, v23, 4
	v_add_co_ci_u32_e32 v24, vcc_lo, 0, v24, vcc_lo
	s_add_i32 s4, s4, -1
	s_delay_alu instid0(SALU_CYCLE_1)
	s_cmp_eq_u32 s4, 0
	s_waitcnt vmcnt(0)
	v_fmac_f32_e32 v40, v41, v42
	s_cbranch_scc0 .LBB183_44
.LBB183_45:                             ;   in Loop: Header=BB183_30 Depth=3
	s_lshl_b32 s4, s47, 8
	s_delay_alu instid0(SALU_CYCLE_1) | instskip(NEXT) | instid1(VALU_DEP_1)
	v_or3_b32 v23, s4, v1, v29
	v_lshlrev_b32_e32 v23, 2, v23
	ds_load_b32 v24, v23
	s_waitcnt lgkmcnt(0)
	v_fmac_f32_e32 v24, v27, v40
	ds_store_b32 v23, v24
.LBB183_46:                             ;   in Loop: Header=BB183_30 Depth=3
	s_or_b32 exec_lo, exec_lo, s46
	s_mov_b32 s4, -1
	s_mov_b64 s[46:47], s[44:45]
	s_mov_b32 s60, s62
	s_waitcnt lgkmcnt(0)
	s_waitcnt_vscnt null, 0x0
	s_barrier
	buffer_gl0_inv
.LBB183_47:                             ;   in Loop: Header=BB183_30 Depth=3
	s_add_u32 s18, s18, 1
	s_addc_u32 s19, s19, 0
	v_add_co_u32 v19, vcc_lo, v19, s30
	v_cmp_lt_i64_e64 s44, s[18:19], s[42:43]
	v_add_co_ci_u32_e32 v20, vcc_lo, s31, v20, vcc_lo
	v_add_co_u32 v21, vcc_lo, v21, s30
	v_add_co_ci_u32_e32 v22, vcc_lo, s31, v22, vcc_lo
	s_delay_alu instid0(VALU_DEP_4) | instskip(NEXT) | instid1(SALU_CYCLE_1)
	s_and_b32 s4, s4, s44
	s_and_b32 vcc_lo, exec_lo, s4
	s_cbranch_vccz .LBB183_50
; %bb.48:                               ;   in Loop: Header=BB183_30 Depth=3
	s_mov_b64 s[44:45], s[46:47]
	s_mov_b32 s62, s60
	s_branch .LBB183_30
.LBB183_49:                             ;   in Loop: Header=BB183_25 Depth=2
	s_mov_b64 s[46:47], s[18:19]
	s_mov_b32 s60, s62
.LBB183_50:                             ;   in Loop: Header=BB183_25 Depth=2
	s_lshl_b64 s[18:19], s[16:17], 3
	v_add_co_u32 v17, vcc_lo, v17, s30
	s_add_u32 s18, s38, s18
	s_addc_u32 s19, s39, s19
	s_add_u32 s16, s16, 1
	s_addc_u32 s17, s17, 0
	v_add_co_ci_u32_e32 v18, vcc_lo, s31, v18, vcc_lo
	v_cmp_lt_i64_e64 s4, s[16:17], s[36:37]
	v_add_co_u32 v15, vcc_lo, v15, s30
	v_dual_mov_b32 v19, s46 :: v_dual_mov_b32 v20, s47
	v_add_co_ci_u32_e32 v16, vcc_lo, s31, v16, vcc_lo
	s_delay_alu instid0(VALU_DEP_4)
	s_and_b32 vcc_lo, exec_lo, s4
	global_store_b64 v2, v[19:20], s[18:19]
	s_cbranch_vccz .LBB183_53
; %bb.51:                               ;   in Loop: Header=BB183_25 Depth=2
	s_mov_b32 s62, s60
	s_branch .LBB183_25
.LBB183_52:                             ;   in Loop: Header=BB183_25 Depth=2
                                        ; implicit-def: $sgpr18_sgpr19
	s_branch .LBB183_27
.LBB183_53:                             ;   in Loop: Header=BB183_15 Depth=1
	s_and_not1_b32 vcc_lo, exec_lo, s33
	s_cbranch_vccnz .LBB183_63
; %bb.54:                               ;   in Loop: Header=BB183_15 Depth=1
	s_load_b128 s[16:19], s[20:21], 0x0
	s_waitcnt lgkmcnt(0)
	v_cmp_ge_i64_e64 s4, s[16:17], s[18:19]
	s_delay_alu instid0(VALU_DEP_1)
	s_and_b32 vcc_lo, exec_lo, s4
	s_cbranch_vccnz .LBB183_63
; %bb.55:                               ;   in Loop: Header=BB183_15 Depth=1
	s_sub_u32 s18, s18, s22
	s_subb_u32 s19, s19, 0
	s_sub_u32 s4, s16, s22
	s_subb_u32 s44, s17, 0
	v_mad_u64_u32 v[15:16], null, s30, s4, v[3:4]
	s_lshl_b64 s[42:43], s[16:17], 2
	s_mul_i32 s4, s31, s4
	s_mul_i32 s44, s30, s44
	s_add_u32 s42, s7, s42
	s_addc_u32 s43, s23, s43
	s_add_u32 s16, s57, s16
	s_delay_alu instid0(VALU_DEP_1)
	v_add3_u32 v16, s44, s4, v16
	s_addc_u32 s17, s58, s17
	s_branch .LBB183_58
.LBB183_56:                             ;   in Loop: Header=BB183_58 Depth=2
	s_or_b32 exec_lo, exec_lo, s4
	s_mov_b32 s44, -1
	s_mov_b32 s4, s60
	s_waitcnt lgkmcnt(0)
	s_waitcnt_vscnt null, 0x0
	s_barrier
	buffer_gl0_inv
.LBB183_57:                             ;   in Loop: Header=BB183_58 Depth=2
	v_cmp_lt_i64_e64 s45, s[16:17], s[18:19]
	v_add_co_u32 v15, vcc_lo, v15, s30
	v_add_co_ci_u32_e32 v16, vcc_lo, s31, v16, vcc_lo
	s_mov_b32 s60, s4
	s_delay_alu instid0(VALU_DEP_3)
	s_and_b32 s44, s44, s45
	s_add_u32 s42, s42, 4
	s_addc_u32 s43, s43, 0
	s_add_u32 s16, s16, 1
	s_addc_u32 s17, s17, 0
	s_and_b32 vcc_lo, exec_lo, s44
	s_cbranch_vccz .LBB183_63
.LBB183_58:                             ;   Parent Loop BB183_15 Depth=1
                                        ; =>  This Inner Loop Header: Depth=2
	s_load_b32 s4, s[42:43], 0x0
	s_waitcnt lgkmcnt(0)
	s_sub_i32 s45, s4, s27
	s_delay_alu instid0(SALU_CYCLE_1)
	s_cmp_lt_i32 s45, s41
	s_cselect_b32 s4, -1, 0
	s_cmp_lt_i32 s45, s59
	s_cselect_b32 s44, -1, 0
	s_cmp_ge_i32 s45, s59
	s_cselect_b32 s46, -1, 0
	s_delay_alu instid0(SALU_CYCLE_1)
	s_or_b32 s4, s4, s46
	s_mov_b32 s46, -1
	s_and_b32 vcc_lo, exec_lo, s4
                                        ; implicit-def: $sgpr4
	s_cbranch_vccz .LBB183_60
; %bb.59:                               ;   in Loop: Header=BB183_58 Depth=2
	s_min_i32 s4, s45, s60
	s_and_b32 s46, s44, exec_lo
	s_cselect_b32 s4, s60, s4
	s_mov_b32 s46, 0
.LBB183_60:                             ;   in Loop: Header=BB183_58 Depth=2
	s_delay_alu instid0(SALU_CYCLE_1)
	s_and_not1_b32 vcc_lo, exec_lo, s46
	s_cbranch_vccnz .LBB183_57
; %bb.61:                               ;   in Loop: Header=BB183_58 Depth=2
	s_sub_i32 s44, s45, s41
	s_delay_alu instid0(SALU_CYCLE_1)
	v_mov_b32_e32 v17, s44
	ds_store_b8 v17, v39 offset:8192
	s_and_saveexec_b32 s4, s48
	s_cbranch_execz .LBB183_56
; %bb.62:                               ;   in Loop: Header=BB183_58 Depth=2
	global_load_b32 v17, v[15:16], off
	s_lshl_b32 s44, s44, 8
	s_delay_alu instid0(SALU_CYCLE_1) | instskip(NEXT) | instid1(VALU_DEP_1)
	v_or3_b32 v18, s44, v1, v29
	v_lshlrev_b32_e32 v18, 2, v18
	ds_load_b32 v19, v18
	s_waitcnt vmcnt(0) lgkmcnt(0)
	v_fmac_f32_e32 v19, v28, v17
	ds_store_b32 v18, v19
	s_branch .LBB183_56
.LBB183_63:                             ;   in Loop: Header=BB183_15 Depth=1
	s_waitcnt_vscnt null, 0x0
	s_barrier
	buffer_gl0_inv
	ds_load_u8 v15, v2 offset:8192
	s_add_i32 s16, s41, s26
	s_mov_b32 s17, 0
	s_waitcnt lgkmcnt(0)
	v_cmp_eq_u32_e32 vcc_lo, 0, v15
	s_cbranch_vccnz .LBB183_67
; %bb.64:                               ;   in Loop: Header=BB183_15 Depth=1
	v_lshlrev_b64 v[15:16], 2, v[13:14]
	v_mov_b32_e32 v17, s16
	s_delay_alu instid0(VALU_DEP_2) | instskip(NEXT) | instid1(VALU_DEP_3)
	v_add_co_u32 v15, vcc_lo, s28, v15
	v_add_co_ci_u32_e32 v16, vcc_lo, s29, v16, vcc_lo
	global_store_b32 v[15:16], v17, off
	s_and_saveexec_b32 s4, s48
	s_cbranch_execz .LBB183_66
; %bb.65:                               ;   in Loop: Header=BB183_15 Depth=1
	v_mad_u64_u32 v[15:16], null, v13, s40, 0
	s_delay_alu instid0(VALU_DEP_1) | instskip(SKIP_2) | instid1(VALU_DEP_1)
	v_mad_u64_u32 v[17:18], null, v14, s40, v[16:17]
	ds_load_b32 v18, v34
	v_mov_b32_e32 v16, v17
	v_lshlrev_b64 v[15:16], 2, v[15:16]
	s_delay_alu instid0(VALU_DEP_1) | instskip(NEXT) | instid1(VALU_DEP_2)
	v_add_co_u32 v15, vcc_lo, v37, v15
	v_add_co_ci_u32_e32 v16, vcc_lo, v36, v16, vcc_lo
	s_waitcnt lgkmcnt(0)
	global_store_b32 v[15:16], v18, off
.LBB183_66:                             ;   in Loop: Header=BB183_15 Depth=1
	s_or_b32 exec_lo, exec_lo, s4
	s_mov_b32 s17, 1
.LBB183_67:                             ;   in Loop: Header=BB183_15 Depth=1
	ds_load_u8 v15, v2 offset:8193
	v_add_co_u32 v17, s4, v13, -1
	s_delay_alu instid0(VALU_DEP_1)
	v_add_co_ci_u32_e64 v18, s4, -1, v14, s4
	s_waitcnt lgkmcnt(0)
	v_cmp_eq_u32_e32 vcc_lo, 0, v15
	s_cbranch_vccz .LBB183_73
; %bb.68:                               ;   in Loop: Header=BB183_15 Depth=1
	ds_load_u8 v15, v2 offset:8194
	s_waitcnt lgkmcnt(0)
	v_cmp_eq_u32_e32 vcc_lo, 0, v15
	s_cbranch_vccz .LBB183_76
.LBB183_69:                             ;   in Loop: Header=BB183_15 Depth=1
	ds_load_u8 v15, v2 offset:8195
	s_waitcnt lgkmcnt(0)
	v_cmp_eq_u32_e32 vcc_lo, 0, v15
	s_cbranch_vccz .LBB183_79
.LBB183_70:                             ;   in Loop: Header=BB183_15 Depth=1
	ds_load_u8 v15, v2 offset:8196
	s_waitcnt lgkmcnt(0)
	v_cmp_eq_u32_e32 vcc_lo, 0, v15
	s_cbranch_vccz .LBB183_82
.LBB183_71:                             ;   in Loop: Header=BB183_15 Depth=1
	ds_load_u8 v15, v2 offset:8197
	s_waitcnt lgkmcnt(0)
	v_cmp_eq_u32_e32 vcc_lo, 0, v15
	s_cbranch_vccz .LBB183_85
.LBB183_72:                             ;   in Loop: Header=BB183_15 Depth=1
	ds_load_u8 v15, v2 offset:8198
	s_waitcnt lgkmcnt(0)
	v_cmp_eq_u32_e32 vcc_lo, 0, v15
	s_cbranch_vccz .LBB183_88
	s_branch .LBB183_91
.LBB183_73:                             ;   in Loop: Header=BB183_15 Depth=1
	s_add_i32 s17, s17, 1
	s_add_i32 s4, s16, 1
	v_add_co_u32 v15, vcc_lo, v13, s17
	v_add_co_ci_u32_e32 v16, vcc_lo, 0, v14, vcc_lo
	v_mov_b32_e32 v19, s4
	s_delay_alu instid0(VALU_DEP_2) | instskip(NEXT) | instid1(VALU_DEP_1)
	v_lshlrev_b64 v[15:16], 2, v[15:16]
	v_add_co_u32 v15, vcc_lo, s55, v15
	s_delay_alu instid0(VALU_DEP_2)
	v_add_co_ci_u32_e32 v16, vcc_lo, s56, v16, vcc_lo
	global_store_b32 v[15:16], v19, off
	s_and_saveexec_b32 s4, s48
	s_cbranch_execz .LBB183_75
; %bb.74:                               ;   in Loop: Header=BB183_15 Depth=1
	v_add_co_u32 v19, vcc_lo, v17, s17
	v_add_co_ci_u32_e32 v21, vcc_lo, 0, v18, vcc_lo
	s_delay_alu instid0(VALU_DEP_2) | instskip(NEXT) | instid1(VALU_DEP_1)
	v_mad_u64_u32 v[15:16], null, v19, s40, 0
	v_mad_u64_u32 v[19:20], null, v21, s40, v[16:17]
	ds_load_b32 v20, v35 offset:1024
	v_mov_b32_e32 v16, v19
	s_delay_alu instid0(VALU_DEP_1) | instskip(NEXT) | instid1(VALU_DEP_1)
	v_lshlrev_b64 v[15:16], 2, v[15:16]
	v_add_co_u32 v15, vcc_lo, v37, v15
	s_delay_alu instid0(VALU_DEP_2)
	v_add_co_ci_u32_e32 v16, vcc_lo, v36, v16, vcc_lo
	s_waitcnt lgkmcnt(0)
	global_store_b32 v[15:16], v20, off
.LBB183_75:                             ;   in Loop: Header=BB183_15 Depth=1
	s_or_b32 exec_lo, exec_lo, s4
	ds_load_u8 v15, v2 offset:8194
	s_waitcnt lgkmcnt(0)
	v_cmp_eq_u32_e32 vcc_lo, 0, v15
	s_cbranch_vccnz .LBB183_69
.LBB183_76:                             ;   in Loop: Header=BB183_15 Depth=1
	s_add_i32 s17, s17, 1
	s_add_i32 s4, s16, 2
	v_add_co_u32 v15, vcc_lo, v13, s17
	v_add_co_ci_u32_e32 v16, vcc_lo, 0, v14, vcc_lo
	v_mov_b32_e32 v19, s4
	s_delay_alu instid0(VALU_DEP_2) | instskip(NEXT) | instid1(VALU_DEP_1)
	v_lshlrev_b64 v[15:16], 2, v[15:16]
	v_add_co_u32 v15, vcc_lo, s55, v15
	s_delay_alu instid0(VALU_DEP_2)
	v_add_co_ci_u32_e32 v16, vcc_lo, s56, v16, vcc_lo
	global_store_b32 v[15:16], v19, off
	s_and_saveexec_b32 s4, s48
	s_cbranch_execz .LBB183_78
; %bb.77:                               ;   in Loop: Header=BB183_15 Depth=1
	v_add_co_u32 v19, vcc_lo, v17, s17
	v_add_co_ci_u32_e32 v21, vcc_lo, 0, v18, vcc_lo
	s_delay_alu instid0(VALU_DEP_2) | instskip(NEXT) | instid1(VALU_DEP_1)
	v_mad_u64_u32 v[15:16], null, v19, s40, 0
	v_mad_u64_u32 v[19:20], null, v21, s40, v[16:17]
	ds_load_b32 v20, v35 offset:2048
	v_mov_b32_e32 v16, v19
	s_delay_alu instid0(VALU_DEP_1) | instskip(NEXT) | instid1(VALU_DEP_1)
	v_lshlrev_b64 v[15:16], 2, v[15:16]
	v_add_co_u32 v15, vcc_lo, v37, v15
	s_delay_alu instid0(VALU_DEP_2)
	v_add_co_ci_u32_e32 v16, vcc_lo, v36, v16, vcc_lo
	s_waitcnt lgkmcnt(0)
	global_store_b32 v[15:16], v20, off
.LBB183_78:                             ;   in Loop: Header=BB183_15 Depth=1
	s_or_b32 exec_lo, exec_lo, s4
	ds_load_u8 v15, v2 offset:8195
	s_waitcnt lgkmcnt(0)
	v_cmp_eq_u32_e32 vcc_lo, 0, v15
	s_cbranch_vccnz .LBB183_70
.LBB183_79:                             ;   in Loop: Header=BB183_15 Depth=1
	s_add_i32 s17, s17, 1
	s_add_i32 s4, s16, 3
	v_add_co_u32 v15, vcc_lo, v13, s17
	v_add_co_ci_u32_e32 v16, vcc_lo, 0, v14, vcc_lo
	v_mov_b32_e32 v19, s4
	s_delay_alu instid0(VALU_DEP_2) | instskip(NEXT) | instid1(VALU_DEP_1)
	v_lshlrev_b64 v[15:16], 2, v[15:16]
	v_add_co_u32 v15, vcc_lo, s55, v15
	s_delay_alu instid0(VALU_DEP_2)
	v_add_co_ci_u32_e32 v16, vcc_lo, s56, v16, vcc_lo
	global_store_b32 v[15:16], v19, off
	s_and_saveexec_b32 s4, s48
	s_cbranch_execz .LBB183_81
; %bb.80:                               ;   in Loop: Header=BB183_15 Depth=1
	v_add_co_u32 v19, vcc_lo, v17, s17
	v_add_co_ci_u32_e32 v21, vcc_lo, 0, v18, vcc_lo
	s_delay_alu instid0(VALU_DEP_2) | instskip(NEXT) | instid1(VALU_DEP_1)
	v_mad_u64_u32 v[15:16], null, v19, s40, 0
	v_mad_u64_u32 v[19:20], null, v21, s40, v[16:17]
	ds_load_b32 v20, v35 offset:3072
	v_mov_b32_e32 v16, v19
	s_delay_alu instid0(VALU_DEP_1) | instskip(NEXT) | instid1(VALU_DEP_1)
	v_lshlrev_b64 v[15:16], 2, v[15:16]
	v_add_co_u32 v15, vcc_lo, v37, v15
	s_delay_alu instid0(VALU_DEP_2)
	v_add_co_ci_u32_e32 v16, vcc_lo, v36, v16, vcc_lo
	s_waitcnt lgkmcnt(0)
	global_store_b32 v[15:16], v20, off
.LBB183_81:                             ;   in Loop: Header=BB183_15 Depth=1
	s_or_b32 exec_lo, exec_lo, s4
	ds_load_u8 v15, v2 offset:8196
	s_waitcnt lgkmcnt(0)
	v_cmp_eq_u32_e32 vcc_lo, 0, v15
	s_cbranch_vccnz .LBB183_71
.LBB183_82:                             ;   in Loop: Header=BB183_15 Depth=1
	s_add_i32 s17, s17, 1
	s_add_i32 s4, s16, 4
	v_add_co_u32 v15, vcc_lo, v13, s17
	v_add_co_ci_u32_e32 v16, vcc_lo, 0, v14, vcc_lo
	v_mov_b32_e32 v19, s4
	s_delay_alu instid0(VALU_DEP_2) | instskip(NEXT) | instid1(VALU_DEP_1)
	v_lshlrev_b64 v[15:16], 2, v[15:16]
	v_add_co_u32 v15, vcc_lo, s55, v15
	s_delay_alu instid0(VALU_DEP_2)
	v_add_co_ci_u32_e32 v16, vcc_lo, s56, v16, vcc_lo
	global_store_b32 v[15:16], v19, off
	s_and_saveexec_b32 s4, s48
	s_cbranch_execz .LBB183_84
; %bb.83:                               ;   in Loop: Header=BB183_15 Depth=1
	v_add_co_u32 v19, vcc_lo, v17, s17
	v_add_co_ci_u32_e32 v21, vcc_lo, 0, v18, vcc_lo
	s_delay_alu instid0(VALU_DEP_2) | instskip(NEXT) | instid1(VALU_DEP_1)
	v_mad_u64_u32 v[15:16], null, v19, s40, 0
	v_mad_u64_u32 v[19:20], null, v21, s40, v[16:17]
	ds_load_b32 v20, v34 offset:4096
	v_mov_b32_e32 v16, v19
	s_delay_alu instid0(VALU_DEP_1) | instskip(NEXT) | instid1(VALU_DEP_1)
	v_lshlrev_b64 v[15:16], 2, v[15:16]
	v_add_co_u32 v15, vcc_lo, v37, v15
	s_delay_alu instid0(VALU_DEP_2)
	v_add_co_ci_u32_e32 v16, vcc_lo, v36, v16, vcc_lo
	s_waitcnt lgkmcnt(0)
	global_store_b32 v[15:16], v20, off
.LBB183_84:                             ;   in Loop: Header=BB183_15 Depth=1
	s_or_b32 exec_lo, exec_lo, s4
	ds_load_u8 v15, v2 offset:8197
	s_waitcnt lgkmcnt(0)
	v_cmp_eq_u32_e32 vcc_lo, 0, v15
	s_cbranch_vccnz .LBB183_72
.LBB183_85:                             ;   in Loop: Header=BB183_15 Depth=1
	s_add_i32 s17, s17, 1
	s_add_i32 s4, s16, 5
	v_add_co_u32 v15, vcc_lo, v13, s17
	v_add_co_ci_u32_e32 v16, vcc_lo, 0, v14, vcc_lo
	v_mov_b32_e32 v19, s4
	s_delay_alu instid0(VALU_DEP_2) | instskip(NEXT) | instid1(VALU_DEP_1)
	v_lshlrev_b64 v[15:16], 2, v[15:16]
	v_add_co_u32 v15, vcc_lo, s55, v15
	s_delay_alu instid0(VALU_DEP_2)
	v_add_co_ci_u32_e32 v16, vcc_lo, s56, v16, vcc_lo
	global_store_b32 v[15:16], v19, off
	s_and_saveexec_b32 s4, s48
	s_cbranch_execz .LBB183_87
; %bb.86:                               ;   in Loop: Header=BB183_15 Depth=1
	v_add_co_u32 v19, vcc_lo, v17, s17
	v_add_co_ci_u32_e32 v21, vcc_lo, 0, v18, vcc_lo
	s_delay_alu instid0(VALU_DEP_2) | instskip(NEXT) | instid1(VALU_DEP_1)
	v_mad_u64_u32 v[15:16], null, v19, s40, 0
	v_mad_u64_u32 v[19:20], null, v21, s40, v[16:17]
	ds_load_b32 v20, v35 offset:5120
	v_mov_b32_e32 v16, v19
	s_delay_alu instid0(VALU_DEP_1) | instskip(NEXT) | instid1(VALU_DEP_1)
	v_lshlrev_b64 v[15:16], 2, v[15:16]
	v_add_co_u32 v15, vcc_lo, v37, v15
	s_delay_alu instid0(VALU_DEP_2)
	v_add_co_ci_u32_e32 v16, vcc_lo, v36, v16, vcc_lo
	s_waitcnt lgkmcnt(0)
	global_store_b32 v[15:16], v20, off
.LBB183_87:                             ;   in Loop: Header=BB183_15 Depth=1
	s_or_b32 exec_lo, exec_lo, s4
	ds_load_u8 v15, v2 offset:8198
	s_waitcnt lgkmcnt(0)
	v_cmp_eq_u32_e32 vcc_lo, 0, v15
	s_cbranch_vccnz .LBB183_91
.LBB183_88:                             ;   in Loop: Header=BB183_15 Depth=1
	s_add_i32 s17, s17, 1
	s_add_i32 s4, s16, 6
	v_add_co_u32 v15, vcc_lo, v13, s17
	v_add_co_ci_u32_e32 v16, vcc_lo, 0, v14, vcc_lo
	v_mov_b32_e32 v19, s4
	s_delay_alu instid0(VALU_DEP_2) | instskip(NEXT) | instid1(VALU_DEP_1)
	v_lshlrev_b64 v[15:16], 2, v[15:16]
	v_add_co_u32 v15, vcc_lo, s55, v15
	s_delay_alu instid0(VALU_DEP_2)
	v_add_co_ci_u32_e32 v16, vcc_lo, s56, v16, vcc_lo
	global_store_b32 v[15:16], v19, off
	s_and_saveexec_b32 s4, s48
	s_cbranch_execz .LBB183_90
; %bb.89:                               ;   in Loop: Header=BB183_15 Depth=1
	v_add_co_u32 v19, vcc_lo, v17, s17
	v_add_co_ci_u32_e32 v21, vcc_lo, 0, v18, vcc_lo
	s_delay_alu instid0(VALU_DEP_2) | instskip(NEXT) | instid1(VALU_DEP_1)
	v_mad_u64_u32 v[15:16], null, v19, s40, 0
	v_mad_u64_u32 v[19:20], null, v21, s40, v[16:17]
	ds_load_b32 v20, v35 offset:6144
	v_mov_b32_e32 v16, v19
	s_delay_alu instid0(VALU_DEP_1) | instskip(NEXT) | instid1(VALU_DEP_1)
	v_lshlrev_b64 v[15:16], 2, v[15:16]
	v_add_co_u32 v15, vcc_lo, v37, v15
	s_delay_alu instid0(VALU_DEP_2)
	v_add_co_ci_u32_e32 v16, vcc_lo, v36, v16, vcc_lo
	s_waitcnt lgkmcnt(0)
	global_store_b32 v[15:16], v20, off
.LBB183_90:                             ;   in Loop: Header=BB183_15 Depth=1
	s_or_b32 exec_lo, exec_lo, s4
.LBB183_91:                             ;   in Loop: Header=BB183_15 Depth=1
	ds_load_u8 v15, v2 offset:8199
	s_waitcnt lgkmcnt(0)
	v_and_b32_e32 v15, 1, v15
	s_delay_alu instid0(VALU_DEP_1)
	v_cmp_eq_u32_e32 vcc_lo, 1, v15
	s_cbranch_vccnz .LBB183_93
; %bb.92:                               ;   in Loop: Header=BB183_15 Depth=1
	v_add_co_u32 v15, vcc_lo, s17, v13
	v_add_co_ci_u32_e32 v16, vcc_lo, 0, v14, vcc_lo
	s_cbranch_execnz .LBB183_14
	s_branch .LBB183_94
.LBB183_93:                             ;   in Loop: Header=BB183_15 Depth=1
                                        ; implicit-def: $vgpr15_vgpr16
.LBB183_94:                             ;   in Loop: Header=BB183_15 Depth=1
	s_add_i32 s17, s17, 1
	s_add_i32 s4, s16, 7
	v_add_co_u32 v15, vcc_lo, v13, s17
	v_add_co_ci_u32_e32 v16, vcc_lo, 0, v14, vcc_lo
	v_mov_b32_e32 v19, s4
	s_delay_alu instid0(VALU_DEP_2) | instskip(NEXT) | instid1(VALU_DEP_1)
	v_lshlrev_b64 v[13:14], 2, v[15:16]
	v_add_co_u32 v13, vcc_lo, s55, v13
	s_delay_alu instid0(VALU_DEP_2)
	v_add_co_ci_u32_e32 v14, vcc_lo, s56, v14, vcc_lo
	global_store_b32 v[13:14], v19, off
	s_and_saveexec_b32 s4, s48
	s_cbranch_execz .LBB183_13
; %bb.95:                               ;   in Loop: Header=BB183_15 Depth=1
	v_add_co_u32 v17, vcc_lo, v17, s17
	v_add_co_ci_u32_e32 v20, vcc_lo, 0, v18, vcc_lo
	s_and_not1_b32 vcc_lo, exec_lo, s49
	s_delay_alu instid0(VALU_DEP_2) | instskip(SKIP_2) | instid1(VALU_DEP_1)
	v_mad_u64_u32 v[13:14], null, v17, s40, 0
	ds_load_b32 v17, v35 offset:7168
	v_mad_u64_u32 v[18:19], null, v20, s40, v[14:15]
	v_mov_b32_e32 v14, v18
	s_delay_alu instid0(VALU_DEP_1)
	v_lshlrev_b64 v[13:14], 2, v[13:14]
	s_cbranch_vccnz .LBB183_97
; %bb.96:                               ;   in Loop: Header=BB183_15 Depth=1
	s_delay_alu instid0(VALU_DEP_1) | instskip(NEXT) | instid1(VALU_DEP_2)
	v_add_co_u32 v18, vcc_lo, v30, v13
	v_add_co_ci_u32_e32 v19, vcc_lo, v31, v14, vcc_lo
	s_waitcnt lgkmcnt(0)
	global_store_b32 v[18:19], v17, off
	s_cbranch_execnz .LBB183_13
	s_branch .LBB183_98
.LBB183_97:                             ;   in Loop: Header=BB183_15 Depth=1
.LBB183_98:                             ;   in Loop: Header=BB183_15 Depth=1
	s_delay_alu instid0(VALU_DEP_1) | instskip(NEXT) | instid1(VALU_DEP_2)
	v_add_co_u32 v13, vcc_lo, v32, v13
	v_add_co_ci_u32_e32 v14, vcc_lo, v33, v14, vcc_lo
	s_waitcnt lgkmcnt(0)
	global_store_b32 v[13:14], v17, off
	s_branch .LBB183_13
.LBB183_99:
	s_endpgm
	.section	.rodata,"a",@progbits
	.p2align	6, 0x0
	.amdhsa_kernel _ZN9rocsparseL31bsrgemm_block_per_row_multipassILj256ELj8ELj16ElifEEv20rocsparse_direction_T3_S2_PKS2_S4_NS_24const_host_device_scalarIT4_EEPKT2_S4_PKS6_SA_S4_SC_S7_SA_S4_SC_SA_PS2_PS6_PS8_21rocsparse_index_base_SG_SG_SG_bbb
		.amdhsa_group_segment_fixed_size 8200
		.amdhsa_private_segment_fixed_size 0
		.amdhsa_kernarg_size 172
		.amdhsa_user_sgpr_count 15
		.amdhsa_user_sgpr_dispatch_ptr 0
		.amdhsa_user_sgpr_queue_ptr 0
		.amdhsa_user_sgpr_kernarg_segment_ptr 1
		.amdhsa_user_sgpr_dispatch_id 0
		.amdhsa_user_sgpr_private_segment_size 0
		.amdhsa_wavefront_size32 1
		.amdhsa_uses_dynamic_stack 0
		.amdhsa_enable_private_segment 0
		.amdhsa_system_sgpr_workgroup_id_x 1
		.amdhsa_system_sgpr_workgroup_id_y 0
		.amdhsa_system_sgpr_workgroup_id_z 0
		.amdhsa_system_sgpr_workgroup_info 0
		.amdhsa_system_vgpr_workitem_id 0
		.amdhsa_next_free_vgpr 43
		.amdhsa_next_free_sgpr 66
		.amdhsa_reserve_vcc 1
		.amdhsa_float_round_mode_32 0
		.amdhsa_float_round_mode_16_64 0
		.amdhsa_float_denorm_mode_32 3
		.amdhsa_float_denorm_mode_16_64 3
		.amdhsa_dx10_clamp 1
		.amdhsa_ieee_mode 1
		.amdhsa_fp16_overflow 0
		.amdhsa_workgroup_processor_mode 1
		.amdhsa_memory_ordered 1
		.amdhsa_forward_progress 0
		.amdhsa_shared_vgpr_count 0
		.amdhsa_exception_fp_ieee_invalid_op 0
		.amdhsa_exception_fp_denorm_src 0
		.amdhsa_exception_fp_ieee_div_zero 0
		.amdhsa_exception_fp_ieee_overflow 0
		.amdhsa_exception_fp_ieee_underflow 0
		.amdhsa_exception_fp_ieee_inexact 0
		.amdhsa_exception_int_div_zero 0
	.end_amdhsa_kernel
	.section	.text._ZN9rocsparseL31bsrgemm_block_per_row_multipassILj256ELj8ELj16ElifEEv20rocsparse_direction_T3_S2_PKS2_S4_NS_24const_host_device_scalarIT4_EEPKT2_S4_PKS6_SA_S4_SC_S7_SA_S4_SC_SA_PS2_PS6_PS8_21rocsparse_index_base_SG_SG_SG_bbb,"axG",@progbits,_ZN9rocsparseL31bsrgemm_block_per_row_multipassILj256ELj8ELj16ElifEEv20rocsparse_direction_T3_S2_PKS2_S4_NS_24const_host_device_scalarIT4_EEPKT2_S4_PKS6_SA_S4_SC_S7_SA_S4_SC_SA_PS2_PS6_PS8_21rocsparse_index_base_SG_SG_SG_bbb,comdat
.Lfunc_end183:
	.size	_ZN9rocsparseL31bsrgemm_block_per_row_multipassILj256ELj8ELj16ElifEEv20rocsparse_direction_T3_S2_PKS2_S4_NS_24const_host_device_scalarIT4_EEPKT2_S4_PKS6_SA_S4_SC_S7_SA_S4_SC_SA_PS2_PS6_PS8_21rocsparse_index_base_SG_SG_SG_bbb, .Lfunc_end183-_ZN9rocsparseL31bsrgemm_block_per_row_multipassILj256ELj8ELj16ElifEEv20rocsparse_direction_T3_S2_PKS2_S4_NS_24const_host_device_scalarIT4_EEPKT2_S4_PKS6_SA_S4_SC_S7_SA_S4_SC_SA_PS2_PS6_PS8_21rocsparse_index_base_SG_SG_SG_bbb
                                        ; -- End function
	.section	.AMDGPU.csdata,"",@progbits
; Kernel info:
; codeLenInByte = 4132
; NumSgprs: 68
; NumVgprs: 43
; ScratchSize: 0
; MemoryBound: 1
; FloatMode: 240
; IeeeMode: 1
; LDSByteSize: 8200 bytes/workgroup (compile time only)
; SGPRBlocks: 8
; VGPRBlocks: 5
; NumSGPRsForWavesPerEU: 68
; NumVGPRsForWavesPerEU: 43
; Occupancy: 16
; WaveLimiterHint : 1
; COMPUTE_PGM_RSRC2:SCRATCH_EN: 0
; COMPUTE_PGM_RSRC2:USER_SGPR: 15
; COMPUTE_PGM_RSRC2:TRAP_HANDLER: 0
; COMPUTE_PGM_RSRC2:TGID_X_EN: 1
; COMPUTE_PGM_RSRC2:TGID_Y_EN: 0
; COMPUTE_PGM_RSRC2:TGID_Z_EN: 0
; COMPUTE_PGM_RSRC2:TIDIG_COMP_CNT: 0
	.section	.text._ZN9rocsparseL31bsrgemm_block_per_row_multipassILj256ELj2ELj32ElifEEv20rocsparse_direction_T3_S2_PKS2_S4_NS_24const_host_device_scalarIT4_EEPKT2_S4_PKS6_SA_S4_SC_S7_SA_S4_SC_SA_PS2_PS6_PS8_21rocsparse_index_base_SG_SG_SG_bbb,"axG",@progbits,_ZN9rocsparseL31bsrgemm_block_per_row_multipassILj256ELj2ELj32ElifEEv20rocsparse_direction_T3_S2_PKS2_S4_NS_24const_host_device_scalarIT4_EEPKT2_S4_PKS6_SA_S4_SC_S7_SA_S4_SC_SA_PS2_PS6_PS8_21rocsparse_index_base_SG_SG_SG_bbb,comdat
	.globl	_ZN9rocsparseL31bsrgemm_block_per_row_multipassILj256ELj2ELj32ElifEEv20rocsparse_direction_T3_S2_PKS2_S4_NS_24const_host_device_scalarIT4_EEPKT2_S4_PKS6_SA_S4_SC_S7_SA_S4_SC_SA_PS2_PS6_PS8_21rocsparse_index_base_SG_SG_SG_bbb ; -- Begin function _ZN9rocsparseL31bsrgemm_block_per_row_multipassILj256ELj2ELj32ElifEEv20rocsparse_direction_T3_S2_PKS2_S4_NS_24const_host_device_scalarIT4_EEPKT2_S4_PKS6_SA_S4_SC_S7_SA_S4_SC_SA_PS2_PS6_PS8_21rocsparse_index_base_SG_SG_SG_bbb
	.p2align	8
	.type	_ZN9rocsparseL31bsrgemm_block_per_row_multipassILj256ELj2ELj32ElifEEv20rocsparse_direction_T3_S2_PKS2_S4_NS_24const_host_device_scalarIT4_EEPKT2_S4_PKS6_SA_S4_SC_S7_SA_S4_SC_SA_PS2_PS6_PS8_21rocsparse_index_base_SG_SG_SG_bbb,@function
_ZN9rocsparseL31bsrgemm_block_per_row_multipassILj256ELj2ELj32ElifEEv20rocsparse_direction_T3_S2_PKS2_S4_NS_24const_host_device_scalarIT4_EEPKT2_S4_PKS6_SA_S4_SC_S7_SA_S4_SC_SA_PS2_PS6_PS8_21rocsparse_index_base_SG_SG_SG_bbb: ; @_ZN9rocsparseL31bsrgemm_block_per_row_multipassILj256ELj2ELj32ElifEEv20rocsparse_direction_T3_S2_PKS2_S4_NS_24const_host_device_scalarIT4_EEPKT2_S4_PKS6_SA_S4_SC_S7_SA_S4_SC_SA_PS2_PS6_PS8_21rocsparse_index_base_SG_SG_SG_bbb
; %bb.0:
	s_clause 0x3
	s_load_b32 s3, s[0:1], 0xa8
	s_load_b128 s[20:23], s[0:1], 0x98
	s_load_b64 s[6:7], s[0:1], 0x20
	s_load_b64 s[4:5], s[0:1], 0x58
	s_mov_b32 s2, s15
	s_waitcnt lgkmcnt(0)
	s_bitcmp1_b32 s3, 0
	s_cselect_b32 s48, -1, 0
	s_bitcmp1_b32 s3, 16
	s_cselect_b32 s8, -1, 0
	s_xor_b32 s9, s48, -1
	s_delay_alu instid0(SALU_CYCLE_1) | instskip(NEXT) | instid1(SALU_CYCLE_1)
	s_or_b32 s9, s9, s8
	s_and_b32 vcc_lo, exec_lo, s9
	s_cbranch_vccnz .LBB184_2
; %bb.1:
	s_load_b32 s6, s[6:7], 0x0
	s_waitcnt lgkmcnt(0)
	v_mov_b32_e32 v41, s6
	s_branch .LBB184_3
.LBB184_2:
	v_cndmask_b32_e64 v41, 0, s6, s48
.LBB184_3:
	s_load_b64 s[6:7], s[0:1], 0x18
	s_bitcmp1_b32 s3, 8
	s_cselect_b32 s33, -1, 0
	s_delay_alu instid0(SALU_CYCLE_1) | instskip(NEXT) | instid1(SALU_CYCLE_1)
	s_xor_b32 s3, s33, -1
	s_or_b32 s3, s3, s8
	s_delay_alu instid0(SALU_CYCLE_1)
	s_and_b32 vcc_lo, exec_lo, s3
	s_cbranch_vccnz .LBB184_5
; %bb.4:
	s_load_b32 s3, s[4:5], 0x0
	s_waitcnt lgkmcnt(0)
	v_mov_b32_e32 v42, s3
	s_load_b64 s[4:5], s[0:1], 0x28
	s_cmp_eq_u64 s[6:7], 0
	s_mov_b64 s[34:35], 0
	s_cbranch_scc0 .LBB184_6
	s_branch .LBB184_7
.LBB184_5:
	v_cndmask_b32_e64 v42, 0, s4, s33
	s_load_b64 s[4:5], s[0:1], 0x28
	s_waitcnt lgkmcnt(0)
	s_cmp_eq_u64 s[6:7], 0
	s_mov_b64 s[34:35], 0
	s_cbranch_scc1 .LBB184_7
.LBB184_6:
	s_load_b64 s[8:9], s[0:1], 0x10
	s_waitcnt lgkmcnt(0)
	s_load_b32 s3, s[8:9], 0x0
	s_waitcnt lgkmcnt(0)
	s_add_i32 s2, s3, s2
	s_mov_b32 s3, 0
	s_delay_alu instid0(SALU_CYCLE_1) | instskip(NEXT) | instid1(SALU_CYCLE_1)
	s_lshl_b64 s[2:3], s[2:3], 2
	s_add_u32 s2, s6, s2
	s_addc_u32 s3, s7, s3
	s_load_b32 s2, s[2:3], 0x0
.LBB184_7:
	s_and_not1_b32 vcc_lo, exec_lo, s48
	s_cbranch_vccz .LBB184_10
; %bb.8:
	s_and_not1_b32 vcc_lo, exec_lo, s48
	s_mov_b64 s[40:41], 0
	s_cbranch_vccz .LBB184_11
.LBB184_9:
	s_load_b128 s[24:27], s[0:1], 0x0
	s_waitcnt lgkmcnt(0)
	s_cmp_lt_i32 s25, 1
	s_cbranch_scc0 .LBB184_12
	s_branch .LBB184_128
.LBB184_10:
	s_waitcnt lgkmcnt(0)
	s_ashr_i32 s3, s2, 31
	s_delay_alu instid0(SALU_CYCLE_1) | instskip(NEXT) | instid1(SALU_CYCLE_1)
	s_lshl_b64 s[6:7], s[2:3], 3
	s_add_u32 s6, s4, s6
	s_addc_u32 s7, s5, s7
	s_load_b64 s[6:7], s[6:7], 0x0
	s_waitcnt lgkmcnt(0)
	s_sub_u32 s34, s6, s20
	s_subb_u32 s35, s7, 0
	s_and_not1_b32 vcc_lo, exec_lo, s48
	s_mov_b64 s[40:41], 0
	s_cbranch_vccnz .LBB184_9
.LBB184_11:
	s_waitcnt lgkmcnt(0)
	s_ashr_i32 s3, s2, 31
	s_delay_alu instid0(SALU_CYCLE_1) | instskip(NEXT) | instid1(SALU_CYCLE_1)
	s_lshl_b64 s[6:7], s[2:3], 3
	s_add_u32 s4, s4, s6
	s_addc_u32 s5, s5, s7
	s_load_b64 s[4:5], s[4:5], 0x8
	s_waitcnt lgkmcnt(0)
	s_sub_u32 s40, s4, s20
	s_subb_u32 s41, s5, 0
	s_load_b128 s[24:27], s[0:1], 0x0
	s_waitcnt lgkmcnt(0)
	s_cmp_lt_i32 s25, 1
	s_cbranch_scc1 .LBB184_128
.LBB184_12:
	s_clause 0x3
	s_load_b256 s[4:11], s[0:1], 0x60
	s_load_b64 s[42:43], s[0:1], 0x90
	s_load_b128 s[28:31], s[0:1], 0x80
	s_load_b64 s[36:37], s[0:1], 0x50
	s_ashr_i32 s3, s2, 31
	s_load_b256 s[12:19], s[0:1], 0x30
	s_lshl_b64 s[2:3], s[2:3], 3
	v_lshrrev_b32_e32 v3, 3, v0
	v_dual_mov_b32 v2, 0 :: v_dual_and_b32 v43, 7, v0
	v_mov_b32_e32 v77, 1
	v_cmp_lt_i64_e64 s27, s[34:35], s[40:41]
	s_delay_alu instid0(VALU_DEP_4) | instskip(NEXT) | instid1(VALU_DEP_4)
	v_mul_lo_u32 v1, v3, s26
	v_dual_mov_b32 v8, v2 :: v_dual_lshlrev_b32 v15, 2, v43
	v_cmp_gt_i32_e32 vcc_lo, s26, v3
	v_lshlrev_b32_e32 v16, 2, v3
	v_or_b32_e32 v5, 8, v43
	v_or_b32_e32 v6, 16, v43
	;; [unrolled: 1-line block ×3, first 2 shown]
	s_waitcnt lgkmcnt(0)
	s_add_u32 s0, s10, s2
	s_addc_u32 s1, s11, s3
	v_lshlrev_b64 v[9:10], 2, v[1:2]
	s_load_b64 s[38:39], s[0:1], 0x0
	v_mul_lo_u32 v1, v43, s26
	v_add_co_u32 v47, s46, s30, v16
	s_delay_alu instid0(VALU_DEP_1) | instskip(NEXT) | instid1(VALU_DEP_4)
	v_add_co_ci_u32_e64 v48, null, s31, 0, s46
	v_add_co_u32 v45, s1, v9, v15
	s_delay_alu instid0(VALU_DEP_1)
	v_add_co_ci_u32_e64 v46, s1, 0, v10, s1
	s_mul_i32 s10, s26, s26
	s_mov_b32 s11, 0
	v_or_b32_e32 v20, 0x400, v0
	s_mov_b32 s44, s23
	s_mov_b32 s45, s11
	v_cmp_gt_u32_e64 s0, 2, v0
	v_lshlrev_b32_e32 v54, 2, v0
	s_mov_b32 s65, 2
	s_mov_b32 s52, s21
	v_mov_b32_e32 v12, v2
	s_waitcnt lgkmcnt(0)
	s_sub_u32 s38, s38, s22
	s_subb_u32 s39, s39, 0
	v_lshlrev_b32_e32 v44, 5, v3
	v_lshlrev_b64 v[3:4], 2, v[1:2]
	s_cmp_eq_u32 s24, 0
	v_mov_b32_e32 v14, v2
	s_delay_alu instid0(VALU_DEP_2) | instskip(NEXT) | instid1(VALU_DEP_1)
	v_add_co_u32 v17, s1, v16, v3
	v_add_co_ci_u32_e64 v18, s1, 0, v4, s1
	s_cselect_b32 s1, -1, 0
	s_cmp_lg_u32 s24, 0
	s_delay_alu instid0(VALU_DEP_2)
	v_cndmask_b32_e64 v79, v17, v45, s1
	s_cselect_b32 s24, -1, 0
	s_cmp_gt_i32 s26, 0
	v_cndmask_b32_e64 v78, v18, v46, s1
	s_cselect_b32 s53, -1, 0
	s_add_u32 s46, s4, s2
	v_add_co_u32 v49, s2, s30, v9
	s_delay_alu instid0(VALU_DEP_1)
	v_add_co_ci_u32_e64 v50, s2, s31, v10, s2
	s_addc_u32 s47, s5, s3
	v_cmp_gt_u32_e64 s2, s26, v43
	v_cmp_gt_u32_e64 s3, s26, v5
	s_and_b32 s54, s48, s27
	s_lshl_b32 s4, s26, 3
	s_mul_i32 s5, s35, s10
	s_and_b32 s55, vcc_lo, s2
	v_cmp_gt_u32_e64 s2, s26, v6
	s_and_b32 s56, vcc_lo, s3
	v_cmp_gt_u32_e64 s3, s26, v19
	s_mul_hi_u32 s27, s34, s10
	v_add_nc_u32_e32 v7, s4, v1
	s_and_b32 s57, vcc_lo, s2
	s_mul_i32 s30, s34, s10
	s_and_b32 s58, vcc_lo, s3
	s_add_u32 s59, s16, 8
	s_addc_u32 s60, s17, 0
	s_add_u32 s61, s28, -4
	s_addc_u32 s62, s29, -1
	s_add_i32 s31, s27, s5
	v_or_b32_e32 v5, v44, v5
	s_lshl_b64 s[48:49], s[30:31], 2
	v_or_b32_e32 v6, v44, v6
	s_lshl_b64 s[30:31], s[10:11], 2
	v_add_nc_u32_e32 v11, s4, v7
	v_add_co_u32 v55, vcc_lo, s36, v3
	s_add_u32 s5, s14, s48
	v_lshlrev_b64 v[7:8], 2, v[7:8]
	v_lshlrev_b32_e32 v51, 2, v5
	v_add_co_ci_u32_e32 v56, vcc_lo, s37, v4, vcc_lo
	s_addc_u32 s48, s15, s49
	s_mov_b32 s27, s11
	v_add_co_u32 v5, s14, s5, v16
	v_add_co_u32 v9, vcc_lo, s5, v9
	v_lshlrev_b32_e32 v52, 2, v6
	v_add_co_ci_u32_e64 v6, null, s48, 0, s14
	s_lshl_b64 s[14:15], s[26:27], 2
	v_add_co_u32 v57, s27, s36, v15
	v_add_co_ci_u32_e32 v10, vcc_lo, s48, v10, vcc_lo
	v_add_nc_u32_e32 v13, s4, v11
	v_add_co_ci_u32_e64 v58, null, s37, 0, s27
	v_add_co_u32 v59, vcc_lo, s36, v7
	v_lshlrev_b64 v[11:12], 2, v[11:12]
	v_add_co_ci_u32_e32 v60, vcc_lo, s37, v8, vcc_lo
	v_add_co_u32 v61, vcc_lo, v57, 32
	v_add_co_ci_u32_e32 v62, vcc_lo, 0, v58, vcc_lo
	s_delay_alu instid0(VALU_DEP_4) | instskip(SKIP_4) | instid1(VALU_DEP_4)
	v_add_co_u32 v63, vcc_lo, s36, v11
	v_lshlrev_b64 v[13:14], 2, v[13:14]
	v_add_co_ci_u32_e32 v64, vcc_lo, s37, v12, vcc_lo
	v_add_co_u32 v65, vcc_lo, v57, 64
	v_add_co_ci_u32_e32 v66, vcc_lo, 0, v58, vcc_lo
	v_add_co_u32 v67, vcc_lo, s36, v13
	;; [unrolled: 2-line block ×6, first 2 shown]
	v_dual_mov_b32 v15, s38 :: v_dual_mov_b32 v16, s39
	v_or_b32_e32 v1, v44, v43
	v_or_b32_e32 v19, v44, v19
	s_lshl_b64 s[36:37], s[44:45], 2
	v_cmp_gt_u32_e64 s2, 0x700, v20
	v_cmp_gt_u32_e64 s3, 0x200, v0
	v_lshlrev_b32_e32 v1, 2, v1
	v_lshlrev_b32_e32 v53, 2, v19
	v_cmp_gt_u32_e64 s4, 0x100, v0
	s_sub_u32 s27, s6, s36
	v_add_co_ci_u32_e32 v76, vcc_lo, 0, v14, vcc_lo
	s_subb_u32 s45, s7, s37
	s_sub_u32 s63, 1, s23
	s_subb_u32 s64, 0, 0
	s_branch .LBB184_15
.LBB184_13:                             ;   in Loop: Header=BB184_15 Depth=1
	s_or_b32 exec_lo, exec_lo, s6
.LBB184_14:                             ;   in Loop: Header=BB184_15 Depth=1
	s_min_i32 s11, s5, s25
	s_delay_alu instid0(VALU_DEP_1)
	v_dual_mov_b32 v15, v17 :: v_dual_mov_b32 v16, v18
	s_add_i32 s65, s11, 2
	s_cmp_lt_i32 s5, s25
	s_waitcnt lgkmcnt(0)
	s_waitcnt_vscnt null, 0x0
	s_barrier
	buffer_gl0_inv
	s_barrier
	buffer_gl0_inv
	s_cbranch_scc0 .LBB184_128
.LBB184_15:                             ; =>This Loop Header: Depth=1
                                        ;     Child Loop BB184_25 Depth 2
                                        ;       Child Loop BB184_30 Depth 3
                                        ;         Child Loop BB184_42 Depth 4
                                        ;         Child Loop BB184_47 Depth 4
	;; [unrolled: 1-line block ×8, first 2 shown]
                                        ;     Child Loop BB184_89 Depth 2
	s_and_saveexec_b32 s5, s0
	s_cbranch_execz .LBB184_17
; %bb.16:                               ;   in Loop: Header=BB184_15 Depth=1
	ds_store_b8 v0, v2 offset:8192
.LBB184_17:                             ;   in Loop: Header=BB184_15 Depth=1
	s_or_b32 exec_lo, exec_lo, s5
	ds_store_2addr_stride64_b32 v54, v2, v2 offset1:4
	ds_store_2addr_stride64_b32 v54, v2, v2 offset0:8 offset1:12
	ds_store_b32 v54, v2 offset:4096
	s_and_saveexec_b32 s5, s2
	s_delay_alu instid0(SALU_CYCLE_1)
	s_xor_b32 s5, exec_lo, s5
	s_cbranch_execz .LBB184_23
; %bb.18:                               ;   in Loop: Header=BB184_15 Depth=1
	ds_store_b32 v54, v2 offset:5120
	s_and_saveexec_b32 s6, s3
	s_delay_alu instid0(SALU_CYCLE_1)
	s_xor_b32 s6, exec_lo, s6
	s_cbranch_execz .LBB184_22
; %bb.19:                               ;   in Loop: Header=BB184_15 Depth=1
	;; [unrolled: 6-line block ×3, first 2 shown]
	ds_store_b32 v54, v2 offset:7168
.LBB184_21:                             ;   in Loop: Header=BB184_15 Depth=1
	s_or_b32 exec_lo, exec_lo, s7
.LBB184_22:                             ;   in Loop: Header=BB184_15 Depth=1
	s_delay_alu instid0(SALU_CYCLE_1)
	s_or_b32 exec_lo, exec_lo, s6
.LBB184_23:                             ;   in Loop: Header=BB184_15 Depth=1
	s_delay_alu instid0(SALU_CYCLE_1) | instskip(NEXT) | instid1(SALU_CYCLE_1)
	s_or_b32 exec_lo, exec_lo, s5
	s_and_not1_b32 vcc_lo, exec_lo, s54
	s_mov_b32 s5, s25
	s_waitcnt lgkmcnt(0)
	s_barrier
	buffer_gl0_inv
	s_cbranch_vccnz .LBB184_86
; %bb.24:                               ;   in Loop: Header=BB184_15 Depth=1
	v_dual_mov_b32 v18, v10 :: v_dual_mov_b32 v17, v9
	v_dual_mov_b32 v20, v6 :: v_dual_mov_b32 v19, v5
	s_cmp_lg_u32 s11, 0
	s_mov_b32 s67, s25
	s_cselect_b32 s66, -1, 0
	s_mov_b64 s[6:7], s[34:35]
.LBB184_25:                             ;   Parent Loop BB184_15 Depth=1
                                        ; =>  This Loop Header: Depth=2
                                        ;       Child Loop BB184_30 Depth 3
                                        ;         Child Loop BB184_42 Depth 4
                                        ;         Child Loop BB184_47 Depth 4
	;; [unrolled: 1-line block ×8, first 2 shown]
	s_delay_alu instid0(SALU_CYCLE_1) | instskip(NEXT) | instid1(SALU_CYCLE_1)
	s_lshl_b64 s[36:37], s[6:7], 2
	s_add_u32 s36, s12, s36
	s_addc_u32 s37, s13, s37
	s_and_b32 vcc_lo, exec_lo, s66
	s_load_b32 s5, s[36:37], 0x0
	s_waitcnt lgkmcnt(0)
	s_sub_i32 s38, s5, s20
	s_cbranch_vccz .LBB184_85
; %bb.26:                               ;   in Loop: Header=BB184_25 Depth=2
	s_lshl_b64 s[36:37], s[6:7], 3
	s_delay_alu instid0(SALU_CYCLE_1)
	s_add_u32 s36, s42, s36
	s_addc_u32 s37, s43, s37
	s_ashr_i32 s39, s38, 31
	global_load_b64 v[21:22], v2, s[36:37]
	s_waitcnt vmcnt(0)
	v_readfirstlane_b32 s36, v21
	v_readfirstlane_b32 s37, v22
	s_cbranch_execnz .LBB184_28
.LBB184_27:                             ;   in Loop: Header=BB184_25 Depth=2
	s_ashr_i32 s39, s38, 31
	s_delay_alu instid0(SALU_CYCLE_1) | instskip(NEXT) | instid1(SALU_CYCLE_1)
	s_lshl_b64 s[36:37], s[38:39], 3
	s_add_u32 s36, s16, s36
	s_addc_u32 s37, s17, s37
	s_load_b64 s[36:37], s[36:37], 0x0
	s_waitcnt lgkmcnt(0)
	s_sub_u32 s36, s36, s52
	s_subb_u32 s37, s37, 0
.LBB184_28:                             ;   in Loop: Header=BB184_25 Depth=2
	s_lshl_b64 s[38:39], s[38:39], 3
	s_delay_alu instid0(SALU_CYCLE_1)
	s_add_u32 s38, s59, s38
	s_addc_u32 s39, s60, s39
	s_load_b64 s[38:39], s[38:39], 0x0
	s_waitcnt lgkmcnt(0)
	s_sub_u32 s38, s38, s52
	s_subb_u32 s39, s39, 0
	s_delay_alu instid0(SALU_CYCLE_1) | instskip(NEXT) | instid1(VALU_DEP_1)
	v_cmp_ge_i64_e64 s5, s[36:37], s[38:39]
	s_and_b32 vcc_lo, exec_lo, s5
	s_cbranch_vccnz .LBB184_82
; %bb.29:                               ;   in Loop: Header=BB184_25 Depth=2
	s_mul_i32 s5, s30, s37
	s_mul_hi_u32 s48, s30, s36
	s_mul_i32 s49, s31, s36
	s_add_i32 s5, s48, s5
	s_mul_i32 s48, s30, s36
	s_add_i32 s5, s5, s49
	v_add_co_u32 v21, vcc_lo, v55, s48
	v_add_co_ci_u32_e32 v22, vcc_lo, s5, v56, vcc_lo
	v_add_co_u32 v23, vcc_lo, v57, s48
	v_add_co_ci_u32_e32 v24, vcc_lo, s5, v58, vcc_lo
	;; [unrolled: 2-line block ×8, first 2 shown]
	s_mov_b64 s[48:49], s[36:37]
.LBB184_30:                             ;   Parent Loop BB184_15 Depth=1
                                        ;     Parent Loop BB184_25 Depth=2
                                        ; =>    This Loop Header: Depth=3
                                        ;         Child Loop BB184_42 Depth 4
                                        ;         Child Loop BB184_47 Depth 4
	;; [unrolled: 1-line block ×8, first 2 shown]
	s_lshl_b64 s[50:51], s[36:37], 2
	s_mov_b32 s70, -1
	s_add_u32 s50, s18, s50
	s_addc_u32 s51, s19, s51
                                        ; implicit-def: $sgpr68
	s_load_b32 s5, s[50:51], 0x0
                                        ; implicit-def: $sgpr50_sgpr51
	s_waitcnt lgkmcnt(0)
	s_sub_i32 s69, s5, s21
	s_delay_alu instid0(SALU_CYCLE_1) | instskip(SKIP_3) | instid1(SALU_CYCLE_1)
	s_cmp_lt_i32 s69, s11
	s_cselect_b32 s5, -1, 0
	s_cmp_ge_i32 s69, s65
	s_cselect_b32 s71, -1, 0
	s_or_b32 s5, s5, s71
	s_delay_alu instid0(SALU_CYCLE_1)
	s_and_b32 vcc_lo, exec_lo, s5
                                        ; implicit-def: $sgpr5
	s_cbranch_vccz .LBB184_34
; %bb.31:                               ;   in Loop: Header=BB184_30 Depth=3
	s_mov_b32 s68, -1
	s_and_not1_b32 vcc_lo, exec_lo, s71
	s_mov_b64 s[50:51], s[48:49]
	s_mov_b32 s5, s67
	s_cbranch_vccnz .LBB184_33
; %bb.32:                               ;   in Loop: Header=BB184_30 Depth=3
	s_min_i32 s5, s69, s67
	s_mov_b32 s68, 0
	s_mov_b64 s[50:51], s[36:37]
.LBB184_33:                             ;   in Loop: Header=BB184_30 Depth=3
	s_mov_b32 s70, 0
.LBB184_34:                             ;   in Loop: Header=BB184_30 Depth=3
	s_delay_alu instid0(SALU_CYCLE_1)
	s_and_not1_b32 vcc_lo, exec_lo, s70
	s_cbranch_vccnz .LBB184_80
; %bb.35:                               ;   in Loop: Header=BB184_30 Depth=3
	s_sub_i32 s5, s69, s11
	s_delay_alu instid0(SALU_CYCLE_1)
	v_mov_b32_e32 v37, s5
	v_lshl_or_b32 v80, s5, 10, v44
	ds_store_b8 v37, v77 offset:8192
	s_and_saveexec_b32 s5, s55
	s_cbranch_execnz .LBB184_39
; %bb.36:                               ;   in Loop: Header=BB184_30 Depth=3
	s_or_b32 exec_lo, exec_lo, s5
	s_and_saveexec_b32 s5, s56
	s_cbranch_execnz .LBB184_49
.LBB184_37:                             ;   in Loop: Header=BB184_30 Depth=3
	s_or_b32 exec_lo, exec_lo, s5
	s_and_saveexec_b32 s5, s57
	s_cbranch_execnz .LBB184_59
.LBB184_38:                             ;   in Loop: Header=BB184_30 Depth=3
	s_or_b32 exec_lo, exec_lo, s5
	s_and_saveexec_b32 s50, s58
	s_cbranch_execnz .LBB184_69
	s_branch .LBB184_79
.LBB184_39:                             ;   in Loop: Header=BB184_30 Depth=3
	s_and_not1_b32 vcc_lo, exec_lo, s24
	s_cbranch_vccnz .LBB184_44
; %bb.40:                               ;   in Loop: Header=BB184_30 Depth=3
	v_mov_b32_e32 v81, 0
	s_and_not1_b32 vcc_lo, exec_lo, s53
	s_cbranch_vccnz .LBB184_43
; %bb.41:                               ;   in Loop: Header=BB184_30 Depth=3
	v_dual_mov_b32 v38, v20 :: v_dual_mov_b32 v37, v19
	v_dual_mov_b32 v40, v22 :: v_dual_mov_b32 v39, v21
	s_mov_b32 s50, s26
.LBB184_42:                             ;   Parent Loop BB184_15 Depth=1
                                        ;     Parent Loop BB184_25 Depth=2
                                        ;       Parent Loop BB184_30 Depth=3
                                        ; =>      This Inner Loop Header: Depth=4
	global_load_b32 v82, v[37:38], off
	global_load_b32 v83, v[39:40], off
	v_add_co_u32 v39, vcc_lo, v39, 4
	v_add_co_ci_u32_e32 v40, vcc_lo, 0, v40, vcc_lo
	v_add_co_u32 v37, vcc_lo, v37, s14
	v_add_co_ci_u32_e32 v38, vcc_lo, s15, v38, vcc_lo
	s_add_i32 s50, s50, -1
	s_delay_alu instid0(SALU_CYCLE_1)
	s_cmp_lg_u32 s50, 0
	s_waitcnt vmcnt(0)
	v_fmac_f32_e32 v81, v82, v83
	s_cbranch_scc1 .LBB184_42
.LBB184_43:                             ;   in Loop: Header=BB184_30 Depth=3
	s_cbranch_execz .LBB184_45
	s_branch .LBB184_48
.LBB184_44:                             ;   in Loop: Header=BB184_30 Depth=3
                                        ; implicit-def: $vgpr81
.LBB184_45:                             ;   in Loop: Header=BB184_30 Depth=3
	v_mov_b32_e32 v81, 0
	s_and_not1_b32 vcc_lo, exec_lo, s53
	s_cbranch_vccnz .LBB184_48
; %bb.46:                               ;   in Loop: Header=BB184_30 Depth=3
	v_dual_mov_b32 v38, v18 :: v_dual_mov_b32 v37, v17
	v_dual_mov_b32 v40, v24 :: v_dual_mov_b32 v39, v23
	s_mov_b32 s50, s26
.LBB184_47:                             ;   Parent Loop BB184_15 Depth=1
                                        ;     Parent Loop BB184_25 Depth=2
                                        ;       Parent Loop BB184_30 Depth=3
                                        ; =>      This Inner Loop Header: Depth=4
	global_load_b32 v82, v[37:38], off
	global_load_b32 v83, v[39:40], off
	v_add_co_u32 v39, vcc_lo, v39, s14
	v_add_co_ci_u32_e32 v40, vcc_lo, s15, v40, vcc_lo
	v_add_co_u32 v37, vcc_lo, v37, 4
	v_add_co_ci_u32_e32 v38, vcc_lo, 0, v38, vcc_lo
	s_add_i32 s50, s50, -1
	s_delay_alu instid0(SALU_CYCLE_1)
	s_cmp_eq_u32 s50, 0
	s_waitcnt vmcnt(0)
	v_fmac_f32_e32 v81, v82, v83
	s_cbranch_scc0 .LBB184_47
.LBB184_48:                             ;   in Loop: Header=BB184_30 Depth=3
	v_or_b32_e32 v37, v80, v43
	s_delay_alu instid0(VALU_DEP_1)
	v_lshlrev_b32_e32 v37, 2, v37
	ds_load_b32 v38, v37
	s_waitcnt lgkmcnt(0)
	v_fmac_f32_e32 v38, v41, v81
	ds_store_b32 v37, v38
	s_or_b32 exec_lo, exec_lo, s5
	s_and_saveexec_b32 s5, s56
	s_cbranch_execz .LBB184_37
.LBB184_49:                             ;   in Loop: Header=BB184_30 Depth=3
	s_and_not1_b32 vcc_lo, exec_lo, s24
	s_cbranch_vccnz .LBB184_54
; %bb.50:                               ;   in Loop: Header=BB184_30 Depth=3
	v_mov_b32_e32 v81, 0
	s_and_not1_b32 vcc_lo, exec_lo, s53
	s_cbranch_vccnz .LBB184_53
; %bb.51:                               ;   in Loop: Header=BB184_30 Depth=3
	v_dual_mov_b32 v38, v20 :: v_dual_mov_b32 v37, v19
	v_dual_mov_b32 v40, v26 :: v_dual_mov_b32 v39, v25
	s_mov_b32 s50, s26
.LBB184_52:                             ;   Parent Loop BB184_15 Depth=1
                                        ;     Parent Loop BB184_25 Depth=2
                                        ;       Parent Loop BB184_30 Depth=3
                                        ; =>      This Inner Loop Header: Depth=4
	global_load_b32 v82, v[37:38], off
	global_load_b32 v83, v[39:40], off
	v_add_co_u32 v39, vcc_lo, v39, 4
	v_add_co_ci_u32_e32 v40, vcc_lo, 0, v40, vcc_lo
	v_add_co_u32 v37, vcc_lo, v37, s14
	v_add_co_ci_u32_e32 v38, vcc_lo, s15, v38, vcc_lo
	s_add_i32 s50, s50, -1
	s_delay_alu instid0(SALU_CYCLE_1)
	s_cmp_eq_u32 s50, 0
	s_waitcnt vmcnt(0)
	v_fmac_f32_e32 v81, v82, v83
	s_cbranch_scc0 .LBB184_52
.LBB184_53:                             ;   in Loop: Header=BB184_30 Depth=3
	s_cbranch_execz .LBB184_55
	s_branch .LBB184_58
.LBB184_54:                             ;   in Loop: Header=BB184_30 Depth=3
                                        ; implicit-def: $vgpr81
.LBB184_55:                             ;   in Loop: Header=BB184_30 Depth=3
	v_mov_b32_e32 v81, 0
	s_and_not1_b32 vcc_lo, exec_lo, s53
	s_cbranch_vccnz .LBB184_58
; %bb.56:                               ;   in Loop: Header=BB184_30 Depth=3
	v_dual_mov_b32 v38, v18 :: v_dual_mov_b32 v37, v17
	v_dual_mov_b32 v40, v28 :: v_dual_mov_b32 v39, v27
	s_mov_b32 s50, s26
.LBB184_57:                             ;   Parent Loop BB184_15 Depth=1
                                        ;     Parent Loop BB184_25 Depth=2
                                        ;       Parent Loop BB184_30 Depth=3
                                        ; =>      This Inner Loop Header: Depth=4
	global_load_b32 v82, v[37:38], off
	global_load_b32 v83, v[39:40], off
	v_add_co_u32 v39, vcc_lo, v39, s14
	v_add_co_ci_u32_e32 v40, vcc_lo, s15, v40, vcc_lo
	v_add_co_u32 v37, vcc_lo, v37, 4
	v_add_co_ci_u32_e32 v38, vcc_lo, 0, v38, vcc_lo
	s_add_i32 s50, s50, -1
	s_delay_alu instid0(SALU_CYCLE_1)
	s_cmp_eq_u32 s50, 0
	s_waitcnt vmcnt(0)
	v_fmac_f32_e32 v81, v82, v83
	s_cbranch_scc0 .LBB184_57
.LBB184_58:                             ;   in Loop: Header=BB184_30 Depth=3
	v_add_lshl_u32 v37, v80, v43, 2
	ds_load_b32 v38, v37 offset:32
	s_waitcnt lgkmcnt(0)
	v_fmac_f32_e32 v38, v41, v81
	ds_store_b32 v37, v38 offset:32
	s_or_b32 exec_lo, exec_lo, s5
	s_and_saveexec_b32 s5, s57
	s_cbranch_execz .LBB184_38
.LBB184_59:                             ;   in Loop: Header=BB184_30 Depth=3
	s_and_not1_b32 vcc_lo, exec_lo, s24
	s_cbranch_vccnz .LBB184_64
; %bb.60:                               ;   in Loop: Header=BB184_30 Depth=3
	v_mov_b32_e32 v81, 0
	s_and_not1_b32 vcc_lo, exec_lo, s53
	s_cbranch_vccnz .LBB184_63
; %bb.61:                               ;   in Loop: Header=BB184_30 Depth=3
	v_dual_mov_b32 v38, v20 :: v_dual_mov_b32 v37, v19
	v_dual_mov_b32 v40, v30 :: v_dual_mov_b32 v39, v29
	s_mov_b32 s50, s26
.LBB184_62:                             ;   Parent Loop BB184_15 Depth=1
                                        ;     Parent Loop BB184_25 Depth=2
                                        ;       Parent Loop BB184_30 Depth=3
                                        ; =>      This Inner Loop Header: Depth=4
	global_load_b32 v82, v[37:38], off
	global_load_b32 v83, v[39:40], off
	v_add_co_u32 v39, vcc_lo, v39, 4
	v_add_co_ci_u32_e32 v40, vcc_lo, 0, v40, vcc_lo
	v_add_co_u32 v37, vcc_lo, v37, s14
	v_add_co_ci_u32_e32 v38, vcc_lo, s15, v38, vcc_lo
	s_add_i32 s50, s50, -1
	s_delay_alu instid0(SALU_CYCLE_1)
	s_cmp_eq_u32 s50, 0
	s_waitcnt vmcnt(0)
	v_fmac_f32_e32 v81, v82, v83
	s_cbranch_scc0 .LBB184_62
.LBB184_63:                             ;   in Loop: Header=BB184_30 Depth=3
	s_cbranch_execz .LBB184_65
	s_branch .LBB184_68
.LBB184_64:                             ;   in Loop: Header=BB184_30 Depth=3
                                        ; implicit-def: $vgpr81
.LBB184_65:                             ;   in Loop: Header=BB184_30 Depth=3
	v_mov_b32_e32 v81, 0
	s_and_not1_b32 vcc_lo, exec_lo, s53
	s_cbranch_vccnz .LBB184_68
; %bb.66:                               ;   in Loop: Header=BB184_30 Depth=3
	v_dual_mov_b32 v38, v18 :: v_dual_mov_b32 v37, v17
	v_dual_mov_b32 v40, v32 :: v_dual_mov_b32 v39, v31
	s_mov_b32 s50, s26
.LBB184_67:                             ;   Parent Loop BB184_15 Depth=1
                                        ;     Parent Loop BB184_25 Depth=2
                                        ;       Parent Loop BB184_30 Depth=3
                                        ; =>      This Inner Loop Header: Depth=4
	global_load_b32 v82, v[37:38], off
	global_load_b32 v83, v[39:40], off
	v_add_co_u32 v39, vcc_lo, v39, s14
	v_add_co_ci_u32_e32 v40, vcc_lo, s15, v40, vcc_lo
	v_add_co_u32 v37, vcc_lo, v37, 4
	v_add_co_ci_u32_e32 v38, vcc_lo, 0, v38, vcc_lo
	s_add_i32 s50, s50, -1
	s_delay_alu instid0(SALU_CYCLE_1)
	s_cmp_eq_u32 s50, 0
	s_waitcnt vmcnt(0)
	v_fmac_f32_e32 v81, v82, v83
	s_cbranch_scc0 .LBB184_67
.LBB184_68:                             ;   in Loop: Header=BB184_30 Depth=3
	v_add_lshl_u32 v37, v80, v43, 2
	ds_load_b32 v38, v37 offset:64
	s_waitcnt lgkmcnt(0)
	v_fmac_f32_e32 v38, v41, v81
	ds_store_b32 v37, v38 offset:64
	s_or_b32 exec_lo, exec_lo, s5
	s_and_saveexec_b32 s50, s58
	s_cbranch_execz .LBB184_79
.LBB184_69:                             ;   in Loop: Header=BB184_30 Depth=3
	v_cndmask_b32_e64 v37, 0, 1, s53
	s_and_not1_b32 vcc_lo, exec_lo, s24
	s_delay_alu instid0(VALU_DEP_1)
	v_cmp_ne_u32_e64 s5, 1, v37
	s_cbranch_vccnz .LBB184_74
; %bb.70:                               ;   in Loop: Header=BB184_30 Depth=3
	v_mov_b32_e32 v81, 0
	s_delay_alu instid0(VALU_DEP_2)
	s_and_b32 vcc_lo, exec_lo, s5
	s_cbranch_vccnz .LBB184_73
; %bb.71:                               ;   in Loop: Header=BB184_30 Depth=3
	v_dual_mov_b32 v38, v20 :: v_dual_mov_b32 v37, v19
	v_dual_mov_b32 v40, v34 :: v_dual_mov_b32 v39, v33
	s_mov_b32 s5, s26
.LBB184_72:                             ;   Parent Loop BB184_15 Depth=1
                                        ;     Parent Loop BB184_25 Depth=2
                                        ;       Parent Loop BB184_30 Depth=3
                                        ; =>      This Inner Loop Header: Depth=4
	global_load_b32 v82, v[37:38], off
	global_load_b32 v83, v[39:40], off
	v_add_co_u32 v39, vcc_lo, v39, 4
	v_add_co_ci_u32_e32 v40, vcc_lo, 0, v40, vcc_lo
	v_add_co_u32 v37, vcc_lo, v37, s14
	v_add_co_ci_u32_e32 v38, vcc_lo, s15, v38, vcc_lo
	s_add_i32 s5, s5, -1
	s_delay_alu instid0(SALU_CYCLE_1)
	s_cmp_eq_u32 s5, 0
	s_waitcnt vmcnt(0)
	v_fmac_f32_e32 v81, v82, v83
	s_cbranch_scc0 .LBB184_72
.LBB184_73:                             ;   in Loop: Header=BB184_30 Depth=3
	s_cbranch_execz .LBB184_75
	s_branch .LBB184_78
.LBB184_74:                             ;   in Loop: Header=BB184_30 Depth=3
                                        ; implicit-def: $vgpr81
.LBB184_75:                             ;   in Loop: Header=BB184_30 Depth=3
	v_mov_b32_e32 v81, 0
	s_and_not1_b32 vcc_lo, exec_lo, s53
	s_cbranch_vccnz .LBB184_78
; %bb.76:                               ;   in Loop: Header=BB184_30 Depth=3
	v_dual_mov_b32 v38, v18 :: v_dual_mov_b32 v37, v17
	v_dual_mov_b32 v40, v36 :: v_dual_mov_b32 v39, v35
	s_mov_b32 s5, s26
.LBB184_77:                             ;   Parent Loop BB184_15 Depth=1
                                        ;     Parent Loop BB184_25 Depth=2
                                        ;       Parent Loop BB184_30 Depth=3
                                        ; =>      This Inner Loop Header: Depth=4
	global_load_b32 v82, v[37:38], off
	global_load_b32 v83, v[39:40], off
	v_add_co_u32 v39, vcc_lo, v39, s14
	v_add_co_ci_u32_e32 v40, vcc_lo, s15, v40, vcc_lo
	v_add_co_u32 v37, vcc_lo, v37, 4
	v_add_co_ci_u32_e32 v38, vcc_lo, 0, v38, vcc_lo
	s_add_i32 s5, s5, -1
	s_delay_alu instid0(SALU_CYCLE_1)
	s_cmp_eq_u32 s5, 0
	s_waitcnt vmcnt(0)
	v_fmac_f32_e32 v81, v82, v83
	s_cbranch_scc0 .LBB184_77
.LBB184_78:                             ;   in Loop: Header=BB184_30 Depth=3
	v_add_lshl_u32 v37, v80, v43, 2
	ds_load_b32 v38, v37 offset:96
	s_waitcnt lgkmcnt(0)
	v_fmac_f32_e32 v38, v41, v81
	ds_store_b32 v37, v38 offset:96
.LBB184_79:                             ;   in Loop: Header=BB184_30 Depth=3
	s_or_b32 exec_lo, exec_lo, s50
	s_mov_b32 s68, -1
	s_mov_b64 s[50:51], s[48:49]
	s_mov_b32 s5, s67
	s_waitcnt lgkmcnt(0)
	s_waitcnt_vscnt null, 0x0
	s_barrier
	buffer_gl0_inv
.LBB184_80:                             ;   in Loop: Header=BB184_30 Depth=3
	v_add_co_u32 v21, vcc_lo, v21, s30
	v_add_co_ci_u32_e32 v22, vcc_lo, s31, v22, vcc_lo
	v_add_co_u32 v23, vcc_lo, v23, s30
	v_add_co_ci_u32_e32 v24, vcc_lo, s31, v24, vcc_lo
	;; [unrolled: 2-line block ×5, first 2 shown]
	s_add_u32 s36, s36, 1
	v_add_co_u32 v31, vcc_lo, v31, s30
	s_addc_u32 s37, s37, 0
	v_add_co_ci_u32_e32 v32, vcc_lo, s31, v32, vcc_lo
	v_cmp_lt_i64_e64 s48, s[36:37], s[38:39]
	v_add_co_u32 v33, vcc_lo, v33, s30
	v_add_co_ci_u32_e32 v34, vcc_lo, s31, v34, vcc_lo
	v_add_co_u32 v35, vcc_lo, v35, s30
	v_add_co_ci_u32_e32 v36, vcc_lo, s31, v36, vcc_lo
	s_and_b32 s48, s68, s48
	s_delay_alu instid0(SALU_CYCLE_1)
	s_and_b32 vcc_lo, exec_lo, s48
	s_cbranch_vccz .LBB184_83
; %bb.81:                               ;   in Loop: Header=BB184_30 Depth=3
	s_mov_b64 s[48:49], s[50:51]
	s_mov_b32 s67, s5
	s_branch .LBB184_30
.LBB184_82:                             ;   in Loop: Header=BB184_25 Depth=2
	s_mov_b64 s[50:51], s[36:37]
	s_mov_b32 s5, s67
.LBB184_83:                             ;   in Loop: Header=BB184_25 Depth=2
	s_lshl_b64 s[36:37], s[6:7], 3
	v_add_co_u32 v19, vcc_lo, v19, s30
	s_add_u32 s36, s42, s36
	s_addc_u32 s37, s43, s37
	s_add_u32 s6, s6, 1
	s_addc_u32 s7, s7, 0
	v_add_co_ci_u32_e32 v20, vcc_lo, s31, v20, vcc_lo
	v_cmp_lt_i64_e64 s38, s[6:7], s[40:41]
	v_add_co_u32 v17, vcc_lo, v17, s30
	v_dual_mov_b32 v21, s50 :: v_dual_mov_b32 v22, s51
	v_add_co_ci_u32_e32 v18, vcc_lo, s31, v18, vcc_lo
	s_delay_alu instid0(VALU_DEP_4)
	s_and_b32 vcc_lo, exec_lo, s38
	global_store_b64 v2, v[21:22], s[36:37]
	s_cbranch_vccz .LBB184_86
; %bb.84:                               ;   in Loop: Header=BB184_25 Depth=2
	s_mov_b32 s67, s5
	s_branch .LBB184_25
.LBB184_85:                             ;   in Loop: Header=BB184_25 Depth=2
                                        ; implicit-def: $sgpr36_sgpr37
	s_branch .LBB184_27
.LBB184_86:                             ;   in Loop: Header=BB184_15 Depth=1
	s_and_not1_b32 vcc_lo, exec_lo, s33
	s_cbranch_vccnz .LBB184_104
; %bb.87:                               ;   in Loop: Header=BB184_15 Depth=1
	s_load_b128 s[36:39], s[46:47], 0x0
	s_waitcnt lgkmcnt(0)
	v_cmp_ge_i64_e64 s6, s[36:37], s[38:39]
	s_delay_alu instid0(VALU_DEP_1)
	s_and_b32 vcc_lo, exec_lo, s6
	s_cbranch_vccnz .LBB184_104
; %bb.88:                               ;   in Loop: Header=BB184_15 Depth=1
	s_sub_u32 s6, s38, s44
	s_subb_u32 s7, s39, 0
	s_sub_u32 s48, s36, s44
	s_subb_u32 s49, s37, 0
	s_lshl_b64 s[38:39], s[36:37], 2
	s_mul_i32 s49, s30, s49
	s_mul_hi_u32 s50, s30, s48
	s_add_u32 s38, s27, s38
	s_addc_u32 s39, s45, s39
	s_add_i32 s49, s50, s49
	s_mul_i32 s50, s31, s48
	s_mul_i32 s48, s30, s48
	s_add_i32 s49, s49, s50
	s_add_u32 s48, s8, s48
	s_addc_u32 s49, s9, s49
	s_add_u32 s36, s63, s36
	s_addc_u32 s37, s64, s37
.LBB184_89:                             ;   Parent Loop BB184_15 Depth=1
                                        ; =>  This Inner Loop Header: Depth=2
	s_load_b32 s50, s[38:39], 0x0
	s_waitcnt lgkmcnt(0)
	s_sub_i32 s66, s50, s23
	s_delay_alu instid0(SALU_CYCLE_1)
	s_cmp_lt_i32 s66, s11
	s_cselect_b32 s50, -1, 0
	s_cmp_lt_i32 s66, s65
	s_cselect_b32 s51, -1, 0
	s_cmp_ge_i32 s66, s65
	s_cselect_b32 s67, -1, 0
	s_delay_alu instid0(SALU_CYCLE_1)
	s_or_b32 s50, s50, s67
	s_mov_b32 s67, -1
	s_and_b32 vcc_lo, exec_lo, s50
                                        ; implicit-def: $sgpr50
	s_cbranch_vccz .LBB184_91
; %bb.90:                               ;   in Loop: Header=BB184_89 Depth=2
	s_min_i32 s50, s66, s5
	s_and_b32 s67, s51, exec_lo
	s_cselect_b32 s50, s5, s50
	s_mov_b32 s67, 0
.LBB184_91:                             ;   in Loop: Header=BB184_89 Depth=2
	s_delay_alu instid0(SALU_CYCLE_1)
	s_and_not1_b32 vcc_lo, exec_lo, s67
	s_cbranch_vccnz .LBB184_98
; %bb.92:                               ;   in Loop: Header=BB184_89 Depth=2
	s_sub_i32 s50, s66, s11
	s_delay_alu instid0(SALU_CYCLE_1)
	v_mov_b32_e32 v18, s50
	v_lshl_or_b32 v17, s50, 10, v44
	ds_store_b8 v18, v77 offset:8192
	s_and_saveexec_b32 s50, s55
	s_cbranch_execnz .LBB184_100
; %bb.93:                               ;   in Loop: Header=BB184_89 Depth=2
	s_or_b32 exec_lo, exec_lo, s50
	v_add_lshl_u32 v17, v17, v43, 2
	s_and_saveexec_b32 s50, s56
	s_cbranch_execnz .LBB184_101
.LBB184_94:                             ;   in Loop: Header=BB184_89 Depth=2
	s_or_b32 exec_lo, exec_lo, s50
	s_and_saveexec_b32 s50, s57
	s_cbranch_execnz .LBB184_102
.LBB184_95:                             ;   in Loop: Header=BB184_89 Depth=2
	s_or_b32 exec_lo, exec_lo, s50
	s_and_saveexec_b32 s50, s58
	s_cbranch_execz .LBB184_97
.LBB184_96:                             ;   in Loop: Header=BB184_89 Depth=2
	v_add_co_u32 v18, vcc_lo, s48, v45
	v_add_co_ci_u32_e32 v19, vcc_lo, s49, v46, vcc_lo
	s_delay_alu instid0(VALU_DEP_2) | instskip(NEXT) | instid1(VALU_DEP_2)
	v_add_co_u32 v18, vcc_lo, 0x60, v18
	v_add_co_ci_u32_e32 v19, vcc_lo, 0, v19, vcc_lo
	v_add_co_u32 v20, vcc_lo, s48, v75
	v_add_co_ci_u32_e32 v21, vcc_lo, s49, v76, vcc_lo
	s_delay_alu instid0(VALU_DEP_2) | instskip(NEXT) | instid1(VALU_DEP_2)
	v_cndmask_b32_e64 v18, v20, v18, s1
	v_cndmask_b32_e64 v19, v21, v19, s1
	global_load_b32 v18, v[18:19], off
	ds_load_b32 v19, v17 offset:96
	s_waitcnt vmcnt(0) lgkmcnt(0)
	v_fmac_f32_e32 v19, v42, v18
	ds_store_b32 v17, v19 offset:96
.LBB184_97:                             ;   in Loop: Header=BB184_89 Depth=2
	s_or_b32 exec_lo, exec_lo, s50
	s_mov_b32 s51, -1
	s_mov_b32 s50, s5
	s_waitcnt lgkmcnt(0)
	s_waitcnt_vscnt null, 0x0
	s_barrier
	buffer_gl0_inv
.LBB184_98:                             ;   in Loop: Header=BB184_89 Depth=2
	v_cmp_lt_i64_e64 s5, s[36:37], s[6:7]
	s_delay_alu instid0(VALU_DEP_1)
	s_and_b32 s5, s51, s5
	s_add_u32 s38, s38, 4
	s_addc_u32 s39, s39, 0
	s_add_u32 s48, s48, s30
	s_addc_u32 s49, s49, s31
	;; [unrolled: 2-line block ×3, first 2 shown]
	s_and_b32 vcc_lo, exec_lo, s5
	s_cbranch_vccz .LBB184_103
; %bb.99:                               ;   in Loop: Header=BB184_89 Depth=2
	s_mov_b32 s5, s50
	s_branch .LBB184_89
.LBB184_100:                            ;   in Loop: Header=BB184_89 Depth=2
	v_add_co_u32 v18, vcc_lo, s48, v79
	v_add_co_ci_u32_e32 v19, vcc_lo, s49, v78, vcc_lo
	global_load_b32 v18, v[18:19], off
	v_or_b32_e32 v19, v17, v43
	s_delay_alu instid0(VALU_DEP_1)
	v_lshlrev_b32_e32 v19, 2, v19
	ds_load_b32 v20, v19
	s_waitcnt vmcnt(0) lgkmcnt(0)
	v_fmac_f32_e32 v20, v42, v18
	ds_store_b32 v19, v20
	s_or_b32 exec_lo, exec_lo, s50
	v_add_lshl_u32 v17, v17, v43, 2
	s_and_saveexec_b32 s50, s56
	s_cbranch_execz .LBB184_94
.LBB184_101:                            ;   in Loop: Header=BB184_89 Depth=2
	v_add_co_u32 v18, vcc_lo, s48, v45
	v_add_co_ci_u32_e32 v19, vcc_lo, s49, v46, vcc_lo
	s_delay_alu instid0(VALU_DEP_2) | instskip(NEXT) | instid1(VALU_DEP_2)
	v_add_co_u32 v18, vcc_lo, v18, 32
	v_add_co_ci_u32_e32 v19, vcc_lo, 0, v19, vcc_lo
	v_add_co_u32 v20, vcc_lo, s48, v71
	v_add_co_ci_u32_e32 v21, vcc_lo, s49, v72, vcc_lo
	s_delay_alu instid0(VALU_DEP_2) | instskip(NEXT) | instid1(VALU_DEP_2)
	v_cndmask_b32_e64 v18, v20, v18, s1
	v_cndmask_b32_e64 v19, v21, v19, s1
	global_load_b32 v18, v[18:19], off
	ds_load_b32 v19, v17 offset:32
	s_waitcnt vmcnt(0) lgkmcnt(0)
	v_fmac_f32_e32 v19, v42, v18
	ds_store_b32 v17, v19 offset:32
	s_or_b32 exec_lo, exec_lo, s50
	s_and_saveexec_b32 s50, s57
	s_cbranch_execz .LBB184_95
.LBB184_102:                            ;   in Loop: Header=BB184_89 Depth=2
	v_add_co_u32 v18, vcc_lo, s48, v45
	v_add_co_ci_u32_e32 v19, vcc_lo, s49, v46, vcc_lo
	s_delay_alu instid0(VALU_DEP_2) | instskip(NEXT) | instid1(VALU_DEP_2)
	v_add_co_u32 v18, vcc_lo, v18, 64
	v_add_co_ci_u32_e32 v19, vcc_lo, 0, v19, vcc_lo
	v_add_co_u32 v20, vcc_lo, s48, v73
	v_add_co_ci_u32_e32 v21, vcc_lo, s49, v74, vcc_lo
	s_delay_alu instid0(VALU_DEP_2) | instskip(NEXT) | instid1(VALU_DEP_2)
	v_cndmask_b32_e64 v18, v20, v18, s1
	v_cndmask_b32_e64 v19, v21, v19, s1
	global_load_b32 v18, v[18:19], off
	ds_load_b32 v19, v17 offset:64
	s_waitcnt vmcnt(0) lgkmcnt(0)
	v_fmac_f32_e32 v19, v42, v18
	ds_store_b32 v17, v19 offset:64
	s_or_b32 exec_lo, exec_lo, s50
	s_and_saveexec_b32 s50, s58
	s_cbranch_execnz .LBB184_96
	s_branch .LBB184_97
.LBB184_103:                            ;   in Loop: Header=BB184_15 Depth=1
	s_mov_b32 s5, s50
.LBB184_104:                            ;   in Loop: Header=BB184_15 Depth=1
	s_waitcnt_vscnt null, 0x0
	s_barrier
	buffer_gl0_inv
	ds_load_u8 v17, v2 offset:8192
	s_add_i32 s6, s11, s22
	s_mov_b32 s7, 0
	s_waitcnt lgkmcnt(0)
	v_cmp_eq_u32_e32 vcc_lo, 0, v17
	s_cbranch_vccnz .LBB184_111
; %bb.105:                              ;   in Loop: Header=BB184_15 Depth=1
	v_mad_u64_u32 v[17:18], null, v15, s10, 0
	v_mov_b32_e32 v25, s6
	s_delay_alu instid0(VALU_DEP_2) | instskip(NEXT) | instid1(VALU_DEP_1)
	v_mad_u64_u32 v[19:20], null, v16, s10, v[18:19]
	v_mov_b32_e32 v18, v19
	v_lshlrev_b64 v[19:20], 2, v[15:16]
	s_delay_alu instid0(VALU_DEP_2) | instskip(NEXT) | instid1(VALU_DEP_2)
	v_lshlrev_b64 v[21:22], 2, v[17:18]
	v_add_co_u32 v23, vcc_lo, s28, v19
	s_delay_alu instid0(VALU_DEP_3) | instskip(NEXT) | instid1(VALU_DEP_3)
	v_add_co_ci_u32_e32 v24, vcc_lo, s29, v20, vcc_lo
	v_add_co_u32 v17, vcc_lo, v47, v21
	s_delay_alu instid0(VALU_DEP_4)
	v_add_co_ci_u32_e32 v18, vcc_lo, v48, v22, vcc_lo
	v_add_co_u32 v19, vcc_lo, v49, v21
	v_add_co_ci_u32_e32 v20, vcc_lo, v50, v22, vcc_lo
	global_store_b32 v[23:24], v25, off
	s_and_saveexec_b32 s7, s55
	s_cbranch_execnz .LBB184_118
; %bb.106:                              ;   in Loop: Header=BB184_15 Depth=1
	s_or_b32 exec_lo, exec_lo, s7
	s_and_saveexec_b32 s7, s56
	s_cbranch_execnz .LBB184_119
.LBB184_107:                            ;   in Loop: Header=BB184_15 Depth=1
	s_or_b32 exec_lo, exec_lo, s7
	s_and_saveexec_b32 s7, s57
	s_cbranch_execnz .LBB184_120
.LBB184_108:                            ;   in Loop: Header=BB184_15 Depth=1
	s_or_b32 exec_lo, exec_lo, s7
	s_and_saveexec_b32 s7, s58
	s_cbranch_execz .LBB184_110
.LBB184_109:                            ;   in Loop: Header=BB184_15 Depth=1
	v_lshlrev_b32_e32 v21, 2, v43
	ds_load_b32 v22, v1 offset:96
	v_add_co_u32 v19, vcc_lo, v19, v21
	v_add_co_ci_u32_e32 v20, vcc_lo, 0, v20, vcc_lo
	v_add_co_u32 v17, vcc_lo, v17, v13
	v_add_co_ci_u32_e32 v18, vcc_lo, v18, v14, vcc_lo
	s_delay_alu instid0(VALU_DEP_4) | instskip(NEXT) | instid1(VALU_DEP_4)
	v_add_co_u32 v19, vcc_lo, 0x60, v19
	v_add_co_ci_u32_e32 v20, vcc_lo, 0, v20, vcc_lo
	s_delay_alu instid0(VALU_DEP_2) | instskip(NEXT) | instid1(VALU_DEP_2)
	v_cndmask_b32_e64 v17, v17, v19, s1
	v_cndmask_b32_e64 v18, v18, v20, s1
	s_waitcnt lgkmcnt(0)
	global_store_b32 v[17:18], v22, off
.LBB184_110:                            ;   in Loop: Header=BB184_15 Depth=1
	s_or_b32 exec_lo, exec_lo, s7
	s_mov_b32 s7, 1
.LBB184_111:                            ;   in Loop: Header=BB184_15 Depth=1
	ds_load_u8 v17, v2 offset:8193
	s_waitcnt lgkmcnt(0)
	v_and_b32_e32 v17, 1, v17
	s_delay_alu instid0(VALU_DEP_1)
	v_cmp_eq_u32_e32 vcc_lo, 1, v17
	s_cbranch_vccnz .LBB184_113
; %bb.112:                              ;   in Loop: Header=BB184_15 Depth=1
	v_add_co_u32 v17, vcc_lo, s7, v15
	v_add_co_ci_u32_e32 v18, vcc_lo, 0, v16, vcc_lo
	s_cbranch_execnz .LBB184_14
	s_branch .LBB184_114
.LBB184_113:                            ;   in Loop: Header=BB184_15 Depth=1
                                        ; implicit-def: $vgpr17_vgpr18
.LBB184_114:                            ;   in Loop: Header=BB184_15 Depth=1
	s_add_i32 s7, s7, 1
	s_add_i32 s6, s6, 1
	v_add_co_u32 v17, vcc_lo, v15, s7
	v_add_co_ci_u32_e32 v18, vcc_lo, 0, v16, vcc_lo
	v_mov_b32_e32 v23, s6
	s_delay_alu instid0(VALU_DEP_3) | instskip(NEXT) | instid1(VALU_DEP_3)
	v_add_co_u32 v19, vcc_lo, v17, -1
	v_add_co_ci_u32_e32 v21, vcc_lo, -1, v18, vcc_lo
	s_delay_alu instid0(VALU_DEP_2) | instskip(NEXT) | instid1(VALU_DEP_1)
	v_mad_u64_u32 v[15:16], null, v19, s10, 0
	v_mad_u64_u32 v[19:20], null, v21, s10, v[16:17]
	s_delay_alu instid0(VALU_DEP_1) | instskip(SKIP_1) | instid1(VALU_DEP_2)
	v_mov_b32_e32 v16, v19
	v_lshlrev_b64 v[19:20], 2, v[17:18]
	v_lshlrev_b64 v[15:16], 2, v[15:16]
	s_delay_alu instid0(VALU_DEP_2) | instskip(NEXT) | instid1(VALU_DEP_3)
	v_add_co_u32 v21, vcc_lo, s61, v19
	v_add_co_ci_u32_e32 v22, vcc_lo, s62, v20, vcc_lo
	s_delay_alu instid0(VALU_DEP_3) | instskip(NEXT) | instid1(VALU_DEP_4)
	v_add_co_u32 v19, vcc_lo, v47, v15
	v_add_co_ci_u32_e32 v20, vcc_lo, v48, v16, vcc_lo
	v_add_co_u32 v15, vcc_lo, v49, v15
	v_add_co_ci_u32_e32 v16, vcc_lo, v50, v16, vcc_lo
	global_store_b32 v[21:22], v23, off
	s_and_saveexec_b32 s6, s55
	s_cbranch_execnz .LBB184_121
; %bb.115:                              ;   in Loop: Header=BB184_15 Depth=1
	s_or_b32 exec_lo, exec_lo, s6
	s_and_saveexec_b32 s6, s56
	s_cbranch_execnz .LBB184_122
.LBB184_116:                            ;   in Loop: Header=BB184_15 Depth=1
	s_or_b32 exec_lo, exec_lo, s6
	s_and_saveexec_b32 s6, s57
	s_cbranch_execnz .LBB184_123
.LBB184_117:                            ;   in Loop: Header=BB184_15 Depth=1
	s_or_b32 exec_lo, exec_lo, s6
	s_and_saveexec_b32 s6, s58
	s_cbranch_execz .LBB184_13
	s_branch .LBB184_124
.LBB184_118:                            ;   in Loop: Header=BB184_15 Depth=1
	ds_load_b32 v23, v1
	v_lshlrev_b32_e32 v21, 2, v43
	v_add_co_u32 v24, vcc_lo, v17, v3
	v_add_co_ci_u32_e32 v22, vcc_lo, v18, v4, vcc_lo
	s_delay_alu instid0(VALU_DEP_3) | instskip(SKIP_1) | instid1(VALU_DEP_2)
	v_add_co_u32 v21, vcc_lo, v19, v21
	v_add_co_ci_u32_e32 v25, vcc_lo, 0, v20, vcc_lo
	v_cndmask_b32_e64 v21, v24, v21, s1
	s_delay_alu instid0(VALU_DEP_2)
	v_cndmask_b32_e64 v22, v22, v25, s1
	s_waitcnt lgkmcnt(0)
	global_store_b32 v[21:22], v23, off
	s_or_b32 exec_lo, exec_lo, s7
	s_and_saveexec_b32 s7, s56
	s_cbranch_execz .LBB184_107
.LBB184_119:                            ;   in Loop: Header=BB184_15 Depth=1
	v_lshlrev_b32_e32 v21, 2, v43
	ds_load_b32 v23, v1 offset:32
	v_add_co_u32 v21, vcc_lo, v19, v21
	v_add_co_ci_u32_e32 v22, vcc_lo, 0, v20, vcc_lo
	v_add_co_u32 v24, vcc_lo, v17, v7
	v_add_co_ci_u32_e32 v25, vcc_lo, v18, v8, vcc_lo
	s_delay_alu instid0(VALU_DEP_4) | instskip(NEXT) | instid1(VALU_DEP_4)
	v_add_co_u32 v21, vcc_lo, v21, 32
	v_add_co_ci_u32_e32 v22, vcc_lo, 0, v22, vcc_lo
	s_delay_alu instid0(VALU_DEP_2) | instskip(NEXT) | instid1(VALU_DEP_2)
	v_cndmask_b32_e64 v21, v24, v21, s1
	v_cndmask_b32_e64 v22, v25, v22, s1
	s_waitcnt lgkmcnt(0)
	global_store_b32 v[21:22], v23, off
	s_or_b32 exec_lo, exec_lo, s7
	s_and_saveexec_b32 s7, s57
	s_cbranch_execz .LBB184_108
.LBB184_120:                            ;   in Loop: Header=BB184_15 Depth=1
	v_lshlrev_b32_e32 v21, 2, v43
	ds_load_b32 v23, v1 offset:64
	v_add_co_u32 v21, vcc_lo, v19, v21
	v_add_co_ci_u32_e32 v22, vcc_lo, 0, v20, vcc_lo
	v_add_co_u32 v24, vcc_lo, v17, v11
	v_add_co_ci_u32_e32 v25, vcc_lo, v18, v12, vcc_lo
	s_delay_alu instid0(VALU_DEP_4) | instskip(NEXT) | instid1(VALU_DEP_4)
	v_add_co_u32 v21, vcc_lo, v21, 64
	v_add_co_ci_u32_e32 v22, vcc_lo, 0, v22, vcc_lo
	s_delay_alu instid0(VALU_DEP_2) | instskip(NEXT) | instid1(VALU_DEP_2)
	v_cndmask_b32_e64 v21, v24, v21, s1
	v_cndmask_b32_e64 v22, v25, v22, s1
	s_waitcnt lgkmcnt(0)
	global_store_b32 v[21:22], v23, off
	s_or_b32 exec_lo, exec_lo, s7
	s_and_saveexec_b32 s7, s58
	s_cbranch_execnz .LBB184_109
	s_branch .LBB184_110
.LBB184_121:                            ;   in Loop: Header=BB184_15 Depth=1
	v_lshlrev_b32_e32 v21, 2, v43
	ds_load_b32 v23, v1 offset:4096
	v_add_co_u32 v21, vcc_lo, v15, v21
	v_add_co_ci_u32_e32 v22, vcc_lo, 0, v16, vcc_lo
	v_add_co_u32 v24, vcc_lo, v19, v3
	v_add_co_ci_u32_e32 v25, vcc_lo, v20, v4, vcc_lo
	s_delay_alu instid0(VALU_DEP_2) | instskip(NEXT) | instid1(VALU_DEP_2)
	v_cndmask_b32_e64 v21, v24, v21, s1
	v_cndmask_b32_e64 v22, v25, v22, s1
	s_waitcnt lgkmcnt(0)
	global_store_b32 v[21:22], v23, off
	s_or_b32 exec_lo, exec_lo, s6
	s_and_saveexec_b32 s6, s56
	s_cbranch_execz .LBB184_116
.LBB184_122:                            ;   in Loop: Header=BB184_15 Depth=1
	v_lshlrev_b32_e32 v21, 2, v43
	ds_load_b32 v23, v51 offset:4096
	v_add_co_u32 v21, vcc_lo, v15, v21
	v_add_co_ci_u32_e32 v22, vcc_lo, 0, v16, vcc_lo
	v_add_co_u32 v24, vcc_lo, v19, v7
	v_add_co_ci_u32_e32 v25, vcc_lo, v20, v8, vcc_lo
	s_delay_alu instid0(VALU_DEP_4) | instskip(NEXT) | instid1(VALU_DEP_4)
	v_add_co_u32 v21, vcc_lo, v21, 32
	v_add_co_ci_u32_e32 v22, vcc_lo, 0, v22, vcc_lo
	s_delay_alu instid0(VALU_DEP_2) | instskip(NEXT) | instid1(VALU_DEP_2)
	v_cndmask_b32_e64 v21, v24, v21, s1
	v_cndmask_b32_e64 v22, v25, v22, s1
	s_waitcnt lgkmcnt(0)
	global_store_b32 v[21:22], v23, off
	s_or_b32 exec_lo, exec_lo, s6
	s_and_saveexec_b32 s6, s57
	s_cbranch_execz .LBB184_117
.LBB184_123:                            ;   in Loop: Header=BB184_15 Depth=1
	v_lshlrev_b32_e32 v21, 2, v43
	ds_load_b32 v23, v52 offset:4096
	v_add_co_u32 v21, vcc_lo, v15, v21
	v_add_co_ci_u32_e32 v22, vcc_lo, 0, v16, vcc_lo
	v_add_co_u32 v24, vcc_lo, v19, v11
	v_add_co_ci_u32_e32 v25, vcc_lo, v20, v12, vcc_lo
	s_delay_alu instid0(VALU_DEP_4) | instskip(NEXT) | instid1(VALU_DEP_4)
	v_add_co_u32 v21, vcc_lo, v21, 64
	v_add_co_ci_u32_e32 v22, vcc_lo, 0, v22, vcc_lo
	s_delay_alu instid0(VALU_DEP_2) | instskip(NEXT) | instid1(VALU_DEP_2)
	v_cndmask_b32_e64 v21, v24, v21, s1
	v_cndmask_b32_e64 v22, v25, v22, s1
	s_waitcnt lgkmcnt(0)
	global_store_b32 v[21:22], v23, off
	s_or_b32 exec_lo, exec_lo, s6
	s_and_saveexec_b32 s6, s58
	s_cbranch_execz .LBB184_13
.LBB184_124:                            ;   in Loop: Header=BB184_15 Depth=1
	ds_load_b32 v21, v53 offset:4096
	s_and_not1_b32 vcc_lo, exec_lo, s24
	s_cbranch_vccnz .LBB184_126
; %bb.125:                              ;   in Loop: Header=BB184_15 Depth=1
	v_add_co_u32 v19, vcc_lo, v19, v13
	v_add_co_ci_u32_e32 v20, vcc_lo, v20, v14, vcc_lo
	s_waitcnt lgkmcnt(0)
	global_store_b32 v[19:20], v21, off
	s_cbranch_execnz .LBB184_13
	s_branch .LBB184_127
.LBB184_126:                            ;   in Loop: Header=BB184_15 Depth=1
.LBB184_127:                            ;   in Loop: Header=BB184_15 Depth=1
	v_lshlrev_b32_e32 v19, 2, v43
	s_delay_alu instid0(VALU_DEP_1)
	v_add_co_u32 v15, vcc_lo, v15, v19
	v_add_co_ci_u32_e32 v16, vcc_lo, 0, v16, vcc_lo
	s_waitcnt lgkmcnt(0)
	global_store_b32 v[15:16], v21, off offset:96
	s_branch .LBB184_13
.LBB184_128:
	s_endpgm
	.section	.rodata,"a",@progbits
	.p2align	6, 0x0
	.amdhsa_kernel _ZN9rocsparseL31bsrgemm_block_per_row_multipassILj256ELj2ELj32ElifEEv20rocsparse_direction_T3_S2_PKS2_S4_NS_24const_host_device_scalarIT4_EEPKT2_S4_PKS6_SA_S4_SC_S7_SA_S4_SC_SA_PS2_PS6_PS8_21rocsparse_index_base_SG_SG_SG_bbb
		.amdhsa_group_segment_fixed_size 8196
		.amdhsa_private_segment_fixed_size 0
		.amdhsa_kernarg_size 172
		.amdhsa_user_sgpr_count 15
		.amdhsa_user_sgpr_dispatch_ptr 0
		.amdhsa_user_sgpr_queue_ptr 0
		.amdhsa_user_sgpr_kernarg_segment_ptr 1
		.amdhsa_user_sgpr_dispatch_id 0
		.amdhsa_user_sgpr_private_segment_size 0
		.amdhsa_wavefront_size32 1
		.amdhsa_uses_dynamic_stack 0
		.amdhsa_enable_private_segment 0
		.amdhsa_system_sgpr_workgroup_id_x 1
		.amdhsa_system_sgpr_workgroup_id_y 0
		.amdhsa_system_sgpr_workgroup_id_z 0
		.amdhsa_system_sgpr_workgroup_info 0
		.amdhsa_system_vgpr_workitem_id 0
		.amdhsa_next_free_vgpr 84
		.amdhsa_next_free_sgpr 72
		.amdhsa_reserve_vcc 1
		.amdhsa_float_round_mode_32 0
		.amdhsa_float_round_mode_16_64 0
		.amdhsa_float_denorm_mode_32 3
		.amdhsa_float_denorm_mode_16_64 3
		.amdhsa_dx10_clamp 1
		.amdhsa_ieee_mode 1
		.amdhsa_fp16_overflow 0
		.amdhsa_workgroup_processor_mode 1
		.amdhsa_memory_ordered 1
		.amdhsa_forward_progress 0
		.amdhsa_shared_vgpr_count 0
		.amdhsa_exception_fp_ieee_invalid_op 0
		.amdhsa_exception_fp_denorm_src 0
		.amdhsa_exception_fp_ieee_div_zero 0
		.amdhsa_exception_fp_ieee_overflow 0
		.amdhsa_exception_fp_ieee_underflow 0
		.amdhsa_exception_fp_ieee_inexact 0
		.amdhsa_exception_int_div_zero 0
	.end_amdhsa_kernel
	.section	.text._ZN9rocsparseL31bsrgemm_block_per_row_multipassILj256ELj2ELj32ElifEEv20rocsparse_direction_T3_S2_PKS2_S4_NS_24const_host_device_scalarIT4_EEPKT2_S4_PKS6_SA_S4_SC_S7_SA_S4_SC_SA_PS2_PS6_PS8_21rocsparse_index_base_SG_SG_SG_bbb,"axG",@progbits,_ZN9rocsparseL31bsrgemm_block_per_row_multipassILj256ELj2ELj32ElifEEv20rocsparse_direction_T3_S2_PKS2_S4_NS_24const_host_device_scalarIT4_EEPKT2_S4_PKS6_SA_S4_SC_S7_SA_S4_SC_SA_PS2_PS6_PS8_21rocsparse_index_base_SG_SG_SG_bbb,comdat
.Lfunc_end184:
	.size	_ZN9rocsparseL31bsrgemm_block_per_row_multipassILj256ELj2ELj32ElifEEv20rocsparse_direction_T3_S2_PKS2_S4_NS_24const_host_device_scalarIT4_EEPKT2_S4_PKS6_SA_S4_SC_S7_SA_S4_SC_SA_PS2_PS6_PS8_21rocsparse_index_base_SG_SG_SG_bbb, .Lfunc_end184-_ZN9rocsparseL31bsrgemm_block_per_row_multipassILj256ELj2ELj32ElifEEv20rocsparse_direction_T3_S2_PKS2_S4_NS_24const_host_device_scalarIT4_EEPKT2_S4_PKS6_SA_S4_SC_S7_SA_S4_SC_SA_PS2_PS6_PS8_21rocsparse_index_base_SG_SG_SG_bbb
                                        ; -- End function
	.section	.AMDGPU.csdata,"",@progbits
; Kernel info:
; codeLenInByte = 5188
; NumSgprs: 74
; NumVgprs: 84
; ScratchSize: 0
; MemoryBound: 1
; FloatMode: 240
; IeeeMode: 1
; LDSByteSize: 8196 bytes/workgroup (compile time only)
; SGPRBlocks: 9
; VGPRBlocks: 10
; NumSGPRsForWavesPerEU: 74
; NumVGPRsForWavesPerEU: 84
; Occupancy: 16
; WaveLimiterHint : 1
; COMPUTE_PGM_RSRC2:SCRATCH_EN: 0
; COMPUTE_PGM_RSRC2:USER_SGPR: 15
; COMPUTE_PGM_RSRC2:TRAP_HANDLER: 0
; COMPUTE_PGM_RSRC2:TGID_X_EN: 1
; COMPUTE_PGM_RSRC2:TGID_Y_EN: 0
; COMPUTE_PGM_RSRC2:TGID_Z_EN: 0
; COMPUTE_PGM_RSRC2:TIDIG_COMP_CNT: 0
	.section	.text._ZN9rocsparseL26bsrgemm_group_reduce_part2ILj256ELj8ELj2EdliEEvT4_PKT3_PS1_Pi,"axG",@progbits,_ZN9rocsparseL26bsrgemm_group_reduce_part2ILj256ELj8ELj2EdliEEvT4_PKT3_PS1_Pi,comdat
	.globl	_ZN9rocsparseL26bsrgemm_group_reduce_part2ILj256ELj8ELj2EdliEEvT4_PKT3_PS1_Pi ; -- Begin function _ZN9rocsparseL26bsrgemm_group_reduce_part2ILj256ELj8ELj2EdliEEvT4_PKT3_PS1_Pi
	.p2align	8
	.type	_ZN9rocsparseL26bsrgemm_group_reduce_part2ILj256ELj8ELj2EdliEEvT4_PKT3_PS1_Pi,@function
_ZN9rocsparseL26bsrgemm_group_reduce_part2ILj256ELj8ELj2EdliEEvT4_PKT3_PS1_Pi: ; @_ZN9rocsparseL26bsrgemm_group_reduce_part2ILj256ELj8ELj2EdliEEvT4_PKT3_PS1_Pi
; %bb.0:
	s_clause 0x1
	s_load_b32 s10, s[0:1], 0x0
	s_load_b64 s[2:3], s[0:1], 0x10
	s_mov_b32 s4, 0
	v_lshl_or_b32 v1, s15, 8, v0
	s_mov_b32 s7, s4
	s_mov_b32 s5, s4
	;; [unrolled: 1-line block ×3, first 2 shown]
	v_dual_mov_b32 v9, s7 :: v_dual_mov_b32 v6, s4
	v_dual_mov_b32 v8, s6 :: v_dual_lshlrev_b32 v5, 5, v0
	v_mov_b32_e32 v7, s5
	s_mov_b32 s5, exec_lo
	ds_store_b128 v5, v[6:9]
	ds_store_b128 v5, v[6:9] offset:16
	s_waitcnt lgkmcnt(0)
	buffer_gl0_inv
	v_cmpx_gt_i32_e64 s10, v1
	s_cbranch_execz .LBB185_31
; %bb.1:
	s_clause 0x2
	s_load_b32 s11, s[0:1], 0x20
	s_load_b64 s[6:7], s[0:1], 0x8
	s_load_b64 s[8:9], s[0:1], 0x18
	v_dual_mov_b32 v6, 7 :: v_dual_mov_b32 v7, 6
	v_dual_mov_b32 v8, 5 :: v_dual_mov_b32 v9, 4
	;; [unrolled: 1-line block ×4, first 2 shown]
	s_waitcnt lgkmcnt(0)
	s_lshl_b32 s1, s11, 8
	s_branch .LBB185_3
.LBB185_2:                              ;   in Loop: Header=BB185_3 Depth=1
	s_or_b32 exec_lo, exec_lo, s0
	v_add_nc_u32_e32 v1, s1, v1
	s_delay_alu instid0(VALU_DEP_1) | instskip(SKIP_1) | instid1(SALU_CYCLE_1)
	v_cmp_le_i32_e32 vcc_lo, s10, v1
	s_or_b32 s4, vcc_lo, s4
	s_and_not1_b32 exec_lo, exec_lo, s4
	s_cbranch_execz .LBB185_31
.LBB185_3:                              ; =>This Inner Loop Header: Depth=1
	v_ashrrev_i32_e32 v2, 31, v1
	s_mov_b32 s0, exec_lo
	s_delay_alu instid0(VALU_DEP_1) | instskip(NEXT) | instid1(VALU_DEP_1)
	v_lshlrev_b64 v[3:4], 3, v[1:2]
	v_add_co_u32 v3, vcc_lo, s6, v3
	s_delay_alu instid0(VALU_DEP_2) | instskip(SKIP_4) | instid1(VALU_DEP_1)
	v_add_co_ci_u32_e32 v4, vcc_lo, s7, v4, vcc_lo
	global_load_b128 v[14:17], v[3:4], off
	s_waitcnt vmcnt(0)
	v_sub_co_u32 v3, vcc_lo, v16, v14
	v_sub_co_ci_u32_e32 v4, vcc_lo, v17, v15, vcc_lo
	v_cmpx_lt_i64_e32 8, v[3:4]
	s_xor_b32 s11, exec_lo, s0
	s_cbranch_execz .LBB185_29
; %bb.4:                                ;   in Loop: Header=BB185_3 Depth=1
	s_mov_b32 s0, exec_lo
	v_cmpx_lt_u64_e32 16, v[3:4]
	s_xor_b32 s12, exec_lo, s0
	s_cbranch_execz .LBB185_26
; %bb.5:                                ;   in Loop: Header=BB185_3 Depth=1
	s_mov_b32 s0, exec_lo
	v_cmpx_lt_u64_e32 32, v[3:4]
	;; [unrolled: 5-line block ×5, first 2 shown]
	s_xor_b32 s17, exec_lo, s0
	s_cbranch_execz .LBB185_14
; %bb.9:                                ;   in Loop: Header=BB185_3 Depth=1
	v_lshlrev_b64 v[14:15], 2, v[1:2]
	v_cmp_lt_u64_e32 vcc_lo, 0x200, v[3:4]
	s_delay_alu instid0(VALU_DEP_2) | instskip(NEXT) | instid1(VALU_DEP_1)
	v_add_co_u32 v3, s0, s8, v14
	v_add_co_ci_u32_e64 v4, s0, s9, v15, s0
	s_and_saveexec_b32 s0, vcc_lo
	s_delay_alu instid0(SALU_CYCLE_1)
	s_xor_b32 s0, exec_lo, s0
	s_cbranch_execz .LBB185_11
; %bb.10:                               ;   in Loop: Header=BB185_3 Depth=1
	ds_load_b32 v14, v5 offset:28
	global_store_b32 v[3:4], v6, off
                                        ; implicit-def: $vgpr3_vgpr4
	s_waitcnt lgkmcnt(0)
	v_add_nc_u32_e32 v14, 1, v14
	ds_store_b32 v5, v14 offset:28
.LBB185_11:                             ;   in Loop: Header=BB185_3 Depth=1
	s_and_not1_saveexec_b32 s0, s0
	s_cbranch_execz .LBB185_13
; %bb.12:                               ;   in Loop: Header=BB185_3 Depth=1
	ds_load_b32 v14, v5 offset:24
	global_store_b32 v[3:4], v7, off
	s_waitcnt lgkmcnt(0)
	v_add_nc_u32_e32 v14, 1, v14
	ds_store_b32 v5, v14 offset:24
.LBB185_13:                             ;   in Loop: Header=BB185_3 Depth=1
	s_or_b32 exec_lo, exec_lo, s0
.LBB185_14:                             ;   in Loop: Header=BB185_3 Depth=1
	s_and_not1_saveexec_b32 s0, s17
	s_cbranch_execz .LBB185_16
; %bb.15:                               ;   in Loop: Header=BB185_3 Depth=1
	ds_load_b32 v14, v5 offset:20
	v_lshlrev_b64 v[3:4], 2, v[1:2]
	s_delay_alu instid0(VALU_DEP_1) | instskip(NEXT) | instid1(VALU_DEP_2)
	v_add_co_u32 v3, vcc_lo, s8, v3
	v_add_co_ci_u32_e32 v4, vcc_lo, s9, v4, vcc_lo
	global_store_b32 v[3:4], v8, off
	s_waitcnt lgkmcnt(0)
	v_add_nc_u32_e32 v14, 1, v14
	ds_store_b32 v5, v14 offset:20
.LBB185_16:                             ;   in Loop: Header=BB185_3 Depth=1
	s_or_b32 exec_lo, exec_lo, s0
.LBB185_17:                             ;   in Loop: Header=BB185_3 Depth=1
	s_and_not1_saveexec_b32 s0, s16
	s_cbranch_execz .LBB185_19
; %bb.18:                               ;   in Loop: Header=BB185_3 Depth=1
	ds_load_b32 v14, v5 offset:16
	v_lshlrev_b64 v[3:4], 2, v[1:2]
	s_delay_alu instid0(VALU_DEP_1) | instskip(NEXT) | instid1(VALU_DEP_2)
	v_add_co_u32 v3, vcc_lo, s8, v3
	v_add_co_ci_u32_e32 v4, vcc_lo, s9, v4, vcc_lo
	global_store_b32 v[3:4], v9, off
	s_waitcnt lgkmcnt(0)
	v_add_nc_u32_e32 v14, 1, v14
	ds_store_b32 v5, v14 offset:16
.LBB185_19:                             ;   in Loop: Header=BB185_3 Depth=1
	s_or_b32 exec_lo, exec_lo, s0
.LBB185_20:                             ;   in Loop: Header=BB185_3 Depth=1
	s_and_not1_saveexec_b32 s0, s14
	s_cbranch_execz .LBB185_22
; %bb.21:                               ;   in Loop: Header=BB185_3 Depth=1
	ds_load_b32 v14, v5 offset:12
	v_lshlrev_b64 v[3:4], 2, v[1:2]
	s_delay_alu instid0(VALU_DEP_1) | instskip(NEXT) | instid1(VALU_DEP_2)
	v_add_co_u32 v3, vcc_lo, s8, v3
	v_add_co_ci_u32_e32 v4, vcc_lo, s9, v4, vcc_lo
	global_store_b32 v[3:4], v10, off
	s_waitcnt lgkmcnt(0)
	v_add_nc_u32_e32 v14, 1, v14
	ds_store_b32 v5, v14 offset:12
.LBB185_22:                             ;   in Loop: Header=BB185_3 Depth=1
	s_or_b32 exec_lo, exec_lo, s0
.LBB185_23:                             ;   in Loop: Header=BB185_3 Depth=1
	s_and_not1_saveexec_b32 s0, s13
	s_cbranch_execz .LBB185_25
; %bb.24:                               ;   in Loop: Header=BB185_3 Depth=1
	ds_load_b32 v14, v5 offset:8
	v_lshlrev_b64 v[3:4], 2, v[1:2]
	s_delay_alu instid0(VALU_DEP_1) | instskip(NEXT) | instid1(VALU_DEP_2)
	v_add_co_u32 v3, vcc_lo, s8, v3
	v_add_co_ci_u32_e32 v4, vcc_lo, s9, v4, vcc_lo
	global_store_b32 v[3:4], v11, off
	s_waitcnt lgkmcnt(0)
	v_add_nc_u32_e32 v14, 1, v14
	ds_store_b32 v5, v14 offset:8
.LBB185_25:                             ;   in Loop: Header=BB185_3 Depth=1
	s_or_b32 exec_lo, exec_lo, s0
.LBB185_26:                             ;   in Loop: Header=BB185_3 Depth=1
	s_and_not1_saveexec_b32 s0, s12
	s_cbranch_execz .LBB185_28
; %bb.27:                               ;   in Loop: Header=BB185_3 Depth=1
	ds_load_b32 v14, v5 offset:4
	v_lshlrev_b64 v[3:4], 2, v[1:2]
	s_delay_alu instid0(VALU_DEP_1) | instskip(NEXT) | instid1(VALU_DEP_2)
	v_add_co_u32 v3, vcc_lo, s8, v3
	v_add_co_ci_u32_e32 v4, vcc_lo, s9, v4, vcc_lo
	global_store_b32 v[3:4], v12, off
	s_waitcnt lgkmcnt(0)
	v_add_nc_u32_e32 v14, 1, v14
	ds_store_b32 v5, v14 offset:4
.LBB185_28:                             ;   in Loop: Header=BB185_3 Depth=1
	s_or_b32 exec_lo, exec_lo, s0
.LBB185_29:                             ;   in Loop: Header=BB185_3 Depth=1
	s_and_not1_saveexec_b32 s0, s11
	s_cbranch_execz .LBB185_2
; %bb.30:                               ;   in Loop: Header=BB185_3 Depth=1
	ds_load_b32 v4, v5
	v_lshlrev_b64 v[2:3], 2, v[1:2]
	s_delay_alu instid0(VALU_DEP_1) | instskip(NEXT) | instid1(VALU_DEP_2)
	v_add_co_u32 v2, vcc_lo, s8, v2
	v_add_co_ci_u32_e32 v3, vcc_lo, s9, v3, vcc_lo
	global_store_b32 v[2:3], v13, off
	s_waitcnt lgkmcnt(0)
	v_add_nc_u32_e32 v4, 1, v4
	ds_store_b32 v5, v4
	s_branch .LBB185_2
.LBB185_31:
	s_or_b32 exec_lo, exec_lo, s5
	s_delay_alu instid0(SALU_CYCLE_1)
	s_mov_b32 s0, exec_lo
	s_waitcnt lgkmcnt(0)
	s_waitcnt_vscnt null, 0x0
	s_barrier
	buffer_gl0_inv
	s_barrier
	buffer_gl0_inv
	;; [unrolled: 2-line block ×3, first 2 shown]
	v_cmpx_gt_u32_e32 0x80, v0
	s_cbranch_execz .LBB185_33
; %bb.32:
	ds_load_b128 v[1:4], v5 offset:4096
	ds_load_b128 v[6:9], v5
	ds_load_b128 v[10:13], v5 offset:16
	ds_load_b128 v[14:17], v5 offset:4112
	s_waitcnt lgkmcnt(2)
	v_add_nc_u32_e32 v1, v6, v1
	v_add_nc_u32_e32 v2, v7, v2
	v_add_nc_u32_e32 v3, v8, v3
	v_add_nc_u32_e32 v4, v9, v4
	s_waitcnt lgkmcnt(0)
	v_add_nc_u32_e32 v6, v10, v14
	v_add_nc_u32_e32 v7, v11, v15
	v_add_nc_u32_e32 v8, v12, v16
	v_add_nc_u32_e32 v9, v13, v17
	ds_store_b128 v5, v[1:4]
	ds_store_b128 v5, v[6:9] offset:16
.LBB185_33:
	s_or_b32 exec_lo, exec_lo, s0
	s_delay_alu instid0(SALU_CYCLE_1)
	s_mov_b32 s0, exec_lo
	s_waitcnt lgkmcnt(0)
	s_barrier
	buffer_gl0_inv
	v_cmpx_gt_u32_e32 64, v0
	s_cbranch_execz .LBB185_35
; %bb.34:
	ds_load_b128 v[1:4], v5 offset:2048
	ds_load_b128 v[6:9], v5
	ds_load_b128 v[10:13], v5 offset:16
	ds_load_b128 v[14:17], v5 offset:2064
	s_waitcnt lgkmcnt(2)
	v_add_nc_u32_e32 v1, v6, v1
	v_add_nc_u32_e32 v2, v7, v2
	v_add_nc_u32_e32 v3, v8, v3
	v_add_nc_u32_e32 v4, v9, v4
	s_waitcnt lgkmcnt(0)
	v_add_nc_u32_e32 v6, v10, v14
	v_add_nc_u32_e32 v7, v11, v15
	v_add_nc_u32_e32 v8, v12, v16
	v_add_nc_u32_e32 v9, v13, v17
	ds_store_b128 v5, v[1:4]
	ds_store_b128 v5, v[6:9] offset:16
.LBB185_35:
	s_or_b32 exec_lo, exec_lo, s0
	s_delay_alu instid0(SALU_CYCLE_1)
	s_mov_b32 s0, exec_lo
	s_waitcnt lgkmcnt(0)
	s_barrier
	buffer_gl0_inv
	;; [unrolled: 26-line block ×3, first 2 shown]
	v_cmpx_gt_u32_e32 16, v0
	s_cbranch_execz .LBB185_39
; %bb.38:
	ds_load_b128 v[1:4], v5 offset:512
	ds_load_b128 v[6:9], v5
	ds_load_b128 v[10:13], v5 offset:16
	ds_load_b128 v[14:17], v5 offset:528
	s_waitcnt lgkmcnt(2)
	v_add_nc_u32_e32 v1, v6, v1
	v_add_nc_u32_e32 v2, v7, v2
	;; [unrolled: 1-line block ×4, first 2 shown]
	s_waitcnt lgkmcnt(0)
	v_add_nc_u32_e32 v6, v10, v14
	v_add_nc_u32_e32 v7, v11, v15
	;; [unrolled: 1-line block ×4, first 2 shown]
	ds_store_b128 v5, v[1:4]
	ds_store_b128 v5, v[6:9] offset:16
.LBB185_39:
	s_or_b32 exec_lo, exec_lo, s0
	v_cmp_gt_u32_e32 vcc_lo, 8, v0
	s_waitcnt lgkmcnt(0)
	s_barrier
	buffer_gl0_inv
	s_and_saveexec_b32 s0, vcc_lo
	s_cbranch_execz .LBB185_41
; %bb.40:
	ds_load_b128 v[1:4], v5 offset:256
	ds_load_b128 v[6:9], v5
	ds_load_b128 v[10:13], v5 offset:16
	ds_load_b128 v[14:17], v5 offset:272
	s_waitcnt lgkmcnt(2)
	v_add_nc_u32_e32 v1, v6, v1
	v_add_nc_u32_e32 v2, v7, v2
	;; [unrolled: 1-line block ×4, first 2 shown]
	s_waitcnt lgkmcnt(0)
	v_add_nc_u32_e32 v6, v10, v14
	v_add_nc_u32_e32 v7, v11, v15
	;; [unrolled: 1-line block ×4, first 2 shown]
	ds_store_b128 v5, v[1:4]
	ds_store_b128 v5, v[6:9] offset:16
.LBB185_41:
	s_or_b32 exec_lo, exec_lo, s0
	s_delay_alu instid0(SALU_CYCLE_1)
	s_mov_b32 s1, exec_lo
	s_waitcnt lgkmcnt(0)
	s_barrier
	buffer_gl0_inv
	v_cmpx_gt_u32_e32 4, v0
	s_cbranch_execz .LBB185_43
; %bb.42:
	ds_load_b128 v[1:4], v5 offset:128
	ds_load_b128 v[6:9], v5
	ds_load_b128 v[10:13], v5 offset:16
	ds_load_b128 v[14:17], v5 offset:144
	s_waitcnt lgkmcnt(2)
	v_add_nc_u32_e32 v1, v6, v1
	v_add_nc_u32_e32 v2, v7, v2
	;; [unrolled: 1-line block ×4, first 2 shown]
	s_waitcnt lgkmcnt(0)
	v_add_nc_u32_e32 v6, v10, v14
	v_add_nc_u32_e32 v7, v11, v15
	;; [unrolled: 1-line block ×4, first 2 shown]
	ds_store_b128 v5, v[1:4]
	ds_store_b128 v5, v[6:9] offset:16
.LBB185_43:
	s_or_b32 exec_lo, exec_lo, s1
	s_delay_alu instid0(SALU_CYCLE_1)
	s_mov_b32 s1, exec_lo
	s_waitcnt lgkmcnt(0)
	s_barrier
	buffer_gl0_inv
	v_cmpx_gt_u32_e32 2, v0
	s_cbranch_execz .LBB185_45
; %bb.44:
	ds_load_b128 v[1:4], v5 offset:64
	ds_load_b128 v[6:9], v5
	ds_load_b128 v[10:13], v5 offset:16
	ds_load_b128 v[14:17], v5 offset:80
	s_waitcnt lgkmcnt(2)
	v_add_nc_u32_e32 v1, v6, v1
	v_add_nc_u32_e32 v2, v7, v2
	;; [unrolled: 1-line block ×4, first 2 shown]
	s_waitcnt lgkmcnt(0)
	v_add_nc_u32_e32 v6, v10, v14
	v_add_nc_u32_e32 v7, v11, v15
	v_add_nc_u32_e32 v8, v12, v16
	v_add_nc_u32_e32 v9, v13, v17
	ds_store_b128 v5, v[1:4]
	ds_store_b128 v5, v[6:9] offset:16
.LBB185_45:
	s_or_b32 exec_lo, exec_lo, s1
	s_delay_alu instid0(SALU_CYCLE_1)
	s_mov_b32 s1, exec_lo
	s_waitcnt lgkmcnt(0)
	s_barrier
	buffer_gl0_inv
	v_cmpx_eq_u32_e32 0, v0
	s_cbranch_execz .LBB185_47
; %bb.46:
	v_mov_b32_e32 v17, 0
	ds_load_b128 v[1:4], v17 offset:32
	ds_load_b128 v[5:8], v17
	ds_load_b128 v[9:12], v17 offset:16
	ds_load_b128 v[13:16], v17 offset:48
	s_waitcnt lgkmcnt(2)
	v_add_nc_u32_e32 v2, v6, v2
	v_add_nc_u32_e32 v1, v5, v1
	;; [unrolled: 1-line block ×4, first 2 shown]
	s_waitcnt lgkmcnt(0)
	v_add_nc_u32_e32 v5, v9, v13
	v_add_nc_u32_e32 v6, v10, v14
	;; [unrolled: 1-line block ×4, first 2 shown]
	ds_store_b128 v17, v[1:4]
	ds_store_b128 v17, v[5:8] offset:16
.LBB185_47:
	s_or_b32 exec_lo, exec_lo, s1
	s_waitcnt lgkmcnt(0)
	s_barrier
	buffer_gl0_inv
	s_and_saveexec_b32 s0, vcc_lo
	s_cbranch_execz .LBB185_49
; %bb.48:
	v_lshlrev_b32_e32 v1, 2, v0
	v_lshl_or_b32 v0, s15, 3, v0
	ds_load_b32 v2, v1
	v_mov_b32_e32 v1, 0
	s_delay_alu instid0(VALU_DEP_1) | instskip(NEXT) | instid1(VALU_DEP_1)
	v_lshlrev_b64 v[0:1], 2, v[0:1]
	v_add_co_u32 v0, vcc_lo, s2, v0
	s_delay_alu instid0(VALU_DEP_2)
	v_add_co_ci_u32_e32 v1, vcc_lo, s3, v1, vcc_lo
	s_waitcnt lgkmcnt(0)
	global_store_b32 v[0:1], v2, off
.LBB185_49:
	s_nop 0
	s_sendmsg sendmsg(MSG_DEALLOC_VGPRS)
	s_endpgm
	.section	.rodata,"a",@progbits
	.p2align	6, 0x0
	.amdhsa_kernel _ZN9rocsparseL26bsrgemm_group_reduce_part2ILj256ELj8ELj2EdliEEvT4_PKT3_PS1_Pi
		.amdhsa_group_segment_fixed_size 8192
		.amdhsa_private_segment_fixed_size 0
		.amdhsa_kernarg_size 288
		.amdhsa_user_sgpr_count 15
		.amdhsa_user_sgpr_dispatch_ptr 0
		.amdhsa_user_sgpr_queue_ptr 0
		.amdhsa_user_sgpr_kernarg_segment_ptr 1
		.amdhsa_user_sgpr_dispatch_id 0
		.amdhsa_user_sgpr_private_segment_size 0
		.amdhsa_wavefront_size32 1
		.amdhsa_uses_dynamic_stack 0
		.amdhsa_enable_private_segment 0
		.amdhsa_system_sgpr_workgroup_id_x 1
		.amdhsa_system_sgpr_workgroup_id_y 0
		.amdhsa_system_sgpr_workgroup_id_z 0
		.amdhsa_system_sgpr_workgroup_info 0
		.amdhsa_system_vgpr_workitem_id 0
		.amdhsa_next_free_vgpr 18
		.amdhsa_next_free_sgpr 18
		.amdhsa_reserve_vcc 1
		.amdhsa_float_round_mode_32 0
		.amdhsa_float_round_mode_16_64 0
		.amdhsa_float_denorm_mode_32 3
		.amdhsa_float_denorm_mode_16_64 3
		.amdhsa_dx10_clamp 1
		.amdhsa_ieee_mode 1
		.amdhsa_fp16_overflow 0
		.amdhsa_workgroup_processor_mode 1
		.amdhsa_memory_ordered 1
		.amdhsa_forward_progress 0
		.amdhsa_shared_vgpr_count 0
		.amdhsa_exception_fp_ieee_invalid_op 0
		.amdhsa_exception_fp_denorm_src 0
		.amdhsa_exception_fp_ieee_div_zero 0
		.amdhsa_exception_fp_ieee_overflow 0
		.amdhsa_exception_fp_ieee_underflow 0
		.amdhsa_exception_fp_ieee_inexact 0
		.amdhsa_exception_int_div_zero 0
	.end_amdhsa_kernel
	.section	.text._ZN9rocsparseL26bsrgemm_group_reduce_part2ILj256ELj8ELj2EdliEEvT4_PKT3_PS1_Pi,"axG",@progbits,_ZN9rocsparseL26bsrgemm_group_reduce_part2ILj256ELj8ELj2EdliEEvT4_PKT3_PS1_Pi,comdat
.Lfunc_end185:
	.size	_ZN9rocsparseL26bsrgemm_group_reduce_part2ILj256ELj8ELj2EdliEEvT4_PKT3_PS1_Pi, .Lfunc_end185-_ZN9rocsparseL26bsrgemm_group_reduce_part2ILj256ELj8ELj2EdliEEvT4_PKT3_PS1_Pi
                                        ; -- End function
	.section	.AMDGPU.csdata,"",@progbits
; Kernel info:
; codeLenInByte = 2032
; NumSgprs: 20
; NumVgprs: 18
; ScratchSize: 0
; MemoryBound: 0
; FloatMode: 240
; IeeeMode: 1
; LDSByteSize: 8192 bytes/workgroup (compile time only)
; SGPRBlocks: 2
; VGPRBlocks: 2
; NumSGPRsForWavesPerEU: 20
; NumVGPRsForWavesPerEU: 18
; Occupancy: 16
; WaveLimiterHint : 0
; COMPUTE_PGM_RSRC2:SCRATCH_EN: 0
; COMPUTE_PGM_RSRC2:USER_SGPR: 15
; COMPUTE_PGM_RSRC2:TRAP_HANDLER: 0
; COMPUTE_PGM_RSRC2:TGID_X_EN: 1
; COMPUTE_PGM_RSRC2:TGID_Y_EN: 0
; COMPUTE_PGM_RSRC2:TGID_Z_EN: 0
; COMPUTE_PGM_RSRC2:TIDIG_COMP_CNT: 0
	.section	.text._ZN9rocsparseL26bsrgemm_group_reduce_part2ILj256ELj8ELj8EdliEEvT4_PKT3_PS1_Pi,"axG",@progbits,_ZN9rocsparseL26bsrgemm_group_reduce_part2ILj256ELj8ELj8EdliEEvT4_PKT3_PS1_Pi,comdat
	.globl	_ZN9rocsparseL26bsrgemm_group_reduce_part2ILj256ELj8ELj8EdliEEvT4_PKT3_PS1_Pi ; -- Begin function _ZN9rocsparseL26bsrgemm_group_reduce_part2ILj256ELj8ELj8EdliEEvT4_PKT3_PS1_Pi
	.p2align	8
	.type	_ZN9rocsparseL26bsrgemm_group_reduce_part2ILj256ELj8ELj8EdliEEvT4_PKT3_PS1_Pi,@function
_ZN9rocsparseL26bsrgemm_group_reduce_part2ILj256ELj8ELj8EdliEEvT4_PKT3_PS1_Pi: ; @_ZN9rocsparseL26bsrgemm_group_reduce_part2ILj256ELj8ELj8EdliEEvT4_PKT3_PS1_Pi
; %bb.0:
	s_clause 0x1
	s_load_b32 s10, s[0:1], 0x0
	s_load_b64 s[2:3], s[0:1], 0x10
	s_mov_b32 s4, 0
	v_lshl_or_b32 v1, s15, 8, v0
	s_mov_b32 s7, s4
	s_mov_b32 s5, s4
	;; [unrolled: 1-line block ×3, first 2 shown]
	v_dual_mov_b32 v9, s7 :: v_dual_mov_b32 v6, s4
	v_dual_mov_b32 v8, s6 :: v_dual_lshlrev_b32 v5, 5, v0
	v_mov_b32_e32 v7, s5
	s_mov_b32 s5, exec_lo
	ds_store_b128 v5, v[6:9]
	ds_store_b128 v5, v[6:9] offset:16
	s_waitcnt lgkmcnt(0)
	buffer_gl0_inv
	v_cmpx_gt_i32_e64 s10, v1
	s_cbranch_execz .LBB186_31
; %bb.1:
	s_clause 0x2
	s_load_b32 s11, s[0:1], 0x20
	s_load_b64 s[6:7], s[0:1], 0x8
	s_load_b64 s[8:9], s[0:1], 0x18
	v_dual_mov_b32 v6, 7 :: v_dual_mov_b32 v7, 6
	v_dual_mov_b32 v8, 5 :: v_dual_mov_b32 v9, 4
	;; [unrolled: 1-line block ×4, first 2 shown]
	s_waitcnt lgkmcnt(0)
	s_lshl_b32 s1, s11, 8
	s_branch .LBB186_3
.LBB186_2:                              ;   in Loop: Header=BB186_3 Depth=1
	s_or_b32 exec_lo, exec_lo, s0
	v_add_nc_u32_e32 v1, s1, v1
	s_delay_alu instid0(VALU_DEP_1) | instskip(SKIP_1) | instid1(SALU_CYCLE_1)
	v_cmp_le_i32_e32 vcc_lo, s10, v1
	s_or_b32 s4, vcc_lo, s4
	s_and_not1_b32 exec_lo, exec_lo, s4
	s_cbranch_execz .LBB186_31
.LBB186_3:                              ; =>This Inner Loop Header: Depth=1
	v_ashrrev_i32_e32 v2, 31, v1
	s_mov_b32 s0, exec_lo
	s_delay_alu instid0(VALU_DEP_1) | instskip(NEXT) | instid1(VALU_DEP_1)
	v_lshlrev_b64 v[3:4], 3, v[1:2]
	v_add_co_u32 v3, vcc_lo, s6, v3
	s_delay_alu instid0(VALU_DEP_2) | instskip(SKIP_4) | instid1(VALU_DEP_1)
	v_add_co_ci_u32_e32 v4, vcc_lo, s7, v4, vcc_lo
	global_load_b128 v[14:17], v[3:4], off
	s_waitcnt vmcnt(0)
	v_sub_co_u32 v3, vcc_lo, v16, v14
	v_sub_co_ci_u32_e32 v4, vcc_lo, v17, v15, vcc_lo
	v_cmpx_lt_i64_e32 8, v[3:4]
	s_xor_b32 s11, exec_lo, s0
	s_cbranch_execz .LBB186_29
; %bb.4:                                ;   in Loop: Header=BB186_3 Depth=1
	s_mov_b32 s0, exec_lo
	v_cmpx_lt_u64_e32 16, v[3:4]
	s_xor_b32 s12, exec_lo, s0
	s_cbranch_execz .LBB186_26
; %bb.5:                                ;   in Loop: Header=BB186_3 Depth=1
	s_mov_b32 s0, exec_lo
	v_cmpx_lt_u64_e32 32, v[3:4]
	;; [unrolled: 5-line block ×5, first 2 shown]
	s_xor_b32 s17, exec_lo, s0
	s_cbranch_execz .LBB186_14
; %bb.9:                                ;   in Loop: Header=BB186_3 Depth=1
	v_lshlrev_b64 v[14:15], 2, v[1:2]
	v_cmp_lt_u64_e32 vcc_lo, 0x200, v[3:4]
	s_delay_alu instid0(VALU_DEP_2) | instskip(NEXT) | instid1(VALU_DEP_1)
	v_add_co_u32 v3, s0, s8, v14
	v_add_co_ci_u32_e64 v4, s0, s9, v15, s0
	s_and_saveexec_b32 s0, vcc_lo
	s_delay_alu instid0(SALU_CYCLE_1)
	s_xor_b32 s0, exec_lo, s0
	s_cbranch_execz .LBB186_11
; %bb.10:                               ;   in Loop: Header=BB186_3 Depth=1
	ds_load_b32 v14, v5 offset:28
	global_store_b32 v[3:4], v6, off
                                        ; implicit-def: $vgpr3_vgpr4
	s_waitcnt lgkmcnt(0)
	v_add_nc_u32_e32 v14, 1, v14
	ds_store_b32 v5, v14 offset:28
.LBB186_11:                             ;   in Loop: Header=BB186_3 Depth=1
	s_and_not1_saveexec_b32 s0, s0
	s_cbranch_execz .LBB186_13
; %bb.12:                               ;   in Loop: Header=BB186_3 Depth=1
	ds_load_b32 v14, v5 offset:24
	global_store_b32 v[3:4], v7, off
	s_waitcnt lgkmcnt(0)
	v_add_nc_u32_e32 v14, 1, v14
	ds_store_b32 v5, v14 offset:24
.LBB186_13:                             ;   in Loop: Header=BB186_3 Depth=1
	s_or_b32 exec_lo, exec_lo, s0
.LBB186_14:                             ;   in Loop: Header=BB186_3 Depth=1
	s_and_not1_saveexec_b32 s0, s17
	s_cbranch_execz .LBB186_16
; %bb.15:                               ;   in Loop: Header=BB186_3 Depth=1
	ds_load_b32 v14, v5 offset:20
	v_lshlrev_b64 v[3:4], 2, v[1:2]
	s_delay_alu instid0(VALU_DEP_1) | instskip(NEXT) | instid1(VALU_DEP_2)
	v_add_co_u32 v3, vcc_lo, s8, v3
	v_add_co_ci_u32_e32 v4, vcc_lo, s9, v4, vcc_lo
	global_store_b32 v[3:4], v8, off
	s_waitcnt lgkmcnt(0)
	v_add_nc_u32_e32 v14, 1, v14
	ds_store_b32 v5, v14 offset:20
.LBB186_16:                             ;   in Loop: Header=BB186_3 Depth=1
	s_or_b32 exec_lo, exec_lo, s0
.LBB186_17:                             ;   in Loop: Header=BB186_3 Depth=1
	s_and_not1_saveexec_b32 s0, s16
	s_cbranch_execz .LBB186_19
; %bb.18:                               ;   in Loop: Header=BB186_3 Depth=1
	ds_load_b32 v14, v5 offset:16
	v_lshlrev_b64 v[3:4], 2, v[1:2]
	s_delay_alu instid0(VALU_DEP_1) | instskip(NEXT) | instid1(VALU_DEP_2)
	v_add_co_u32 v3, vcc_lo, s8, v3
	v_add_co_ci_u32_e32 v4, vcc_lo, s9, v4, vcc_lo
	global_store_b32 v[3:4], v9, off
	s_waitcnt lgkmcnt(0)
	v_add_nc_u32_e32 v14, 1, v14
	ds_store_b32 v5, v14 offset:16
.LBB186_19:                             ;   in Loop: Header=BB186_3 Depth=1
	s_or_b32 exec_lo, exec_lo, s0
.LBB186_20:                             ;   in Loop: Header=BB186_3 Depth=1
	s_and_not1_saveexec_b32 s0, s14
	s_cbranch_execz .LBB186_22
; %bb.21:                               ;   in Loop: Header=BB186_3 Depth=1
	ds_load_b32 v14, v5 offset:12
	v_lshlrev_b64 v[3:4], 2, v[1:2]
	s_delay_alu instid0(VALU_DEP_1) | instskip(NEXT) | instid1(VALU_DEP_2)
	v_add_co_u32 v3, vcc_lo, s8, v3
	v_add_co_ci_u32_e32 v4, vcc_lo, s9, v4, vcc_lo
	global_store_b32 v[3:4], v10, off
	s_waitcnt lgkmcnt(0)
	v_add_nc_u32_e32 v14, 1, v14
	ds_store_b32 v5, v14 offset:12
.LBB186_22:                             ;   in Loop: Header=BB186_3 Depth=1
	s_or_b32 exec_lo, exec_lo, s0
.LBB186_23:                             ;   in Loop: Header=BB186_3 Depth=1
	s_and_not1_saveexec_b32 s0, s13
	s_cbranch_execz .LBB186_25
; %bb.24:                               ;   in Loop: Header=BB186_3 Depth=1
	ds_load_b32 v14, v5 offset:8
	v_lshlrev_b64 v[3:4], 2, v[1:2]
	s_delay_alu instid0(VALU_DEP_1) | instskip(NEXT) | instid1(VALU_DEP_2)
	v_add_co_u32 v3, vcc_lo, s8, v3
	v_add_co_ci_u32_e32 v4, vcc_lo, s9, v4, vcc_lo
	global_store_b32 v[3:4], v11, off
	s_waitcnt lgkmcnt(0)
	v_add_nc_u32_e32 v14, 1, v14
	ds_store_b32 v5, v14 offset:8
.LBB186_25:                             ;   in Loop: Header=BB186_3 Depth=1
	s_or_b32 exec_lo, exec_lo, s0
.LBB186_26:                             ;   in Loop: Header=BB186_3 Depth=1
	s_and_not1_saveexec_b32 s0, s12
	s_cbranch_execz .LBB186_28
; %bb.27:                               ;   in Loop: Header=BB186_3 Depth=1
	ds_load_b32 v14, v5 offset:4
	v_lshlrev_b64 v[3:4], 2, v[1:2]
	s_delay_alu instid0(VALU_DEP_1) | instskip(NEXT) | instid1(VALU_DEP_2)
	v_add_co_u32 v3, vcc_lo, s8, v3
	v_add_co_ci_u32_e32 v4, vcc_lo, s9, v4, vcc_lo
	global_store_b32 v[3:4], v12, off
	s_waitcnt lgkmcnt(0)
	v_add_nc_u32_e32 v14, 1, v14
	ds_store_b32 v5, v14 offset:4
.LBB186_28:                             ;   in Loop: Header=BB186_3 Depth=1
	s_or_b32 exec_lo, exec_lo, s0
.LBB186_29:                             ;   in Loop: Header=BB186_3 Depth=1
	s_and_not1_saveexec_b32 s0, s11
	s_cbranch_execz .LBB186_2
; %bb.30:                               ;   in Loop: Header=BB186_3 Depth=1
	ds_load_b32 v4, v5
	v_lshlrev_b64 v[2:3], 2, v[1:2]
	s_delay_alu instid0(VALU_DEP_1) | instskip(NEXT) | instid1(VALU_DEP_2)
	v_add_co_u32 v2, vcc_lo, s8, v2
	v_add_co_ci_u32_e32 v3, vcc_lo, s9, v3, vcc_lo
	global_store_b32 v[2:3], v13, off
	s_waitcnt lgkmcnt(0)
	v_add_nc_u32_e32 v4, 1, v4
	ds_store_b32 v5, v4
	s_branch .LBB186_2
.LBB186_31:
	s_or_b32 exec_lo, exec_lo, s5
	s_delay_alu instid0(SALU_CYCLE_1)
	s_mov_b32 s0, exec_lo
	s_waitcnt lgkmcnt(0)
	s_waitcnt_vscnt null, 0x0
	s_barrier
	buffer_gl0_inv
	s_barrier
	buffer_gl0_inv
	;; [unrolled: 2-line block ×3, first 2 shown]
	v_cmpx_gt_u32_e32 0x80, v0
	s_cbranch_execz .LBB186_33
; %bb.32:
	ds_load_b128 v[1:4], v5 offset:4096
	ds_load_b128 v[6:9], v5
	ds_load_b128 v[10:13], v5 offset:16
	ds_load_b128 v[14:17], v5 offset:4112
	s_waitcnt lgkmcnt(2)
	v_add_nc_u32_e32 v1, v6, v1
	v_add_nc_u32_e32 v2, v7, v2
	v_add_nc_u32_e32 v3, v8, v3
	v_add_nc_u32_e32 v4, v9, v4
	s_waitcnt lgkmcnt(0)
	v_add_nc_u32_e32 v6, v10, v14
	v_add_nc_u32_e32 v7, v11, v15
	v_add_nc_u32_e32 v8, v12, v16
	v_add_nc_u32_e32 v9, v13, v17
	ds_store_b128 v5, v[1:4]
	ds_store_b128 v5, v[6:9] offset:16
.LBB186_33:
	s_or_b32 exec_lo, exec_lo, s0
	s_delay_alu instid0(SALU_CYCLE_1)
	s_mov_b32 s0, exec_lo
	s_waitcnt lgkmcnt(0)
	s_barrier
	buffer_gl0_inv
	v_cmpx_gt_u32_e32 64, v0
	s_cbranch_execz .LBB186_35
; %bb.34:
	ds_load_b128 v[1:4], v5 offset:2048
	ds_load_b128 v[6:9], v5
	ds_load_b128 v[10:13], v5 offset:16
	ds_load_b128 v[14:17], v5 offset:2064
	s_waitcnt lgkmcnt(2)
	v_add_nc_u32_e32 v1, v6, v1
	v_add_nc_u32_e32 v2, v7, v2
	v_add_nc_u32_e32 v3, v8, v3
	v_add_nc_u32_e32 v4, v9, v4
	s_waitcnt lgkmcnt(0)
	v_add_nc_u32_e32 v6, v10, v14
	v_add_nc_u32_e32 v7, v11, v15
	v_add_nc_u32_e32 v8, v12, v16
	v_add_nc_u32_e32 v9, v13, v17
	ds_store_b128 v5, v[1:4]
	ds_store_b128 v5, v[6:9] offset:16
.LBB186_35:
	s_or_b32 exec_lo, exec_lo, s0
	s_delay_alu instid0(SALU_CYCLE_1)
	s_mov_b32 s0, exec_lo
	s_waitcnt lgkmcnt(0)
	s_barrier
	buffer_gl0_inv
	;; [unrolled: 26-line block ×3, first 2 shown]
	v_cmpx_gt_u32_e32 16, v0
	s_cbranch_execz .LBB186_39
; %bb.38:
	ds_load_b128 v[1:4], v5 offset:512
	ds_load_b128 v[6:9], v5
	ds_load_b128 v[10:13], v5 offset:16
	ds_load_b128 v[14:17], v5 offset:528
	s_waitcnt lgkmcnt(2)
	v_add_nc_u32_e32 v1, v6, v1
	v_add_nc_u32_e32 v2, v7, v2
	;; [unrolled: 1-line block ×4, first 2 shown]
	s_waitcnt lgkmcnt(0)
	v_add_nc_u32_e32 v6, v10, v14
	v_add_nc_u32_e32 v7, v11, v15
	;; [unrolled: 1-line block ×4, first 2 shown]
	ds_store_b128 v5, v[1:4]
	ds_store_b128 v5, v[6:9] offset:16
.LBB186_39:
	s_or_b32 exec_lo, exec_lo, s0
	v_cmp_gt_u32_e32 vcc_lo, 8, v0
	s_waitcnt lgkmcnt(0)
	s_barrier
	buffer_gl0_inv
	s_and_saveexec_b32 s0, vcc_lo
	s_cbranch_execz .LBB186_41
; %bb.40:
	ds_load_b128 v[1:4], v5 offset:256
	ds_load_b128 v[6:9], v5
	ds_load_b128 v[10:13], v5 offset:16
	ds_load_b128 v[14:17], v5 offset:272
	s_waitcnt lgkmcnt(2)
	v_add_nc_u32_e32 v1, v6, v1
	v_add_nc_u32_e32 v2, v7, v2
	;; [unrolled: 1-line block ×4, first 2 shown]
	s_waitcnt lgkmcnt(0)
	v_add_nc_u32_e32 v6, v10, v14
	v_add_nc_u32_e32 v7, v11, v15
	;; [unrolled: 1-line block ×4, first 2 shown]
	ds_store_b128 v5, v[1:4]
	ds_store_b128 v5, v[6:9] offset:16
.LBB186_41:
	s_or_b32 exec_lo, exec_lo, s0
	s_delay_alu instid0(SALU_CYCLE_1)
	s_mov_b32 s1, exec_lo
	s_waitcnt lgkmcnt(0)
	s_barrier
	buffer_gl0_inv
	v_cmpx_gt_u32_e32 4, v0
	s_cbranch_execz .LBB186_43
; %bb.42:
	ds_load_b128 v[1:4], v5 offset:128
	ds_load_b128 v[6:9], v5
	ds_load_b128 v[10:13], v5 offset:16
	ds_load_b128 v[14:17], v5 offset:144
	s_waitcnt lgkmcnt(2)
	v_add_nc_u32_e32 v1, v6, v1
	v_add_nc_u32_e32 v2, v7, v2
	v_add_nc_u32_e32 v3, v8, v3
	v_add_nc_u32_e32 v4, v9, v4
	s_waitcnt lgkmcnt(0)
	v_add_nc_u32_e32 v6, v10, v14
	v_add_nc_u32_e32 v7, v11, v15
	;; [unrolled: 1-line block ×4, first 2 shown]
	ds_store_b128 v5, v[1:4]
	ds_store_b128 v5, v[6:9] offset:16
.LBB186_43:
	s_or_b32 exec_lo, exec_lo, s1
	s_delay_alu instid0(SALU_CYCLE_1)
	s_mov_b32 s1, exec_lo
	s_waitcnt lgkmcnt(0)
	s_barrier
	buffer_gl0_inv
	v_cmpx_gt_u32_e32 2, v0
	s_cbranch_execz .LBB186_45
; %bb.44:
	ds_load_b128 v[1:4], v5 offset:64
	ds_load_b128 v[6:9], v5
	ds_load_b128 v[10:13], v5 offset:16
	ds_load_b128 v[14:17], v5 offset:80
	s_waitcnt lgkmcnt(2)
	v_add_nc_u32_e32 v1, v6, v1
	v_add_nc_u32_e32 v2, v7, v2
	;; [unrolled: 1-line block ×4, first 2 shown]
	s_waitcnt lgkmcnt(0)
	v_add_nc_u32_e32 v6, v10, v14
	v_add_nc_u32_e32 v7, v11, v15
	;; [unrolled: 1-line block ×4, first 2 shown]
	ds_store_b128 v5, v[1:4]
	ds_store_b128 v5, v[6:9] offset:16
.LBB186_45:
	s_or_b32 exec_lo, exec_lo, s1
	s_delay_alu instid0(SALU_CYCLE_1)
	s_mov_b32 s1, exec_lo
	s_waitcnt lgkmcnt(0)
	s_barrier
	buffer_gl0_inv
	v_cmpx_eq_u32_e32 0, v0
	s_cbranch_execz .LBB186_47
; %bb.46:
	v_mov_b32_e32 v17, 0
	ds_load_b128 v[1:4], v17 offset:32
	ds_load_b128 v[5:8], v17
	ds_load_b128 v[9:12], v17 offset:16
	ds_load_b128 v[13:16], v17 offset:48
	s_waitcnt lgkmcnt(2)
	v_add_nc_u32_e32 v2, v6, v2
	v_add_nc_u32_e32 v1, v5, v1
	;; [unrolled: 1-line block ×4, first 2 shown]
	s_waitcnt lgkmcnt(0)
	v_add_nc_u32_e32 v5, v9, v13
	v_add_nc_u32_e32 v6, v10, v14
	;; [unrolled: 1-line block ×4, first 2 shown]
	ds_store_b128 v17, v[1:4]
	ds_store_b128 v17, v[5:8] offset:16
.LBB186_47:
	s_or_b32 exec_lo, exec_lo, s1
	s_waitcnt lgkmcnt(0)
	s_barrier
	buffer_gl0_inv
	s_and_saveexec_b32 s0, vcc_lo
	s_cbranch_execz .LBB186_49
; %bb.48:
	v_lshlrev_b32_e32 v1, 2, v0
	v_lshl_or_b32 v0, s15, 3, v0
	ds_load_b32 v2, v1
	v_mov_b32_e32 v1, 0
	s_delay_alu instid0(VALU_DEP_1) | instskip(NEXT) | instid1(VALU_DEP_1)
	v_lshlrev_b64 v[0:1], 2, v[0:1]
	v_add_co_u32 v0, vcc_lo, s2, v0
	s_delay_alu instid0(VALU_DEP_2)
	v_add_co_ci_u32_e32 v1, vcc_lo, s3, v1, vcc_lo
	s_waitcnt lgkmcnt(0)
	global_store_b32 v[0:1], v2, off
.LBB186_49:
	s_nop 0
	s_sendmsg sendmsg(MSG_DEALLOC_VGPRS)
	s_endpgm
	.section	.rodata,"a",@progbits
	.p2align	6, 0x0
	.amdhsa_kernel _ZN9rocsparseL26bsrgemm_group_reduce_part2ILj256ELj8ELj8EdliEEvT4_PKT3_PS1_Pi
		.amdhsa_group_segment_fixed_size 8192
		.amdhsa_private_segment_fixed_size 0
		.amdhsa_kernarg_size 288
		.amdhsa_user_sgpr_count 15
		.amdhsa_user_sgpr_dispatch_ptr 0
		.amdhsa_user_sgpr_queue_ptr 0
		.amdhsa_user_sgpr_kernarg_segment_ptr 1
		.amdhsa_user_sgpr_dispatch_id 0
		.amdhsa_user_sgpr_private_segment_size 0
		.amdhsa_wavefront_size32 1
		.amdhsa_uses_dynamic_stack 0
		.amdhsa_enable_private_segment 0
		.amdhsa_system_sgpr_workgroup_id_x 1
		.amdhsa_system_sgpr_workgroup_id_y 0
		.amdhsa_system_sgpr_workgroup_id_z 0
		.amdhsa_system_sgpr_workgroup_info 0
		.amdhsa_system_vgpr_workitem_id 0
		.amdhsa_next_free_vgpr 18
		.amdhsa_next_free_sgpr 18
		.amdhsa_reserve_vcc 1
		.amdhsa_float_round_mode_32 0
		.amdhsa_float_round_mode_16_64 0
		.amdhsa_float_denorm_mode_32 3
		.amdhsa_float_denorm_mode_16_64 3
		.amdhsa_dx10_clamp 1
		.amdhsa_ieee_mode 1
		.amdhsa_fp16_overflow 0
		.amdhsa_workgroup_processor_mode 1
		.amdhsa_memory_ordered 1
		.amdhsa_forward_progress 0
		.amdhsa_shared_vgpr_count 0
		.amdhsa_exception_fp_ieee_invalid_op 0
		.amdhsa_exception_fp_denorm_src 0
		.amdhsa_exception_fp_ieee_div_zero 0
		.amdhsa_exception_fp_ieee_overflow 0
		.amdhsa_exception_fp_ieee_underflow 0
		.amdhsa_exception_fp_ieee_inexact 0
		.amdhsa_exception_int_div_zero 0
	.end_amdhsa_kernel
	.section	.text._ZN9rocsparseL26bsrgemm_group_reduce_part2ILj256ELj8ELj8EdliEEvT4_PKT3_PS1_Pi,"axG",@progbits,_ZN9rocsparseL26bsrgemm_group_reduce_part2ILj256ELj8ELj8EdliEEvT4_PKT3_PS1_Pi,comdat
.Lfunc_end186:
	.size	_ZN9rocsparseL26bsrgemm_group_reduce_part2ILj256ELj8ELj8EdliEEvT4_PKT3_PS1_Pi, .Lfunc_end186-_ZN9rocsparseL26bsrgemm_group_reduce_part2ILj256ELj8ELj8EdliEEvT4_PKT3_PS1_Pi
                                        ; -- End function
	.section	.AMDGPU.csdata,"",@progbits
; Kernel info:
; codeLenInByte = 2032
; NumSgprs: 20
; NumVgprs: 18
; ScratchSize: 0
; MemoryBound: 0
; FloatMode: 240
; IeeeMode: 1
; LDSByteSize: 8192 bytes/workgroup (compile time only)
; SGPRBlocks: 2
; VGPRBlocks: 2
; NumSGPRsForWavesPerEU: 20
; NumVGPRsForWavesPerEU: 18
; Occupancy: 16
; WaveLimiterHint : 0
; COMPUTE_PGM_RSRC2:SCRATCH_EN: 0
; COMPUTE_PGM_RSRC2:USER_SGPR: 15
; COMPUTE_PGM_RSRC2:TRAP_HANDLER: 0
; COMPUTE_PGM_RSRC2:TGID_X_EN: 1
; COMPUTE_PGM_RSRC2:TGID_Y_EN: 0
; COMPUTE_PGM_RSRC2:TGID_Z_EN: 0
; COMPUTE_PGM_RSRC2:TIDIG_COMP_CNT: 0
	.section	.text._ZN9rocsparseL27bsrgemm_fill_wf_per_row_2x2ILj256ELj16ELj8ELj137ElidEEv20rocsparse_direction_T4_S2_PKS2_S4_NS_24const_host_device_scalarIT5_EEPKT3_S4_PKS6_SA_S4_SC_S7_SA_S4_SC_SA_PS2_PS6_21rocsparse_index_base_SF_SF_SF_bbb,"axG",@progbits,_ZN9rocsparseL27bsrgemm_fill_wf_per_row_2x2ILj256ELj16ELj8ELj137ElidEEv20rocsparse_direction_T4_S2_PKS2_S4_NS_24const_host_device_scalarIT5_EEPKT3_S4_PKS6_SA_S4_SC_S7_SA_S4_SC_SA_PS2_PS6_21rocsparse_index_base_SF_SF_SF_bbb,comdat
	.globl	_ZN9rocsparseL27bsrgemm_fill_wf_per_row_2x2ILj256ELj16ELj8ELj137ElidEEv20rocsparse_direction_T4_S2_PKS2_S4_NS_24const_host_device_scalarIT5_EEPKT3_S4_PKS6_SA_S4_SC_S7_SA_S4_SC_SA_PS2_PS6_21rocsparse_index_base_SF_SF_SF_bbb ; -- Begin function _ZN9rocsparseL27bsrgemm_fill_wf_per_row_2x2ILj256ELj16ELj8ELj137ElidEEv20rocsparse_direction_T4_S2_PKS2_S4_NS_24const_host_device_scalarIT5_EEPKT3_S4_PKS6_SA_S4_SC_S7_SA_S4_SC_SA_PS2_PS6_21rocsparse_index_base_SF_SF_SF_bbb
	.p2align	8
	.type	_ZN9rocsparseL27bsrgemm_fill_wf_per_row_2x2ILj256ELj16ELj8ELj137ElidEEv20rocsparse_direction_T4_S2_PKS2_S4_NS_24const_host_device_scalarIT5_EEPKT3_S4_PKS6_SA_S4_SC_S7_SA_S4_SC_SA_PS2_PS6_21rocsparse_index_base_SF_SF_SF_bbb,@function
_ZN9rocsparseL27bsrgemm_fill_wf_per_row_2x2ILj256ELj16ELj8ELj137ElidEEv20rocsparse_direction_T4_S2_PKS2_S4_NS_24const_host_device_scalarIT5_EEPKT3_S4_PKS6_SA_S4_SC_S7_SA_S4_SC_SA_PS2_PS6_21rocsparse_index_base_SF_SF_SF_bbb: ; @_ZN9rocsparseL27bsrgemm_fill_wf_per_row_2x2ILj256ELj16ELj8ELj137ElidEEv20rocsparse_direction_T4_S2_PKS2_S4_NS_24const_host_device_scalarIT5_EEPKT3_S4_PKS6_SA_S4_SC_S7_SA_S4_SC_SA_PS2_PS6_21rocsparse_index_base_SF_SF_SF_bbb
; %bb.0:
	s_clause 0x2
	s_load_b32 s6, s[0:1], 0xa0
	s_load_b64 s[4:5], s[0:1], 0x20
	s_load_b64 s[2:3], s[0:1], 0x58
	s_waitcnt lgkmcnt(0)
	s_and_b32 s8, 1, s6
	s_bitcmp1_b32 s6, 16
	s_cselect_b32 s7, -1, 0
	s_cmp_eq_u32 s8, 1
	s_cselect_b32 s13, -1, 0
	s_delay_alu instid0(SALU_CYCLE_1)
	s_and_b32 s8, s13, exec_lo
	s_cselect_b32 s9, s5, 0
	s_cselect_b32 s8, s4, 0
	s_xor_b32 s10, s13, -1
	v_dual_mov_b32 v8, s8 :: v_dual_mov_b32 v9, s9
	s_or_b32 s10, s10, s7
	s_delay_alu instid0(SALU_CYCLE_1)
	s_and_b32 vcc_lo, exec_lo, s10
	s_cbranch_vccnz .LBB187_2
; %bb.1:
	v_dual_mov_b32 v1, s4 :: v_dual_mov_b32 v2, s5
	flat_load_b64 v[8:9], v[1:2]
.LBB187_2:
	s_load_b128 s[36:39], s[0:1], 0x90
	s_bitcmp1_b32 s6, 8
	s_cselect_b32 s12, -1, 0
	s_delay_alu instid0(SALU_CYCLE_1)
	s_and_b32 s4, s12, exec_lo
	s_cselect_b32 s5, s3, 0
	s_cselect_b32 s4, s2, 0
	s_xor_b32 s6, s12, -1
	v_dual_mov_b32 v4, s4 :: v_dual_mov_b32 v5, s5
	s_or_b32 s6, s6, s7
	s_delay_alu instid0(SALU_CYCLE_1)
	s_and_b32 vcc_lo, exec_lo, s6
	s_cbranch_vccnz .LBB187_4
; %bb.3:
	v_dual_mov_b32 v1, s2 :: v_dual_mov_b32 v2, s3
	flat_load_b64 v[4:5], v[1:2]
.LBB187_4:
	s_clause 0x4
	s_load_b128 s[40:43], s[0:1], 0x80
	s_load_b256 s[16:23], s[0:1], 0x60
	s_load_b128 s[44:47], s[0:1], 0x48
	s_load_b256 s[4:11], s[0:1], 0x0
	s_load_b256 s[24:31], s[0:1], 0x28
	v_lshrrev_b32_e32 v2, 4, v0
	v_and_b32_e32 v35, 15, v0
	s_delay_alu instid0(VALU_DEP_2) | instskip(NEXT) | instid1(VALU_DEP_2)
	v_lshl_or_b32 v34, v2, 5, 0x1000
	v_cmp_gt_u32_e64 s0, 8, v35
	s_delay_alu instid0(VALU_DEP_1)
	s_and_saveexec_b32 s1, s0
	s_cbranch_execz .LBB187_6
; %bb.5:
	s_delay_alu instid0(VALU_DEP_2)
	v_lshl_add_u32 v0, v35, 2, v34
	s_waitcnt lgkmcnt(0)
	v_mov_b32_e32 v1, s6
	ds_store_b32 v0, v1
.LBB187_6:
	s_or_b32 exec_lo, exec_lo, s1
	v_dual_mov_b32 v0, 0 :: v_dual_lshlrev_b32 v1, 3, v35
	v_or_b32_e32 v3, -16, v35
	s_mov_b32 s1, 0
	s_delay_alu instid0(VALU_DEP_2) | instskip(NEXT) | instid1(VALU_DEP_3)
	v_lshl_or_b32 v6, v2, 8, v1
	v_mov_b32_e32 v1, v0
.LBB187_7:                              ; =>This Inner Loop Header: Depth=1
	s_delay_alu instid0(VALU_DEP_3) | instskip(NEXT) | instid1(VALU_DEP_1)
	v_add_co_u32 v3, s2, v3, 16
	s_xor_b32 s2, s2, -1
	ds_store_b64 v6, v[0:1]
	v_add_nc_u32_e32 v6, 0x80, v6
	s_and_b32 s2, exec_lo, s2
	s_delay_alu instid0(SALU_CYCLE_1) | instskip(NEXT) | instid1(SALU_CYCLE_1)
	s_or_b32 s1, s2, s1
	s_and_not1_b32 exec_lo, exec_lo, s1
	s_cbranch_execnz .LBB187_7
; %bb.8:
	s_or_b32 exec_lo, exec_lo, s1
	v_lshl_or_b32 v6, s15, 4, v2
	s_waitcnt vmcnt(0) lgkmcnt(0)
	s_barrier
	buffer_gl0_inv
	s_mov_b32 s1, exec_lo
	v_cmpx_gt_i32_e64 s5, v6
	s_cbranch_execz .LBB187_14
; %bb.9:
	s_cmp_eq_u64 s[10:11], 0
	s_cbranch_scc1 .LBB187_11
; %bb.10:
	s_load_b32 s1, s[8:9], 0x0
	s_waitcnt lgkmcnt(0)
	v_add_nc_u32_e32 v0, s1, v6
	s_delay_alu instid0(VALU_DEP_1) | instskip(NEXT) | instid1(VALU_DEP_1)
	v_ashrrev_i32_e32 v1, 31, v0
	v_lshlrev_b64 v[0:1], 2, v[0:1]
	s_delay_alu instid0(VALU_DEP_1) | instskip(NEXT) | instid1(VALU_DEP_2)
	v_add_co_u32 v0, vcc_lo, s10, v0
	v_add_co_ci_u32_e32 v1, vcc_lo, s11, v1, vcc_lo
	global_load_b32 v6, v[0:1], off
.LBB187_11:
	v_lshlrev_b32_e32 v36, 8, v2
	s_waitcnt vmcnt(0)
	v_ashrrev_i32_e32 v7, 31, v6
	s_and_not1_b32 vcc_lo, exec_lo, s13
	s_cbranch_vccz .LBB187_15
; %bb.12:
	s_and_not1_b32 vcc_lo, exec_lo, s12
	buffer_gl0_inv
	s_cbranch_vccz .LBB187_86
.LBB187_13:
	buffer_gl0_inv
	s_and_b32 exec_lo, exec_lo, s0
	s_cbranch_execnz .LBB187_154
.LBB187_14:
	s_endpgm
.LBB187_15:
	s_delay_alu instid0(VALU_DEP_1) | instskip(SKIP_1) | instid1(VALU_DEP_1)
	v_lshlrev_b64 v[0:1], 3, v[6:7]
	v_sub_co_u32 v12, s1, v35, s36
	v_sub_co_ci_u32_e64 v13, null, 0, 0, s1
	s_mov_b32 s2, 0
	s_delay_alu instid0(VALU_DEP_3) | instskip(NEXT) | instid1(VALU_DEP_4)
	v_add_co_u32 v0, vcc_lo, s24, v0
	v_add_co_ci_u32_e32 v1, vcc_lo, s25, v1, vcc_lo
	s_mov_b32 s1, exec_lo
	global_load_b128 v[0:3], v[0:1], off
	s_waitcnt vmcnt(0)
	v_sub_co_u32 v10, vcc_lo, v2, s36
	v_subrev_co_ci_u32_e32 v11, vcc_lo, 0, v3, vcc_lo
	v_add_co_u32 v12, vcc_lo, v0, v12
	v_add_co_ci_u32_e32 v13, vcc_lo, v1, v13, vcc_lo
	s_delay_alu instid0(VALU_DEP_1)
	v_cmpx_lt_i64_e64 v[12:13], v[10:11]
	s_cbranch_execz .LBB187_85
; %bb.16:
	v_add_nc_u32_e32 v37, 8, v36
	v_add_nc_u32_e32 v38, 16, v36
	;; [unrolled: 1-line block ×3, first 2 shown]
	s_cmp_eq_u32 s4, 0
	s_mov_b32 s3, s37
	s_cselect_b32 s5, 1, 2
	s_cselect_b32 s7, 2, 1
	s_branch .LBB187_18
.LBB187_17:                             ;   in Loop: Header=BB187_18 Depth=1
	s_or_b32 exec_lo, exec_lo, s8
	v_add_co_u32 v12, vcc_lo, v12, 16
	v_add_co_ci_u32_e32 v13, vcc_lo, 0, v13, vcc_lo
	s_delay_alu instid0(VALU_DEP_1) | instskip(SKIP_1) | instid1(SALU_CYCLE_1)
	v_cmp_ge_i64_e32 vcc_lo, v[12:13], v[10:11]
	s_or_b32 s2, vcc_lo, s2
	s_and_not1_b32 exec_lo, exec_lo, s2
	s_cbranch_execz .LBB187_85
.LBB187_18:                             ; =>This Loop Header: Depth=1
                                        ;     Child Loop BB187_21 Depth 2
                                        ;       Child Loop BB187_23 Depth 3
                                        ;         Child Loop BB187_29 Depth 4
                                        ;         Child Loop BB187_35 Depth 4
                                        ;       Child Loop BB187_39 Depth 3
                                        ;         Child Loop BB187_45 Depth 4
                                        ;         Child Loop BB187_51 Depth 4
	;; [unrolled: 3-line block ×4, first 2 shown]
	v_lshlrev_b64 v[14:15], 2, v[12:13]
	s_mov_b32 s8, exec_lo
	s_delay_alu instid0(VALU_DEP_1) | instskip(NEXT) | instid1(VALU_DEP_2)
	v_add_co_u32 v0, vcc_lo, s26, v14
	v_add_co_ci_u32_e32 v1, vcc_lo, s27, v15, vcc_lo
	global_load_b32 v0, v[0:1], off
	s_waitcnt vmcnt(0)
	v_subrev_nc_u32_e32 v0, s36, v0
	s_delay_alu instid0(VALU_DEP_1) | instskip(NEXT) | instid1(VALU_DEP_1)
	v_ashrrev_i32_e32 v1, 31, v0
	v_lshlrev_b64 v[0:1], 3, v[0:1]
	s_delay_alu instid0(VALU_DEP_1) | instskip(NEXT) | instid1(VALU_DEP_2)
	v_add_co_u32 v0, vcc_lo, s30, v0
	v_add_co_ci_u32_e32 v1, vcc_lo, s31, v1, vcc_lo
	global_load_b128 v[0:3], v[0:1], off
	s_waitcnt vmcnt(0)
	v_cmpx_lt_i64_e64 v[0:1], v[2:3]
	s_cbranch_execz .LBB187_17
; %bb.19:                               ;   in Loop: Header=BB187_18 Depth=1
	v_or_b32_e32 v17, 0, v15
	v_or_b32_e32 v16, s7, v14
	v_lshlrev_b64 v[18:19], 5, v[12:13]
	v_or_b32_e32 v15, 0, v15
	v_or_b32_e32 v14, s5, v14
	s_mov_b32 s9, 0
	v_lshlrev_b64 v[16:17], 3, v[16:17]
	s_delay_alu instid0(VALU_DEP_4) | instskip(NEXT) | instid1(VALU_DEP_3)
	v_add_co_u32 v18, vcc_lo, s28, v18
	v_lshlrev_b64 v[14:15], 3, v[14:15]
	v_add_co_ci_u32_e32 v19, vcc_lo, s29, v19, vcc_lo
	s_delay_alu instid0(VALU_DEP_4) | instskip(SKIP_1) | instid1(VALU_DEP_4)
	v_add_co_u32 v16, vcc_lo, s28, v16
	v_add_co_ci_u32_e32 v17, vcc_lo, s29, v17, vcc_lo
	v_add_co_u32 v14, vcc_lo, s28, v14
	v_add_co_ci_u32_e32 v15, vcc_lo, s29, v15, vcc_lo
	s_clause 0x3
	global_load_b64 v[20:21], v[18:19], off offset:24
	global_load_b64 v[16:17], v[16:17], off
	global_load_b64 v[22:23], v[14:15], off
	;; [unrolled: 1-line block ×3, first 2 shown]
	v_sub_co_u32 v2, vcc_lo, v2, s3
	v_subrev_co_ci_u32_e32 v3, vcc_lo, 0, v3, vcc_lo
	v_sub_co_u32 v0, vcc_lo, v0, s3
	v_subrev_co_ci_u32_e32 v1, vcc_lo, 0, v1, vcc_lo
	s_waitcnt vmcnt(3)
	v_mul_f64 v[14:15], v[8:9], v[20:21]
	s_waitcnt vmcnt(2)
	v_mul_f64 v[16:17], v[8:9], v[16:17]
	;; [unrolled: 2-line block ×4, first 2 shown]
	s_branch .LBB187_21
.LBB187_20:                             ;   in Loop: Header=BB187_21 Depth=2
	s_or_b32 exec_lo, exec_lo, s10
	v_add_co_u32 v0, vcc_lo, v0, 1
	v_add_co_ci_u32_e32 v1, vcc_lo, 0, v1, vcc_lo
	s_delay_alu instid0(VALU_DEP_1) | instskip(SKIP_1) | instid1(SALU_CYCLE_1)
	v_cmp_ge_i64_e32 vcc_lo, v[0:1], v[2:3]
	s_or_b32 s9, vcc_lo, s9
	s_and_not1_b32 exec_lo, exec_lo, s9
	s_cbranch_execz .LBB187_17
.LBB187_21:                             ;   Parent Loop BB187_18 Depth=1
                                        ; =>  This Loop Header: Depth=2
                                        ;       Child Loop BB187_23 Depth 3
                                        ;         Child Loop BB187_29 Depth 4
                                        ;         Child Loop BB187_35 Depth 4
                                        ;       Child Loop BB187_39 Depth 3
                                        ;         Child Loop BB187_45 Depth 4
                                        ;         Child Loop BB187_51 Depth 4
	;; [unrolled: 3-line block ×4, first 2 shown]
	v_lshlrev_b64 v[22:23], 2, v[0:1]
	s_mov_b32 s10, 0
	s_delay_alu instid0(VALU_DEP_1) | instskip(NEXT) | instid1(VALU_DEP_2)
	v_or_b32_e32 v25, 0, v23
	v_or_b32_e32 v24, s7, v22
	s_delay_alu instid0(VALU_DEP_1) | instskip(NEXT) | instid1(VALU_DEP_1)
	v_lshlrev_b64 v[24:25], 3, v[24:25]
	v_add_co_u32 v24, vcc_lo, s46, v24
	s_delay_alu instid0(VALU_DEP_2) | instskip(SKIP_2) | instid1(VALU_DEP_1)
	v_add_co_ci_u32_e32 v25, vcc_lo, s47, v25, vcc_lo
	global_load_b64 v[26:27], v[24:25], off
	v_lshlrev_b64 v[24:25], 5, v[0:1]
	v_add_co_u32 v24, vcc_lo, s46, v24
	s_delay_alu instid0(VALU_DEP_2)
	v_add_co_ci_u32_e32 v25, vcc_lo, s47, v25, vcc_lo
	v_add_co_u32 v30, vcc_lo, s44, v22
	v_add_co_ci_u32_e32 v31, vcc_lo, s45, v23, vcc_lo
	global_load_b64 v[28:29], v[24:25], off
	v_or_b32_e32 v23, 0, v23
	v_or_b32_e32 v22, s5, v22
	global_load_b32 v32, v[30:31], off
	v_lshlrev_b64 v[22:23], 3, v[22:23]
	s_delay_alu instid0(VALU_DEP_1) | instskip(NEXT) | instid1(VALU_DEP_2)
	v_add_co_u32 v22, vcc_lo, s46, v22
	v_add_co_ci_u32_e32 v23, vcc_lo, s47, v23, vcc_lo
	s_clause 0x1
	global_load_b64 v[22:23], v[22:23], off
	global_load_b64 v[24:25], v[24:25], off offset:24
	s_waitcnt vmcnt(4)
	v_mul_f64 v[30:31], v[20:21], v[26:27]
	s_waitcnt vmcnt(2)
	v_subrev_nc_u32_e32 v40, s37, v32
	s_delay_alu instid0(VALU_DEP_1) | instskip(NEXT) | instid1(VALU_DEP_1)
	v_and_b32_e32 v41, 7, v40
	v_mov_b32_e32 v42, v41
	s_delay_alu instid0(VALU_DEP_4)
	v_fma_f64 v[30:31], v[18:19], v[28:29], v[30:31]
	s_branch .LBB187_23
.LBB187_22:                             ;   in Loop: Header=BB187_23 Depth=3
	s_or_b32 exec_lo, exec_lo, s11
	s_xor_b32 s11, s13, -1
	s_delay_alu instid0(SALU_CYCLE_1) | instskip(NEXT) | instid1(SALU_CYCLE_1)
	s_and_b32 s11, exec_lo, s11
	s_or_b32 s10, s11, s10
	s_delay_alu instid0(SALU_CYCLE_1)
	s_and_not1_b32 exec_lo, exec_lo, s10
	s_cbranch_execz .LBB187_37
.LBB187_23:                             ;   Parent Loop BB187_18 Depth=1
                                        ;     Parent Loop BB187_21 Depth=2
                                        ; =>    This Loop Header: Depth=3
                                        ;         Child Loop BB187_29 Depth 4
                                        ;         Child Loop BB187_35 Depth 4
	s_delay_alu instid0(VALU_DEP_2)
	v_lshl_add_u32 v32, v42, 2, v34
	s_mov_b32 s11, exec_lo
                                        ; implicit-def: $sgpr13
	ds_load_b32 v33, v32
	s_waitcnt lgkmcnt(0)
	v_cmpx_ne_u32_e64 v33, v40
	s_xor_b32 s11, exec_lo, s11
	s_cbranch_execz .LBB187_33
; %bb.24:                               ;   in Loop: Header=BB187_23 Depth=3
	s_mov_b32 s14, exec_lo
                                        ; implicit-def: $sgpr13
	v_cmpx_ne_u32_e64 s6, v33
	s_xor_b32 s14, exec_lo, s14
; %bb.25:                               ;   in Loop: Header=BB187_23 Depth=3
	v_add_nc_u32_e32 v32, 1, v42
	s_mov_b32 s13, -1
	s_delay_alu instid0(VALU_DEP_1)
	v_and_b32_e32 v42, 7, v32
                                        ; implicit-def: $vgpr32
; %bb.26:                               ;   in Loop: Header=BB187_23 Depth=3
	s_and_not1_saveexec_b32 s14, s14
	s_cbranch_execz .LBB187_32
; %bb.27:                               ;   in Loop: Header=BB187_23 Depth=3
	v_mov_b32_e32 v33, s6
	s_mov_b32 s24, -1
	s_mov_b32 s15, exec_lo
	ds_cmpstore_rtn_b32 v32, v32, v40, v33
	s_waitcnt lgkmcnt(0)
	v_cmpx_eq_u32_e64 s6, v32
	s_cbranch_execz .LBB187_31
; %bb.28:                               ;   in Loop: Header=BB187_23 Depth=3
	v_lshlrev_b32_e32 v32, 5, v42
	s_mov_b32 s24, 0
	s_delay_alu instid0(VALU_DEP_1)
	v_add_nc_u32_e32 v43, v36, v32
	ds_load_b64 v[32:33], v43
.LBB187_29:                             ;   Parent Loop BB187_18 Depth=1
                                        ;     Parent Loop BB187_21 Depth=2
                                        ;       Parent Loop BB187_23 Depth=3
                                        ; =>      This Inner Loop Header: Depth=4
	s_waitcnt lgkmcnt(0)
	v_add_f64 v[44:45], v[32:33], v[30:31]
	ds_cmpstore_rtn_b64 v[44:45], v43, v[44:45], v[32:33]
	s_waitcnt lgkmcnt(0)
	v_cmp_eq_u64_e32 vcc_lo, v[44:45], v[32:33]
	v_dual_mov_b32 v32, v44 :: v_dual_mov_b32 v33, v45
	s_or_b32 s24, vcc_lo, s24
	s_delay_alu instid0(SALU_CYCLE_1)
	s_and_not1_b32 exec_lo, exec_lo, s24
	s_cbranch_execnz .LBB187_29
; %bb.30:                               ;   in Loop: Header=BB187_23 Depth=3
	s_or_b32 exec_lo, exec_lo, s24
	s_delay_alu instid0(SALU_CYCLE_1)
	s_xor_b32 s24, exec_lo, -1
.LBB187_31:                             ;   in Loop: Header=BB187_23 Depth=3
	s_or_b32 exec_lo, exec_lo, s15
	s_delay_alu instid0(SALU_CYCLE_1) | instskip(SKIP_1) | instid1(SALU_CYCLE_1)
	s_and_not1_b32 s13, s13, exec_lo
	s_and_b32 s15, s24, exec_lo
	s_or_b32 s13, s13, s15
.LBB187_32:                             ;   in Loop: Header=BB187_23 Depth=3
	s_or_b32 exec_lo, exec_lo, s14
	s_delay_alu instid0(SALU_CYCLE_1)
	s_and_b32 s13, s13, exec_lo
.LBB187_33:                             ;   in Loop: Header=BB187_23 Depth=3
	s_and_not1_saveexec_b32 s11, s11
	s_cbranch_execz .LBB187_22
; %bb.34:                               ;   in Loop: Header=BB187_23 Depth=3
	v_lshlrev_b32_e32 v32, 5, v42
	s_mov_b32 s14, 0
	s_delay_alu instid0(VALU_DEP_1)
	v_add_nc_u32_e32 v43, v36, v32
	ds_load_b64 v[32:33], v43
.LBB187_35:                             ;   Parent Loop BB187_18 Depth=1
                                        ;     Parent Loop BB187_21 Depth=2
                                        ;       Parent Loop BB187_23 Depth=3
                                        ; =>      This Inner Loop Header: Depth=4
	s_waitcnt lgkmcnt(0)
	v_add_f64 v[44:45], v[32:33], v[30:31]
	ds_cmpstore_rtn_b64 v[44:45], v43, v[44:45], v[32:33]
	s_waitcnt lgkmcnt(0)
	v_cmp_eq_u64_e32 vcc_lo, v[44:45], v[32:33]
	v_dual_mov_b32 v32, v44 :: v_dual_mov_b32 v33, v45
	s_or_b32 s14, vcc_lo, s14
	s_delay_alu instid0(SALU_CYCLE_1)
	s_and_not1_b32 exec_lo, exec_lo, s14
	s_cbranch_execnz .LBB187_35
; %bb.36:                               ;   in Loop: Header=BB187_23 Depth=3
	s_or_b32 exec_lo, exec_lo, s14
	s_delay_alu instid0(SALU_CYCLE_1)
	s_and_not1_b32 s13, s13, exec_lo
	s_branch .LBB187_22
.LBB187_37:                             ;   in Loop: Header=BB187_21 Depth=2
	s_or_b32 exec_lo, exec_lo, s10
	s_waitcnt vmcnt(0)
	v_mul_f64 v[30:31], v[20:21], v[24:25]
	v_mov_b32_e32 v42, v41
	s_mov_b32 s10, 0
	s_delay_alu instid0(VALU_DEP_2)
	v_fma_f64 v[30:31], v[18:19], v[22:23], v[30:31]
	s_branch .LBB187_39
.LBB187_38:                             ;   in Loop: Header=BB187_39 Depth=3
	s_or_b32 exec_lo, exec_lo, s11
	s_xor_b32 s11, s13, -1
	s_delay_alu instid0(SALU_CYCLE_1) | instskip(NEXT) | instid1(SALU_CYCLE_1)
	s_and_b32 s11, exec_lo, s11
	s_or_b32 s10, s11, s10
	s_delay_alu instid0(SALU_CYCLE_1)
	s_and_not1_b32 exec_lo, exec_lo, s10
	s_cbranch_execz .LBB187_53
.LBB187_39:                             ;   Parent Loop BB187_18 Depth=1
                                        ;     Parent Loop BB187_21 Depth=2
                                        ; =>    This Loop Header: Depth=3
                                        ;         Child Loop BB187_45 Depth 4
                                        ;         Child Loop BB187_51 Depth 4
	s_delay_alu instid0(VALU_DEP_2)
	v_lshl_add_u32 v32, v42, 2, v34
	s_mov_b32 s11, exec_lo
                                        ; implicit-def: $sgpr13
	ds_load_b32 v33, v32
	s_waitcnt lgkmcnt(0)
	v_cmpx_ne_u32_e64 v33, v40
	s_xor_b32 s11, exec_lo, s11
	s_cbranch_execz .LBB187_49
; %bb.40:                               ;   in Loop: Header=BB187_39 Depth=3
	s_mov_b32 s14, exec_lo
                                        ; implicit-def: $sgpr13
	v_cmpx_ne_u32_e64 s6, v33
	s_xor_b32 s14, exec_lo, s14
; %bb.41:                               ;   in Loop: Header=BB187_39 Depth=3
	v_add_nc_u32_e32 v32, 1, v42
	s_mov_b32 s13, -1
	s_delay_alu instid0(VALU_DEP_1)
	v_and_b32_e32 v42, 7, v32
                                        ; implicit-def: $vgpr32
; %bb.42:                               ;   in Loop: Header=BB187_39 Depth=3
	s_and_not1_saveexec_b32 s14, s14
	s_cbranch_execz .LBB187_48
; %bb.43:                               ;   in Loop: Header=BB187_39 Depth=3
	v_mov_b32_e32 v33, s6
	s_mov_b32 s24, -1
	s_mov_b32 s15, exec_lo
	ds_cmpstore_rtn_b32 v32, v32, v40, v33
	s_waitcnt lgkmcnt(0)
	v_cmpx_eq_u32_e64 s6, v32
	s_cbranch_execz .LBB187_47
; %bb.44:                               ;   in Loop: Header=BB187_39 Depth=3
	v_lshl_add_u32 v43, v42, 5, v37
	s_mov_b32 s24, 0
	ds_load_b64 v[32:33], v43
.LBB187_45:                             ;   Parent Loop BB187_18 Depth=1
                                        ;     Parent Loop BB187_21 Depth=2
                                        ;       Parent Loop BB187_39 Depth=3
                                        ; =>      This Inner Loop Header: Depth=4
	s_waitcnt lgkmcnt(0)
	v_add_f64 v[44:45], v[32:33], v[30:31]
	ds_cmpstore_rtn_b64 v[44:45], v43, v[44:45], v[32:33]
	s_waitcnt lgkmcnt(0)
	v_cmp_eq_u64_e32 vcc_lo, v[44:45], v[32:33]
	v_dual_mov_b32 v32, v44 :: v_dual_mov_b32 v33, v45
	s_or_b32 s24, vcc_lo, s24
	s_delay_alu instid0(SALU_CYCLE_1)
	s_and_not1_b32 exec_lo, exec_lo, s24
	s_cbranch_execnz .LBB187_45
; %bb.46:                               ;   in Loop: Header=BB187_39 Depth=3
	s_or_b32 exec_lo, exec_lo, s24
	s_delay_alu instid0(SALU_CYCLE_1)
	s_xor_b32 s24, exec_lo, -1
.LBB187_47:                             ;   in Loop: Header=BB187_39 Depth=3
	s_or_b32 exec_lo, exec_lo, s15
	s_delay_alu instid0(SALU_CYCLE_1) | instskip(SKIP_1) | instid1(SALU_CYCLE_1)
	s_and_not1_b32 s13, s13, exec_lo
	s_and_b32 s15, s24, exec_lo
	s_or_b32 s13, s13, s15
.LBB187_48:                             ;   in Loop: Header=BB187_39 Depth=3
	s_or_b32 exec_lo, exec_lo, s14
	s_delay_alu instid0(SALU_CYCLE_1)
	s_and_b32 s13, s13, exec_lo
.LBB187_49:                             ;   in Loop: Header=BB187_39 Depth=3
	s_and_not1_saveexec_b32 s11, s11
	s_cbranch_execz .LBB187_38
; %bb.50:                               ;   in Loop: Header=BB187_39 Depth=3
	v_lshl_add_u32 v43, v42, 5, v37
	s_mov_b32 s14, 0
	ds_load_b64 v[32:33], v43
.LBB187_51:                             ;   Parent Loop BB187_18 Depth=1
                                        ;     Parent Loop BB187_21 Depth=2
                                        ;       Parent Loop BB187_39 Depth=3
                                        ; =>      This Inner Loop Header: Depth=4
	s_waitcnt lgkmcnt(0)
	v_add_f64 v[44:45], v[32:33], v[30:31]
	ds_cmpstore_rtn_b64 v[44:45], v43, v[44:45], v[32:33]
	s_waitcnt lgkmcnt(0)
	v_cmp_eq_u64_e32 vcc_lo, v[44:45], v[32:33]
	v_dual_mov_b32 v32, v44 :: v_dual_mov_b32 v33, v45
	s_or_b32 s14, vcc_lo, s14
	s_delay_alu instid0(SALU_CYCLE_1)
	s_and_not1_b32 exec_lo, exec_lo, s14
	s_cbranch_execnz .LBB187_51
; %bb.52:                               ;   in Loop: Header=BB187_39 Depth=3
	s_or_b32 exec_lo, exec_lo, s14
	s_delay_alu instid0(SALU_CYCLE_1)
	s_and_not1_b32 s13, s13, exec_lo
	s_branch .LBB187_38
.LBB187_53:                             ;   in Loop: Header=BB187_21 Depth=2
	s_or_b32 exec_lo, exec_lo, s10
	v_mul_f64 v[26:27], v[14:15], v[26:27]
	v_mov_b32_e32 v30, v41
	s_mov_b32 s10, 0
	s_delay_alu instid0(VALU_DEP_2)
	v_fma_f64 v[26:27], v[16:17], v[28:29], v[26:27]
	s_branch .LBB187_55
.LBB187_54:                             ;   in Loop: Header=BB187_55 Depth=3
	s_or_b32 exec_lo, exec_lo, s11
	s_xor_b32 s11, s13, -1
	s_delay_alu instid0(SALU_CYCLE_1) | instskip(NEXT) | instid1(SALU_CYCLE_1)
	s_and_b32 s11, exec_lo, s11
	s_or_b32 s10, s11, s10
	s_delay_alu instid0(SALU_CYCLE_1)
	s_and_not1_b32 exec_lo, exec_lo, s10
	s_cbranch_execz .LBB187_69
.LBB187_55:                             ;   Parent Loop BB187_18 Depth=1
                                        ;     Parent Loop BB187_21 Depth=2
                                        ; =>    This Loop Header: Depth=3
                                        ;         Child Loop BB187_61 Depth 4
                                        ;         Child Loop BB187_67 Depth 4
	s_delay_alu instid0(VALU_DEP_2)
	v_lshl_add_u32 v28, v30, 2, v34
	s_mov_b32 s11, exec_lo
                                        ; implicit-def: $sgpr13
	ds_load_b32 v29, v28
	s_waitcnt lgkmcnt(0)
	v_cmpx_ne_u32_e64 v29, v40
	s_xor_b32 s11, exec_lo, s11
	s_cbranch_execz .LBB187_65
; %bb.56:                               ;   in Loop: Header=BB187_55 Depth=3
	s_mov_b32 s14, exec_lo
                                        ; implicit-def: $sgpr13
	v_cmpx_ne_u32_e64 s6, v29
	s_xor_b32 s14, exec_lo, s14
; %bb.57:                               ;   in Loop: Header=BB187_55 Depth=3
	v_add_nc_u32_e32 v28, 1, v30
	s_mov_b32 s13, -1
	s_delay_alu instid0(VALU_DEP_1)
	v_and_b32_e32 v30, 7, v28
                                        ; implicit-def: $vgpr28
; %bb.58:                               ;   in Loop: Header=BB187_55 Depth=3
	s_and_not1_saveexec_b32 s14, s14
	s_cbranch_execz .LBB187_64
; %bb.59:                               ;   in Loop: Header=BB187_55 Depth=3
	v_mov_b32_e32 v29, s6
	s_mov_b32 s24, -1
	s_mov_b32 s15, exec_lo
	ds_cmpstore_rtn_b32 v28, v28, v40, v29
	s_waitcnt lgkmcnt(0)
	v_cmpx_eq_u32_e64 s6, v28
	s_cbranch_execz .LBB187_63
; %bb.60:                               ;   in Loop: Header=BB187_55 Depth=3
	v_lshl_add_u32 v31, v30, 5, v38
	s_mov_b32 s24, 0
	ds_load_b64 v[28:29], v31
.LBB187_61:                             ;   Parent Loop BB187_18 Depth=1
                                        ;     Parent Loop BB187_21 Depth=2
                                        ;       Parent Loop BB187_55 Depth=3
                                        ; =>      This Inner Loop Header: Depth=4
	s_waitcnt lgkmcnt(0)
	v_add_f64 v[32:33], v[28:29], v[26:27]
	ds_cmpstore_rtn_b64 v[32:33], v31, v[32:33], v[28:29]
	s_waitcnt lgkmcnt(0)
	v_cmp_eq_u64_e32 vcc_lo, v[32:33], v[28:29]
	v_dual_mov_b32 v28, v32 :: v_dual_mov_b32 v29, v33
	s_or_b32 s24, vcc_lo, s24
	s_delay_alu instid0(SALU_CYCLE_1)
	s_and_not1_b32 exec_lo, exec_lo, s24
	s_cbranch_execnz .LBB187_61
; %bb.62:                               ;   in Loop: Header=BB187_55 Depth=3
	s_or_b32 exec_lo, exec_lo, s24
	s_delay_alu instid0(SALU_CYCLE_1)
	s_xor_b32 s24, exec_lo, -1
.LBB187_63:                             ;   in Loop: Header=BB187_55 Depth=3
	s_or_b32 exec_lo, exec_lo, s15
	s_delay_alu instid0(SALU_CYCLE_1) | instskip(SKIP_1) | instid1(SALU_CYCLE_1)
	s_and_not1_b32 s13, s13, exec_lo
	s_and_b32 s15, s24, exec_lo
	s_or_b32 s13, s13, s15
.LBB187_64:                             ;   in Loop: Header=BB187_55 Depth=3
	s_or_b32 exec_lo, exec_lo, s14
	s_delay_alu instid0(SALU_CYCLE_1)
	s_and_b32 s13, s13, exec_lo
.LBB187_65:                             ;   in Loop: Header=BB187_55 Depth=3
	s_and_not1_saveexec_b32 s11, s11
	s_cbranch_execz .LBB187_54
; %bb.66:                               ;   in Loop: Header=BB187_55 Depth=3
	v_lshl_add_u32 v31, v30, 5, v38
	s_mov_b32 s14, 0
	ds_load_b64 v[28:29], v31
.LBB187_67:                             ;   Parent Loop BB187_18 Depth=1
                                        ;     Parent Loop BB187_21 Depth=2
                                        ;       Parent Loop BB187_55 Depth=3
                                        ; =>      This Inner Loop Header: Depth=4
	s_waitcnt lgkmcnt(0)
	v_add_f64 v[32:33], v[28:29], v[26:27]
	ds_cmpstore_rtn_b64 v[32:33], v31, v[32:33], v[28:29]
	s_waitcnt lgkmcnt(0)
	v_cmp_eq_u64_e32 vcc_lo, v[32:33], v[28:29]
	v_dual_mov_b32 v28, v32 :: v_dual_mov_b32 v29, v33
	s_or_b32 s14, vcc_lo, s14
	s_delay_alu instid0(SALU_CYCLE_1)
	s_and_not1_b32 exec_lo, exec_lo, s14
	s_cbranch_execnz .LBB187_67
; %bb.68:                               ;   in Loop: Header=BB187_55 Depth=3
	s_or_b32 exec_lo, exec_lo, s14
	s_delay_alu instid0(SALU_CYCLE_1)
	s_and_not1_b32 s13, s13, exec_lo
	s_branch .LBB187_54
.LBB187_69:                             ;   in Loop: Header=BB187_21 Depth=2
	s_or_b32 exec_lo, exec_lo, s10
	v_mul_f64 v[24:25], v[14:15], v[24:25]
	s_mov_b32 s10, 0
	s_delay_alu instid0(VALU_DEP_1)
	v_fma_f64 v[22:23], v[16:17], v[22:23], v[24:25]
	s_branch .LBB187_71
.LBB187_70:                             ;   in Loop: Header=BB187_71 Depth=3
	s_or_b32 exec_lo, exec_lo, s11
	s_xor_b32 s11, s13, -1
	s_delay_alu instid0(SALU_CYCLE_1) | instskip(NEXT) | instid1(SALU_CYCLE_1)
	s_and_b32 s11, exec_lo, s11
	s_or_b32 s10, s11, s10
	s_delay_alu instid0(SALU_CYCLE_1)
	s_and_not1_b32 exec_lo, exec_lo, s10
	s_cbranch_execz .LBB187_20
.LBB187_71:                             ;   Parent Loop BB187_18 Depth=1
                                        ;     Parent Loop BB187_21 Depth=2
                                        ; =>    This Loop Header: Depth=3
                                        ;         Child Loop BB187_77 Depth 4
                                        ;         Child Loop BB187_83 Depth 4
	v_lshl_add_u32 v24, v41, 2, v34
	s_mov_b32 s11, exec_lo
                                        ; implicit-def: $sgpr13
	ds_load_b32 v25, v24
	s_waitcnt lgkmcnt(0)
	v_cmpx_ne_u32_e64 v25, v40
	s_xor_b32 s11, exec_lo, s11
	s_cbranch_execz .LBB187_81
; %bb.72:                               ;   in Loop: Header=BB187_71 Depth=3
	s_mov_b32 s14, exec_lo
                                        ; implicit-def: $sgpr13
	v_cmpx_ne_u32_e64 s6, v25
	s_xor_b32 s14, exec_lo, s14
; %bb.73:                               ;   in Loop: Header=BB187_71 Depth=3
	v_add_nc_u32_e32 v24, 1, v41
	s_mov_b32 s13, -1
	s_delay_alu instid0(VALU_DEP_1)
	v_and_b32_e32 v41, 7, v24
                                        ; implicit-def: $vgpr24
; %bb.74:                               ;   in Loop: Header=BB187_71 Depth=3
	s_and_not1_saveexec_b32 s14, s14
	s_cbranch_execz .LBB187_80
; %bb.75:                               ;   in Loop: Header=BB187_71 Depth=3
	v_mov_b32_e32 v25, s6
	s_mov_b32 s24, -1
	s_mov_b32 s15, exec_lo
	ds_cmpstore_rtn_b32 v24, v24, v40, v25
	s_waitcnt lgkmcnt(0)
	v_cmpx_eq_u32_e64 s6, v24
	s_cbranch_execz .LBB187_79
; %bb.76:                               ;   in Loop: Header=BB187_71 Depth=3
	v_lshl_add_u32 v26, v41, 5, v39
	s_mov_b32 s24, 0
	ds_load_b64 v[24:25], v26
.LBB187_77:                             ;   Parent Loop BB187_18 Depth=1
                                        ;     Parent Loop BB187_21 Depth=2
                                        ;       Parent Loop BB187_71 Depth=3
                                        ; =>      This Inner Loop Header: Depth=4
	s_waitcnt lgkmcnt(0)
	v_add_f64 v[27:28], v[24:25], v[22:23]
	ds_cmpstore_rtn_b64 v[27:28], v26, v[27:28], v[24:25]
	s_waitcnt lgkmcnt(0)
	v_cmp_eq_u64_e32 vcc_lo, v[27:28], v[24:25]
	v_dual_mov_b32 v24, v27 :: v_dual_mov_b32 v25, v28
	s_or_b32 s24, vcc_lo, s24
	s_delay_alu instid0(SALU_CYCLE_1)
	s_and_not1_b32 exec_lo, exec_lo, s24
	s_cbranch_execnz .LBB187_77
; %bb.78:                               ;   in Loop: Header=BB187_71 Depth=3
	s_or_b32 exec_lo, exec_lo, s24
	s_delay_alu instid0(SALU_CYCLE_1)
	s_xor_b32 s24, exec_lo, -1
.LBB187_79:                             ;   in Loop: Header=BB187_71 Depth=3
	s_or_b32 exec_lo, exec_lo, s15
	s_delay_alu instid0(SALU_CYCLE_1) | instskip(SKIP_1) | instid1(SALU_CYCLE_1)
	s_and_not1_b32 s13, s13, exec_lo
	s_and_b32 s15, s24, exec_lo
	s_or_b32 s13, s13, s15
.LBB187_80:                             ;   in Loop: Header=BB187_71 Depth=3
	s_or_b32 exec_lo, exec_lo, s14
	s_delay_alu instid0(SALU_CYCLE_1)
	s_and_b32 s13, s13, exec_lo
.LBB187_81:                             ;   in Loop: Header=BB187_71 Depth=3
	s_and_not1_saveexec_b32 s11, s11
	s_cbranch_execz .LBB187_70
; %bb.82:                               ;   in Loop: Header=BB187_71 Depth=3
	v_lshl_add_u32 v26, v41, 5, v39
	s_mov_b32 s14, 0
	ds_load_b64 v[24:25], v26
.LBB187_83:                             ;   Parent Loop BB187_18 Depth=1
                                        ;     Parent Loop BB187_21 Depth=2
                                        ;       Parent Loop BB187_71 Depth=3
                                        ; =>      This Inner Loop Header: Depth=4
	s_waitcnt lgkmcnt(0)
	v_add_f64 v[27:28], v[24:25], v[22:23]
	ds_cmpstore_rtn_b64 v[27:28], v26, v[27:28], v[24:25]
	s_waitcnt lgkmcnt(0)
	v_cmp_eq_u64_e32 vcc_lo, v[27:28], v[24:25]
	v_dual_mov_b32 v24, v27 :: v_dual_mov_b32 v25, v28
	s_or_b32 s14, vcc_lo, s14
	s_delay_alu instid0(SALU_CYCLE_1)
	s_and_not1_b32 exec_lo, exec_lo, s14
	s_cbranch_execnz .LBB187_83
; %bb.84:                               ;   in Loop: Header=BB187_71 Depth=3
	s_or_b32 exec_lo, exec_lo, s14
	s_delay_alu instid0(SALU_CYCLE_1)
	s_and_not1_b32 s13, s13, exec_lo
	s_branch .LBB187_70
.LBB187_85:
	s_or_b32 exec_lo, exec_lo, s1
	s_delay_alu instid0(SALU_CYCLE_1)
	s_and_not1_b32 vcc_lo, exec_lo, s12
	buffer_gl0_inv
	s_cbranch_vccnz .LBB187_13
.LBB187_86:
	v_lshlrev_b64 v[0:1], 3, v[6:7]
	v_sub_co_u32 v2, s1, v35, s39
	s_delay_alu instid0(VALU_DEP_1) | instskip(SKIP_1) | instid1(VALU_DEP_3)
	v_sub_co_ci_u32_e64 v3, null, 0, 0, s1
	s_mov_b32 s2, 0
	v_add_co_u32 v0, vcc_lo, s16, v0
	s_delay_alu instid0(VALU_DEP_4)
	v_add_co_ci_u32_e32 v1, vcc_lo, s17, v1, vcc_lo
	s_mov_b32 s1, exec_lo
	global_load_b128 v[8:11], v[0:1], off
	s_waitcnt vmcnt(0)
	v_sub_co_u32 v0, vcc_lo, v10, s39
	v_subrev_co_ci_u32_e32 v1, vcc_lo, 0, v11, vcc_lo
	v_add_co_u32 v2, vcc_lo, v8, v2
	v_add_co_ci_u32_e32 v3, vcc_lo, v9, v3, vcc_lo
	s_delay_alu instid0(VALU_DEP_1)
	v_cmpx_lt_i64_e64 v[2:3], v[0:1]
	s_cbranch_execz .LBB187_153
; %bb.87:
	v_add_nc_u32_e32 v18, 8, v36
	v_add_nc_u32_e32 v19, 16, v36
	;; [unrolled: 1-line block ×3, first 2 shown]
	s_cmp_eq_u32 s4, 0
	s_cselect_b32 s3, 1, 2
	s_cselect_b32 s5, 2, 1
	s_branch .LBB187_89
.LBB187_88:                             ;   in Loop: Header=BB187_89 Depth=1
	s_or_b32 exec_lo, exec_lo, s7
	v_add_co_u32 v2, vcc_lo, v2, 16
	v_add_co_ci_u32_e32 v3, vcc_lo, 0, v3, vcc_lo
	s_delay_alu instid0(VALU_DEP_1) | instskip(SKIP_1) | instid1(SALU_CYCLE_1)
	v_cmp_ge_i64_e32 vcc_lo, v[2:3], v[0:1]
	s_or_b32 s2, vcc_lo, s2
	s_and_not1_b32 exec_lo, exec_lo, s2
	s_cbranch_execz .LBB187_153
.LBB187_89:                             ; =>This Loop Header: Depth=1
                                        ;     Child Loop BB187_91 Depth 2
                                        ;       Child Loop BB187_97 Depth 3
                                        ;       Child Loop BB187_103 Depth 3
                                        ;     Child Loop BB187_107 Depth 2
                                        ;       Child Loop BB187_113 Depth 3
                                        ;       Child Loop BB187_119 Depth 3
	;; [unrolled: 3-line block ×4, first 2 shown]
	v_lshlrev_b64 v[8:9], 5, v[2:3]
	v_lshlrev_b64 v[10:11], 2, v[2:3]
	s_mov_b32 s7, 0
	s_delay_alu instid0(VALU_DEP_2) | instskip(NEXT) | instid1(VALU_DEP_3)
	v_add_co_u32 v8, vcc_lo, s20, v8
	v_add_co_ci_u32_e32 v9, vcc_lo, s21, v9, vcc_lo
	s_delay_alu instid0(VALU_DEP_3) | instskip(NEXT) | instid1(VALU_DEP_4)
	v_add_co_u32 v21, vcc_lo, s18, v10
	v_or_b32_e32 v17, 0, v11
	global_load_b64 v[14:15], v[8:9], off
	v_or_b32_e32 v16, s5, v10
	v_add_co_ci_u32_e32 v22, vcc_lo, s19, v11, vcc_lo
	v_or_b32_e32 v12, 0, v11
	v_or_b32_e32 v11, s3, v10
	s_delay_alu instid0(VALU_DEP_4) | instskip(SKIP_4) | instid1(VALU_DEP_3)
	v_lshlrev_b64 v[16:17], 3, v[16:17]
	global_load_b32 v21, v[21:22], off
	v_lshlrev_b64 v[10:11], 3, v[11:12]
	v_add_co_u32 v12, vcc_lo, s20, v16
	v_add_co_ci_u32_e32 v13, vcc_lo, s21, v17, vcc_lo
	v_add_co_u32 v16, vcc_lo, s20, v10
	s_delay_alu instid0(VALU_DEP_4)
	v_add_co_ci_u32_e32 v17, vcc_lo, s21, v11, vcc_lo
	s_clause 0x2
	global_load_b64 v[10:11], v[12:13], off
	global_load_b64 v[12:13], v[16:17], off
	global_load_b64 v[8:9], v[8:9], off offset:24
	s_waitcnt vmcnt(4)
	v_mul_f64 v[14:15], v[4:5], v[14:15]
	s_waitcnt vmcnt(3)
	v_subrev_nc_u32_e32 v21, s39, v21
	s_delay_alu instid0(VALU_DEP_1) | instskip(NEXT) | instid1(VALU_DEP_1)
	v_and_b32_e32 v22, 7, v21
	v_mov_b32_e32 v23, v22
	s_branch .LBB187_91
.LBB187_90:                             ;   in Loop: Header=BB187_91 Depth=2
	s_or_b32 exec_lo, exec_lo, s8
	s_xor_b32 s8, s9, -1
	s_delay_alu instid0(SALU_CYCLE_1) | instskip(NEXT) | instid1(SALU_CYCLE_1)
	s_and_b32 s8, exec_lo, s8
	s_or_b32 s7, s8, s7
	s_delay_alu instid0(SALU_CYCLE_1)
	s_and_not1_b32 exec_lo, exec_lo, s7
	s_cbranch_execz .LBB187_105
.LBB187_91:                             ;   Parent Loop BB187_89 Depth=1
                                        ; =>  This Loop Header: Depth=2
                                        ;       Child Loop BB187_97 Depth 3
                                        ;       Child Loop BB187_103 Depth 3
	s_delay_alu instid0(VALU_DEP_1)
	v_lshl_add_u32 v16, v23, 2, v34
	s_mov_b32 s8, exec_lo
                                        ; implicit-def: $sgpr9
	ds_load_b32 v17, v16
	s_waitcnt lgkmcnt(0)
	v_cmpx_ne_u32_e64 v17, v21
	s_xor_b32 s8, exec_lo, s8
	s_cbranch_execz .LBB187_101
; %bb.92:                               ;   in Loop: Header=BB187_91 Depth=2
	s_mov_b32 s10, exec_lo
                                        ; implicit-def: $sgpr9
	v_cmpx_ne_u32_e64 s6, v17
	s_xor_b32 s10, exec_lo, s10
; %bb.93:                               ;   in Loop: Header=BB187_91 Depth=2
	v_add_nc_u32_e32 v16, 1, v23
	s_mov_b32 s9, -1
	s_delay_alu instid0(VALU_DEP_1)
	v_and_b32_e32 v23, 7, v16
                                        ; implicit-def: $vgpr16
; %bb.94:                               ;   in Loop: Header=BB187_91 Depth=2
	s_and_not1_saveexec_b32 s10, s10
	s_cbranch_execz .LBB187_100
; %bb.95:                               ;   in Loop: Header=BB187_91 Depth=2
	v_mov_b32_e32 v17, s6
	s_mov_b32 s12, -1
	s_mov_b32 s11, exec_lo
	ds_cmpstore_rtn_b32 v16, v16, v21, v17
	s_waitcnt lgkmcnt(0)
	v_cmpx_eq_u32_e64 s6, v16
	s_cbranch_execz .LBB187_99
; %bb.96:                               ;   in Loop: Header=BB187_91 Depth=2
	v_lshlrev_b32_e32 v16, 5, v23
	s_mov_b32 s12, 0
	s_delay_alu instid0(VALU_DEP_1)
	v_add_nc_u32_e32 v24, v36, v16
	ds_load_b64 v[16:17], v24
.LBB187_97:                             ;   Parent Loop BB187_89 Depth=1
                                        ;     Parent Loop BB187_91 Depth=2
                                        ; =>    This Inner Loop Header: Depth=3
	s_waitcnt lgkmcnt(0)
	v_add_f64 v[25:26], v[16:17], v[14:15]
	ds_cmpstore_rtn_b64 v[25:26], v24, v[25:26], v[16:17]
	s_waitcnt lgkmcnt(0)
	v_cmp_eq_u64_e32 vcc_lo, v[25:26], v[16:17]
	v_dual_mov_b32 v16, v25 :: v_dual_mov_b32 v17, v26
	s_or_b32 s12, vcc_lo, s12
	s_delay_alu instid0(SALU_CYCLE_1)
	s_and_not1_b32 exec_lo, exec_lo, s12
	s_cbranch_execnz .LBB187_97
; %bb.98:                               ;   in Loop: Header=BB187_91 Depth=2
	s_or_b32 exec_lo, exec_lo, s12
	s_delay_alu instid0(SALU_CYCLE_1)
	s_xor_b32 s12, exec_lo, -1
.LBB187_99:                             ;   in Loop: Header=BB187_91 Depth=2
	s_or_b32 exec_lo, exec_lo, s11
	s_delay_alu instid0(SALU_CYCLE_1) | instskip(SKIP_1) | instid1(SALU_CYCLE_1)
	s_and_not1_b32 s9, s9, exec_lo
	s_and_b32 s11, s12, exec_lo
	s_or_b32 s9, s9, s11
.LBB187_100:                            ;   in Loop: Header=BB187_91 Depth=2
	s_or_b32 exec_lo, exec_lo, s10
	s_delay_alu instid0(SALU_CYCLE_1)
	s_and_b32 s9, s9, exec_lo
.LBB187_101:                            ;   in Loop: Header=BB187_91 Depth=2
	s_and_not1_saveexec_b32 s8, s8
	s_cbranch_execz .LBB187_90
; %bb.102:                              ;   in Loop: Header=BB187_91 Depth=2
	v_lshlrev_b32_e32 v16, 5, v23
	s_mov_b32 s10, 0
	s_delay_alu instid0(VALU_DEP_1)
	v_add_nc_u32_e32 v24, v36, v16
	ds_load_b64 v[16:17], v24
.LBB187_103:                            ;   Parent Loop BB187_89 Depth=1
                                        ;     Parent Loop BB187_91 Depth=2
                                        ; =>    This Inner Loop Header: Depth=3
	s_waitcnt lgkmcnt(0)
	v_add_f64 v[25:26], v[16:17], v[14:15]
	ds_cmpstore_rtn_b64 v[25:26], v24, v[25:26], v[16:17]
	s_waitcnt lgkmcnt(0)
	v_cmp_eq_u64_e32 vcc_lo, v[25:26], v[16:17]
	v_dual_mov_b32 v16, v25 :: v_dual_mov_b32 v17, v26
	s_or_b32 s10, vcc_lo, s10
	s_delay_alu instid0(SALU_CYCLE_1)
	s_and_not1_b32 exec_lo, exec_lo, s10
	s_cbranch_execnz .LBB187_103
; %bb.104:                              ;   in Loop: Header=BB187_91 Depth=2
	s_or_b32 exec_lo, exec_lo, s10
	s_delay_alu instid0(SALU_CYCLE_1)
	s_and_not1_b32 s9, s9, exec_lo
	s_branch .LBB187_90
.LBB187_105:                            ;   in Loop: Header=BB187_89 Depth=1
	s_or_b32 exec_lo, exec_lo, s7
	s_waitcnt vmcnt(1)
	v_mul_f64 v[12:13], v[4:5], v[12:13]
	v_mov_b32_e32 v16, v22
	s_mov_b32 s7, 0
	s_branch .LBB187_107
.LBB187_106:                            ;   in Loop: Header=BB187_107 Depth=2
	s_or_b32 exec_lo, exec_lo, s8
	s_xor_b32 s8, s9, -1
	s_delay_alu instid0(SALU_CYCLE_1) | instskip(NEXT) | instid1(SALU_CYCLE_1)
	s_and_b32 s8, exec_lo, s8
	s_or_b32 s7, s8, s7
	s_delay_alu instid0(SALU_CYCLE_1)
	s_and_not1_b32 exec_lo, exec_lo, s7
	s_cbranch_execz .LBB187_121
.LBB187_107:                            ;   Parent Loop BB187_89 Depth=1
                                        ; =>  This Loop Header: Depth=2
                                        ;       Child Loop BB187_113 Depth 3
                                        ;       Child Loop BB187_119 Depth 3
	s_delay_alu instid0(VALU_DEP_1)
	v_lshl_add_u32 v14, v16, 2, v34
	s_mov_b32 s8, exec_lo
                                        ; implicit-def: $sgpr9
	ds_load_b32 v15, v14
	s_waitcnt lgkmcnt(0)
	v_cmpx_ne_u32_e64 v15, v21
	s_xor_b32 s8, exec_lo, s8
	s_cbranch_execz .LBB187_117
; %bb.108:                              ;   in Loop: Header=BB187_107 Depth=2
	s_mov_b32 s10, exec_lo
                                        ; implicit-def: $sgpr9
	v_cmpx_ne_u32_e64 s6, v15
	s_xor_b32 s10, exec_lo, s10
; %bb.109:                              ;   in Loop: Header=BB187_107 Depth=2
	v_add_nc_u32_e32 v14, 1, v16
	s_mov_b32 s9, -1
	s_delay_alu instid0(VALU_DEP_1)
	v_and_b32_e32 v16, 7, v14
                                        ; implicit-def: $vgpr14
; %bb.110:                              ;   in Loop: Header=BB187_107 Depth=2
	s_and_not1_saveexec_b32 s10, s10
	s_cbranch_execz .LBB187_116
; %bb.111:                              ;   in Loop: Header=BB187_107 Depth=2
	v_mov_b32_e32 v15, s6
	s_mov_b32 s12, -1
	s_mov_b32 s11, exec_lo
	ds_cmpstore_rtn_b32 v14, v14, v21, v15
	s_waitcnt lgkmcnt(0)
	v_cmpx_eq_u32_e64 s6, v14
	s_cbranch_execz .LBB187_115
; %bb.112:                              ;   in Loop: Header=BB187_107 Depth=2
	v_lshl_add_u32 v17, v16, 5, v18
	s_mov_b32 s12, 0
	ds_load_b64 v[14:15], v17
.LBB187_113:                            ;   Parent Loop BB187_89 Depth=1
                                        ;     Parent Loop BB187_107 Depth=2
                                        ; =>    This Inner Loop Header: Depth=3
	s_waitcnt lgkmcnt(0)
	v_add_f64 v[23:24], v[14:15], v[12:13]
	ds_cmpstore_rtn_b64 v[23:24], v17, v[23:24], v[14:15]
	s_waitcnt lgkmcnt(0)
	v_cmp_eq_u64_e32 vcc_lo, v[23:24], v[14:15]
	v_dual_mov_b32 v14, v23 :: v_dual_mov_b32 v15, v24
	s_or_b32 s12, vcc_lo, s12
	s_delay_alu instid0(SALU_CYCLE_1)
	s_and_not1_b32 exec_lo, exec_lo, s12
	s_cbranch_execnz .LBB187_113
; %bb.114:                              ;   in Loop: Header=BB187_107 Depth=2
	s_or_b32 exec_lo, exec_lo, s12
	s_delay_alu instid0(SALU_CYCLE_1)
	s_xor_b32 s12, exec_lo, -1
.LBB187_115:                            ;   in Loop: Header=BB187_107 Depth=2
	s_or_b32 exec_lo, exec_lo, s11
	s_delay_alu instid0(SALU_CYCLE_1) | instskip(SKIP_1) | instid1(SALU_CYCLE_1)
	s_and_not1_b32 s9, s9, exec_lo
	s_and_b32 s11, s12, exec_lo
	s_or_b32 s9, s9, s11
.LBB187_116:                            ;   in Loop: Header=BB187_107 Depth=2
	s_or_b32 exec_lo, exec_lo, s10
	s_delay_alu instid0(SALU_CYCLE_1)
	s_and_b32 s9, s9, exec_lo
.LBB187_117:                            ;   in Loop: Header=BB187_107 Depth=2
	s_and_not1_saveexec_b32 s8, s8
	s_cbranch_execz .LBB187_106
; %bb.118:                              ;   in Loop: Header=BB187_107 Depth=2
	v_lshl_add_u32 v17, v16, 5, v18
	s_mov_b32 s10, 0
	ds_load_b64 v[14:15], v17
.LBB187_119:                            ;   Parent Loop BB187_89 Depth=1
                                        ;     Parent Loop BB187_107 Depth=2
                                        ; =>    This Inner Loop Header: Depth=3
	s_waitcnt lgkmcnt(0)
	v_add_f64 v[23:24], v[14:15], v[12:13]
	ds_cmpstore_rtn_b64 v[23:24], v17, v[23:24], v[14:15]
	s_waitcnt lgkmcnt(0)
	v_cmp_eq_u64_e32 vcc_lo, v[23:24], v[14:15]
	v_dual_mov_b32 v14, v23 :: v_dual_mov_b32 v15, v24
	s_or_b32 s10, vcc_lo, s10
	s_delay_alu instid0(SALU_CYCLE_1)
	s_and_not1_b32 exec_lo, exec_lo, s10
	s_cbranch_execnz .LBB187_119
; %bb.120:                              ;   in Loop: Header=BB187_107 Depth=2
	s_or_b32 exec_lo, exec_lo, s10
	s_delay_alu instid0(SALU_CYCLE_1)
	s_and_not1_b32 s9, s9, exec_lo
	s_branch .LBB187_106
.LBB187_121:                            ;   in Loop: Header=BB187_89 Depth=1
	s_or_b32 exec_lo, exec_lo, s7
	v_mul_f64 v[10:11], v[4:5], v[10:11]
	v_mov_b32_e32 v14, v22
	s_mov_b32 s7, 0
	s_branch .LBB187_123
.LBB187_122:                            ;   in Loop: Header=BB187_123 Depth=2
	s_or_b32 exec_lo, exec_lo, s8
	s_xor_b32 s8, s9, -1
	s_delay_alu instid0(SALU_CYCLE_1) | instskip(NEXT) | instid1(SALU_CYCLE_1)
	s_and_b32 s8, exec_lo, s8
	s_or_b32 s7, s8, s7
	s_delay_alu instid0(SALU_CYCLE_1)
	s_and_not1_b32 exec_lo, exec_lo, s7
	s_cbranch_execz .LBB187_137
.LBB187_123:                            ;   Parent Loop BB187_89 Depth=1
                                        ; =>  This Loop Header: Depth=2
                                        ;       Child Loop BB187_129 Depth 3
                                        ;       Child Loop BB187_135 Depth 3
	s_delay_alu instid0(VALU_DEP_1)
	v_lshl_add_u32 v12, v14, 2, v34
	s_mov_b32 s8, exec_lo
                                        ; implicit-def: $sgpr9
	ds_load_b32 v13, v12
	s_waitcnt lgkmcnt(0)
	v_cmpx_ne_u32_e64 v13, v21
	s_xor_b32 s8, exec_lo, s8
	s_cbranch_execz .LBB187_133
; %bb.124:                              ;   in Loop: Header=BB187_123 Depth=2
	s_mov_b32 s10, exec_lo
                                        ; implicit-def: $sgpr9
	v_cmpx_ne_u32_e64 s6, v13
	s_xor_b32 s10, exec_lo, s10
; %bb.125:                              ;   in Loop: Header=BB187_123 Depth=2
	v_add_nc_u32_e32 v12, 1, v14
	s_mov_b32 s9, -1
	s_delay_alu instid0(VALU_DEP_1)
	v_and_b32_e32 v14, 7, v12
                                        ; implicit-def: $vgpr12
; %bb.126:                              ;   in Loop: Header=BB187_123 Depth=2
	s_and_not1_saveexec_b32 s10, s10
	s_cbranch_execz .LBB187_132
; %bb.127:                              ;   in Loop: Header=BB187_123 Depth=2
	v_mov_b32_e32 v13, s6
	s_mov_b32 s12, -1
	s_mov_b32 s11, exec_lo
	ds_cmpstore_rtn_b32 v12, v12, v21, v13
	s_waitcnt lgkmcnt(0)
	v_cmpx_eq_u32_e64 s6, v12
	s_cbranch_execz .LBB187_131
; %bb.128:                              ;   in Loop: Header=BB187_123 Depth=2
	v_lshl_add_u32 v15, v14, 5, v19
	s_mov_b32 s12, 0
	ds_load_b64 v[12:13], v15
.LBB187_129:                            ;   Parent Loop BB187_89 Depth=1
                                        ;     Parent Loop BB187_123 Depth=2
                                        ; =>    This Inner Loop Header: Depth=3
	s_waitcnt lgkmcnt(0)
	v_add_f64 v[16:17], v[12:13], v[10:11]
	ds_cmpstore_rtn_b64 v[16:17], v15, v[16:17], v[12:13]
	s_waitcnt lgkmcnt(0)
	v_cmp_eq_u64_e32 vcc_lo, v[16:17], v[12:13]
	v_dual_mov_b32 v12, v16 :: v_dual_mov_b32 v13, v17
	s_or_b32 s12, vcc_lo, s12
	s_delay_alu instid0(SALU_CYCLE_1)
	s_and_not1_b32 exec_lo, exec_lo, s12
	s_cbranch_execnz .LBB187_129
; %bb.130:                              ;   in Loop: Header=BB187_123 Depth=2
	s_or_b32 exec_lo, exec_lo, s12
	s_delay_alu instid0(SALU_CYCLE_1)
	s_xor_b32 s12, exec_lo, -1
.LBB187_131:                            ;   in Loop: Header=BB187_123 Depth=2
	s_or_b32 exec_lo, exec_lo, s11
	s_delay_alu instid0(SALU_CYCLE_1) | instskip(SKIP_1) | instid1(SALU_CYCLE_1)
	s_and_not1_b32 s9, s9, exec_lo
	s_and_b32 s11, s12, exec_lo
	s_or_b32 s9, s9, s11
.LBB187_132:                            ;   in Loop: Header=BB187_123 Depth=2
	s_or_b32 exec_lo, exec_lo, s10
	s_delay_alu instid0(SALU_CYCLE_1)
	s_and_b32 s9, s9, exec_lo
.LBB187_133:                            ;   in Loop: Header=BB187_123 Depth=2
	s_and_not1_saveexec_b32 s8, s8
	s_cbranch_execz .LBB187_122
; %bb.134:                              ;   in Loop: Header=BB187_123 Depth=2
	v_lshl_add_u32 v15, v14, 5, v19
	s_mov_b32 s10, 0
	ds_load_b64 v[12:13], v15
.LBB187_135:                            ;   Parent Loop BB187_89 Depth=1
                                        ;     Parent Loop BB187_123 Depth=2
                                        ; =>    This Inner Loop Header: Depth=3
	s_waitcnt lgkmcnt(0)
	v_add_f64 v[16:17], v[12:13], v[10:11]
	ds_cmpstore_rtn_b64 v[16:17], v15, v[16:17], v[12:13]
	s_waitcnt lgkmcnt(0)
	v_cmp_eq_u64_e32 vcc_lo, v[16:17], v[12:13]
	v_dual_mov_b32 v12, v16 :: v_dual_mov_b32 v13, v17
	s_or_b32 s10, vcc_lo, s10
	s_delay_alu instid0(SALU_CYCLE_1)
	s_and_not1_b32 exec_lo, exec_lo, s10
	s_cbranch_execnz .LBB187_135
; %bb.136:                              ;   in Loop: Header=BB187_123 Depth=2
	s_or_b32 exec_lo, exec_lo, s10
	s_delay_alu instid0(SALU_CYCLE_1)
	s_and_not1_b32 s9, s9, exec_lo
	s_branch .LBB187_122
.LBB187_137:                            ;   in Loop: Header=BB187_89 Depth=1
	s_or_b32 exec_lo, exec_lo, s7
	s_waitcnt vmcnt(0)
	v_mul_f64 v[8:9], v[4:5], v[8:9]
	s_mov_b32 s7, 0
	s_branch .LBB187_139
.LBB187_138:                            ;   in Loop: Header=BB187_139 Depth=2
	s_or_b32 exec_lo, exec_lo, s8
	s_xor_b32 s8, s9, -1
	s_delay_alu instid0(SALU_CYCLE_1) | instskip(NEXT) | instid1(SALU_CYCLE_1)
	s_and_b32 s8, exec_lo, s8
	s_or_b32 s7, s8, s7
	s_delay_alu instid0(SALU_CYCLE_1)
	s_and_not1_b32 exec_lo, exec_lo, s7
	s_cbranch_execz .LBB187_88
.LBB187_139:                            ;   Parent Loop BB187_89 Depth=1
                                        ; =>  This Loop Header: Depth=2
                                        ;       Child Loop BB187_145 Depth 3
                                        ;       Child Loop BB187_151 Depth 3
	v_lshl_add_u32 v10, v22, 2, v34
	s_mov_b32 s8, exec_lo
                                        ; implicit-def: $sgpr9
	ds_load_b32 v11, v10
	s_waitcnt lgkmcnt(0)
	v_cmpx_ne_u32_e64 v11, v21
	s_xor_b32 s8, exec_lo, s8
	s_cbranch_execz .LBB187_149
; %bb.140:                              ;   in Loop: Header=BB187_139 Depth=2
	s_mov_b32 s10, exec_lo
                                        ; implicit-def: $sgpr9
	v_cmpx_ne_u32_e64 s6, v11
	s_xor_b32 s10, exec_lo, s10
; %bb.141:                              ;   in Loop: Header=BB187_139 Depth=2
	v_add_nc_u32_e32 v10, 1, v22
	s_mov_b32 s9, -1
	s_delay_alu instid0(VALU_DEP_1)
	v_and_b32_e32 v22, 7, v10
                                        ; implicit-def: $vgpr10
; %bb.142:                              ;   in Loop: Header=BB187_139 Depth=2
	s_and_not1_saveexec_b32 s10, s10
	s_cbranch_execz .LBB187_148
; %bb.143:                              ;   in Loop: Header=BB187_139 Depth=2
	v_mov_b32_e32 v11, s6
	s_mov_b32 s12, -1
	s_mov_b32 s11, exec_lo
	ds_cmpstore_rtn_b32 v10, v10, v21, v11
	s_waitcnt lgkmcnt(0)
	v_cmpx_eq_u32_e64 s6, v10
	s_cbranch_execz .LBB187_147
; %bb.144:                              ;   in Loop: Header=BB187_139 Depth=2
	v_lshl_add_u32 v12, v22, 5, v20
	s_mov_b32 s12, 0
	ds_load_b64 v[10:11], v12
.LBB187_145:                            ;   Parent Loop BB187_89 Depth=1
                                        ;     Parent Loop BB187_139 Depth=2
                                        ; =>    This Inner Loop Header: Depth=3
	s_waitcnt lgkmcnt(0)
	v_add_f64 v[13:14], v[10:11], v[8:9]
	ds_cmpstore_rtn_b64 v[13:14], v12, v[13:14], v[10:11]
	s_waitcnt lgkmcnt(0)
	v_cmp_eq_u64_e32 vcc_lo, v[13:14], v[10:11]
	v_dual_mov_b32 v10, v13 :: v_dual_mov_b32 v11, v14
	s_or_b32 s12, vcc_lo, s12
	s_delay_alu instid0(SALU_CYCLE_1)
	s_and_not1_b32 exec_lo, exec_lo, s12
	s_cbranch_execnz .LBB187_145
; %bb.146:                              ;   in Loop: Header=BB187_139 Depth=2
	s_or_b32 exec_lo, exec_lo, s12
	s_delay_alu instid0(SALU_CYCLE_1)
	s_xor_b32 s12, exec_lo, -1
.LBB187_147:                            ;   in Loop: Header=BB187_139 Depth=2
	s_or_b32 exec_lo, exec_lo, s11
	s_delay_alu instid0(SALU_CYCLE_1) | instskip(SKIP_1) | instid1(SALU_CYCLE_1)
	s_and_not1_b32 s9, s9, exec_lo
	s_and_b32 s11, s12, exec_lo
	s_or_b32 s9, s9, s11
.LBB187_148:                            ;   in Loop: Header=BB187_139 Depth=2
	s_or_b32 exec_lo, exec_lo, s10
	s_delay_alu instid0(SALU_CYCLE_1)
	s_and_b32 s9, s9, exec_lo
.LBB187_149:                            ;   in Loop: Header=BB187_139 Depth=2
	s_and_not1_saveexec_b32 s8, s8
	s_cbranch_execz .LBB187_138
; %bb.150:                              ;   in Loop: Header=BB187_139 Depth=2
	v_lshl_add_u32 v12, v22, 5, v20
	s_mov_b32 s10, 0
	ds_load_b64 v[10:11], v12
.LBB187_151:                            ;   Parent Loop BB187_89 Depth=1
                                        ;     Parent Loop BB187_139 Depth=2
                                        ; =>    This Inner Loop Header: Depth=3
	s_waitcnt lgkmcnt(0)
	v_add_f64 v[13:14], v[10:11], v[8:9]
	ds_cmpstore_rtn_b64 v[13:14], v12, v[13:14], v[10:11]
	s_waitcnt lgkmcnt(0)
	v_cmp_eq_u64_e32 vcc_lo, v[13:14], v[10:11]
	v_dual_mov_b32 v10, v13 :: v_dual_mov_b32 v11, v14
	s_or_b32 s10, vcc_lo, s10
	s_delay_alu instid0(SALU_CYCLE_1)
	s_and_not1_b32 exec_lo, exec_lo, s10
	s_cbranch_execnz .LBB187_151
; %bb.152:                              ;   in Loop: Header=BB187_139 Depth=2
	s_or_b32 exec_lo, exec_lo, s10
	s_delay_alu instid0(SALU_CYCLE_1)
	s_and_not1_b32 s9, s9, exec_lo
	s_branch .LBB187_138
.LBB187_153:
	s_or_b32 exec_lo, exec_lo, s1
	buffer_gl0_inv
	s_and_b32 exec_lo, exec_lo, s0
	s_cbranch_execz .LBB187_14
.LBB187_154:
	v_lshl_add_u32 v0, v35, 2, v34
	ds_load_b32 v0, v0
	s_waitcnt lgkmcnt(0)
	v_cmp_gt_i32_e32 vcc_lo, s6, v0
	s_and_b32 exec_lo, exec_lo, vcc_lo
	s_cbranch_execz .LBB187_14
; %bb.155:
	v_lshlrev_b64 v[1:2], 3, v[6:7]
	v_lshlrev_b32_e32 v5, 2, v35
	s_cmp_eq_u32 s4, 0
	v_lshl_add_u32 v9, v35, 5, v36
	s_cselect_b32 s0, 1, 2
	s_cselect_b32 s1, 2, 1
	v_add_co_u32 v1, vcc_lo, s22, v1
	v_add_co_ci_u32_e32 v2, vcc_lo, s23, v2, vcc_lo
	v_or_b32_e32 v15, s0, v5
	v_or_b32_e32 v16, s1, v5
	global_load_b64 v[13:14], v[1:2], off
	ds_load_b128 v[1:4], v34
	ds_load_b128 v[5:8], v34 offset:16
	ds_load_2addr_b64 v[9:12], v9 offset1:3
	v_lshl_add_u32 v15, v15, 3, v36
	v_lshl_add_u32 v16, v16, 3, v36
	s_waitcnt lgkmcnt(2)
	v_cmp_gt_i32_e32 vcc_lo, v0, v1
	v_cndmask_b32_e64 v1, 0, 1, vcc_lo
	s_waitcnt vmcnt(0)
	v_sub_co_u32 v13, vcc_lo, v13, s38
	v_subrev_co_ci_u32_e32 v14, vcc_lo, 0, v14, vcc_lo
	v_cmp_gt_i32_e32 vcc_lo, v0, v2
	v_cndmask_b32_e64 v2, 0, 1, vcc_lo
	s_delay_alu instid0(VALU_DEP_4) | instskip(NEXT) | instid1(VALU_DEP_4)
	v_add_co_u32 v1, vcc_lo, v13, v1
	v_add_co_ci_u32_e32 v13, vcc_lo, 0, v14, vcc_lo
	v_cmp_gt_i32_e32 vcc_lo, v0, v3
	v_cndmask_b32_e64 v3, 0, 1, vcc_lo
	s_delay_alu instid0(VALU_DEP_4) | instskip(NEXT) | instid1(VALU_DEP_4)
	v_add_co_u32 v1, vcc_lo, v1, v2
	v_add_co_ci_u32_e32 v2, vcc_lo, 0, v13, vcc_lo
	;; [unrolled: 5-line block ×3, first 2 shown]
	s_waitcnt lgkmcnt(1)
	v_cmp_gt_i32_e32 vcc_lo, v0, v5
	v_cndmask_b32_e64 v3, 0, 1, vcc_lo
	v_add_co_u32 v1, vcc_lo, v1, v4
	v_add_co_ci_u32_e32 v2, vcc_lo, 0, v2, vcc_lo
	v_cmp_gt_i32_e32 vcc_lo, v0, v6
	v_cndmask_b32_e64 v4, 0, 1, vcc_lo
	s_delay_alu instid0(VALU_DEP_4) | instskip(NEXT) | instid1(VALU_DEP_4)
	v_add_co_u32 v1, vcc_lo, v1, v3
	v_add_co_ci_u32_e32 v2, vcc_lo, 0, v2, vcc_lo
	v_cmp_gt_i32_e32 vcc_lo, v0, v7
	v_cndmask_b32_e64 v3, 0, 1, vcc_lo
	s_delay_alu instid0(VALU_DEP_4) | instskip(NEXT) | instid1(VALU_DEP_4)
	v_add_co_u32 v1, vcc_lo, v1, v4
	v_add_co_ci_u32_e32 v2, vcc_lo, 0, v2, vcc_lo
	v_cmp_gt_i32_e32 vcc_lo, v0, v8
	v_add_nc_u32_e32 v0, s38, v0
	v_cndmask_b32_e64 v4, 0, 1, vcc_lo
	v_add_co_u32 v3, vcc_lo, v1, v3
	v_add_co_ci_u32_e32 v2, vcc_lo, 0, v2, vcc_lo
	s_waitcnt lgkmcnt(0)
	v_mov_b32_e32 v1, v9
	s_delay_alu instid0(VALU_DEP_3) | instskip(NEXT) | instid1(VALU_DEP_3)
	v_add_co_u32 v5, vcc_lo, v3, v4
	v_add_co_ci_u32_e32 v6, vcc_lo, 0, v2, vcc_lo
	v_mov_b32_e32 v2, v10
	ds_load_b64 v[3:4], v15
	ds_load_b64 v[9:10], v16
	v_lshlrev_b64 v[7:8], 2, v[5:6]
	v_lshlrev_b64 v[5:6], 5, v[5:6]
	s_delay_alu instid0(VALU_DEP_2) | instskip(NEXT) | instid1(VALU_DEP_3)
	v_add_co_u32 v7, vcc_lo, s40, v7
	v_add_co_ci_u32_e32 v8, vcc_lo, s41, v8, vcc_lo
	s_delay_alu instid0(VALU_DEP_3) | instskip(NEXT) | instid1(VALU_DEP_4)
	v_add_co_u32 v5, vcc_lo, s42, v5
	v_add_co_ci_u32_e32 v6, vcc_lo, s43, v6, vcc_lo
	global_store_b32 v[7:8], v0, off
	s_waitcnt lgkmcnt(1)
	global_store_b128 v[5:6], v[1:4], off
	s_waitcnt lgkmcnt(0)
	global_store_b128 v[5:6], v[9:12], off offset:16
	s_nop 0
	s_sendmsg sendmsg(MSG_DEALLOC_VGPRS)
	s_endpgm
	.section	.rodata,"a",@progbits
	.p2align	6, 0x0
	.amdhsa_kernel _ZN9rocsparseL27bsrgemm_fill_wf_per_row_2x2ILj256ELj16ELj8ELj137ElidEEv20rocsparse_direction_T4_S2_PKS2_S4_NS_24const_host_device_scalarIT5_EEPKT3_S4_PKS6_SA_S4_SC_S7_SA_S4_SC_SA_PS2_PS6_21rocsparse_index_base_SF_SF_SF_bbb
		.amdhsa_group_segment_fixed_size 4608
		.amdhsa_private_segment_fixed_size 0
		.amdhsa_kernarg_size 164
		.amdhsa_user_sgpr_count 15
		.amdhsa_user_sgpr_dispatch_ptr 0
		.amdhsa_user_sgpr_queue_ptr 0
		.amdhsa_user_sgpr_kernarg_segment_ptr 1
		.amdhsa_user_sgpr_dispatch_id 0
		.amdhsa_user_sgpr_private_segment_size 0
		.amdhsa_wavefront_size32 1
		.amdhsa_uses_dynamic_stack 0
		.amdhsa_enable_private_segment 0
		.amdhsa_system_sgpr_workgroup_id_x 1
		.amdhsa_system_sgpr_workgroup_id_y 0
		.amdhsa_system_sgpr_workgroup_id_z 0
		.amdhsa_system_sgpr_workgroup_info 0
		.amdhsa_system_vgpr_workitem_id 0
		.amdhsa_next_free_vgpr 46
		.amdhsa_next_free_sgpr 48
		.amdhsa_reserve_vcc 1
		.amdhsa_float_round_mode_32 0
		.amdhsa_float_round_mode_16_64 0
		.amdhsa_float_denorm_mode_32 3
		.amdhsa_float_denorm_mode_16_64 3
		.amdhsa_dx10_clamp 1
		.amdhsa_ieee_mode 1
		.amdhsa_fp16_overflow 0
		.amdhsa_workgroup_processor_mode 1
		.amdhsa_memory_ordered 1
		.amdhsa_forward_progress 0
		.amdhsa_shared_vgpr_count 0
		.amdhsa_exception_fp_ieee_invalid_op 0
		.amdhsa_exception_fp_denorm_src 0
		.amdhsa_exception_fp_ieee_div_zero 0
		.amdhsa_exception_fp_ieee_overflow 0
		.amdhsa_exception_fp_ieee_underflow 0
		.amdhsa_exception_fp_ieee_inexact 0
		.amdhsa_exception_int_div_zero 0
	.end_amdhsa_kernel
	.section	.text._ZN9rocsparseL27bsrgemm_fill_wf_per_row_2x2ILj256ELj16ELj8ELj137ElidEEv20rocsparse_direction_T4_S2_PKS2_S4_NS_24const_host_device_scalarIT5_EEPKT3_S4_PKS6_SA_S4_SC_S7_SA_S4_SC_SA_PS2_PS6_21rocsparse_index_base_SF_SF_SF_bbb,"axG",@progbits,_ZN9rocsparseL27bsrgemm_fill_wf_per_row_2x2ILj256ELj16ELj8ELj137ElidEEv20rocsparse_direction_T4_S2_PKS2_S4_NS_24const_host_device_scalarIT5_EEPKT3_S4_PKS6_SA_S4_SC_S7_SA_S4_SC_SA_PS2_PS6_21rocsparse_index_base_SF_SF_SF_bbb,comdat
.Lfunc_end187:
	.size	_ZN9rocsparseL27bsrgemm_fill_wf_per_row_2x2ILj256ELj16ELj8ELj137ElidEEv20rocsparse_direction_T4_S2_PKS2_S4_NS_24const_host_device_scalarIT5_EEPKT3_S4_PKS6_SA_S4_SC_S7_SA_S4_SC_SA_PS2_PS6_21rocsparse_index_base_SF_SF_SF_bbb, .Lfunc_end187-_ZN9rocsparseL27bsrgemm_fill_wf_per_row_2x2ILj256ELj16ELj8ELj137ElidEEv20rocsparse_direction_T4_S2_PKS2_S4_NS_24const_host_device_scalarIT5_EEPKT3_S4_PKS6_SA_S4_SC_S7_SA_S4_SC_SA_PS2_PS6_21rocsparse_index_base_SF_SF_SF_bbb
                                        ; -- End function
	.section	.AMDGPU.csdata,"",@progbits
; Kernel info:
; codeLenInByte = 5284
; NumSgprs: 50
; NumVgprs: 46
; ScratchSize: 0
; MemoryBound: 0
; FloatMode: 240
; IeeeMode: 1
; LDSByteSize: 4608 bytes/workgroup (compile time only)
; SGPRBlocks: 6
; VGPRBlocks: 5
; NumSGPRsForWavesPerEU: 50
; NumVGPRsForWavesPerEU: 46
; Occupancy: 16
; WaveLimiterHint : 1
; COMPUTE_PGM_RSRC2:SCRATCH_EN: 0
; COMPUTE_PGM_RSRC2:USER_SGPR: 15
; COMPUTE_PGM_RSRC2:TRAP_HANDLER: 0
; COMPUTE_PGM_RSRC2:TGID_X_EN: 1
; COMPUTE_PGM_RSRC2:TGID_Y_EN: 0
; COMPUTE_PGM_RSRC2:TGID_Z_EN: 0
; COMPUTE_PGM_RSRC2:TIDIG_COMP_CNT: 0
	.section	.text._ZN9rocsparseL27bsrgemm_fill_wf_per_row_2x2ILj256ELj16ELj16ELj137ElidEEv20rocsparse_direction_T4_S2_PKS2_S4_NS_24const_host_device_scalarIT5_EEPKT3_S4_PKS6_SA_S4_SC_S7_SA_S4_SC_SA_PS2_PS6_21rocsparse_index_base_SF_SF_SF_bbb,"axG",@progbits,_ZN9rocsparseL27bsrgemm_fill_wf_per_row_2x2ILj256ELj16ELj16ELj137ElidEEv20rocsparse_direction_T4_S2_PKS2_S4_NS_24const_host_device_scalarIT5_EEPKT3_S4_PKS6_SA_S4_SC_S7_SA_S4_SC_SA_PS2_PS6_21rocsparse_index_base_SF_SF_SF_bbb,comdat
	.globl	_ZN9rocsparseL27bsrgemm_fill_wf_per_row_2x2ILj256ELj16ELj16ELj137ElidEEv20rocsparse_direction_T4_S2_PKS2_S4_NS_24const_host_device_scalarIT5_EEPKT3_S4_PKS6_SA_S4_SC_S7_SA_S4_SC_SA_PS2_PS6_21rocsparse_index_base_SF_SF_SF_bbb ; -- Begin function _ZN9rocsparseL27bsrgemm_fill_wf_per_row_2x2ILj256ELj16ELj16ELj137ElidEEv20rocsparse_direction_T4_S2_PKS2_S4_NS_24const_host_device_scalarIT5_EEPKT3_S4_PKS6_SA_S4_SC_S7_SA_S4_SC_SA_PS2_PS6_21rocsparse_index_base_SF_SF_SF_bbb
	.p2align	8
	.type	_ZN9rocsparseL27bsrgemm_fill_wf_per_row_2x2ILj256ELj16ELj16ELj137ElidEEv20rocsparse_direction_T4_S2_PKS2_S4_NS_24const_host_device_scalarIT5_EEPKT3_S4_PKS6_SA_S4_SC_S7_SA_S4_SC_SA_PS2_PS6_21rocsparse_index_base_SF_SF_SF_bbb,@function
_ZN9rocsparseL27bsrgemm_fill_wf_per_row_2x2ILj256ELj16ELj16ELj137ElidEEv20rocsparse_direction_T4_S2_PKS2_S4_NS_24const_host_device_scalarIT5_EEPKT3_S4_PKS6_SA_S4_SC_S7_SA_S4_SC_SA_PS2_PS6_21rocsparse_index_base_SF_SF_SF_bbb: ; @_ZN9rocsparseL27bsrgemm_fill_wf_per_row_2x2ILj256ELj16ELj16ELj137ElidEEv20rocsparse_direction_T4_S2_PKS2_S4_NS_24const_host_device_scalarIT5_EEPKT3_S4_PKS6_SA_S4_SC_S7_SA_S4_SC_SA_PS2_PS6_21rocsparse_index_base_SF_SF_SF_bbb
; %bb.0:
	s_clause 0x3
	s_load_b32 s12, s[0:1], 0xa0
	s_load_b64 s[4:5], s[0:1], 0x20
	s_load_b128 s[24:27], s[0:1], 0x90
	s_load_b64 s[2:3], s[0:1], 0x58
	s_waitcnt lgkmcnt(0)
	s_and_b32 s6, 1, s12
	s_bitcmp1_b32 s12, 16
	s_cselect_b32 s14, -1, 0
	s_cmp_eq_u32 s6, 1
	s_cselect_b32 s13, -1, 0
	s_delay_alu instid0(SALU_CYCLE_1)
	s_and_b32 s6, s13, exec_lo
	s_cselect_b32 s7, s5, 0
	s_cselect_b32 s6, s4, 0
	s_xor_b32 s8, s13, -1
	v_dual_mov_b32 v9, s7 :: v_dual_mov_b32 v8, s6
	s_or_b32 s8, s8, s14
	s_delay_alu instid0(SALU_CYCLE_1)
	s_and_b32 vcc_lo, exec_lo, s8
	s_cbranch_vccnz .LBB188_2
; %bb.1:
	v_dual_mov_b32 v1, s4 :: v_dual_mov_b32 v2, s5
	flat_load_b64 v[8:9], v[1:2]
.LBB188_2:
	s_clause 0x4
	s_load_b128 s[28:31], s[0:1], 0x80
	s_load_b256 s[4:11], s[0:1], 0x60
	s_load_b128 s[36:39], s[0:1], 0x48
	s_load_b128 s[40:43], s[0:1], 0x10
	s_load_b256 s[16:23], s[0:1], 0x28
	s_bitcmp1_b32 s12, 8
	s_cselect_b32 s12, -1, 0
	s_delay_alu instid0(SALU_CYCLE_1)
	s_and_b32 s33, s12, exec_lo
	s_cselect_b32 s35, s3, 0
	s_cselect_b32 s34, s2, 0
	s_xor_b32 s33, s12, -1
	v_dual_mov_b32 v4, s34 :: v_dual_mov_b32 v5, s35
	s_or_b32 s14, s33, s14
	s_delay_alu instid0(SALU_CYCLE_1)
	s_and_b32 vcc_lo, exec_lo, s14
	s_cbranch_vccnz .LBB188_4
; %bb.3:
	v_dual_mov_b32 v1, s2 :: v_dual_mov_b32 v2, s3
	flat_load_b64 v[4:5], v[1:2]
.LBB188_4:
	s_load_b128 s[0:3], s[0:1], 0x0
	v_and_b32_e32 v1, 0xf0, v0
	v_and_b32_e32 v35, 15, v0
	v_lshrrev_b32_e32 v2, 4, v0
	v_mov_b32_e32 v0, 0
	s_waitcnt lgkmcnt(0)
	s_mov_b32 s3, 0
	v_lshl_or_b32 v34, v1, 2, 0x2000
	v_lshlrev_b32_e32 v1, 3, v35
	v_or_b32_e32 v3, -16, v35
	s_delay_alu instid0(VALU_DEP_3) | instskip(NEXT) | instid1(VALU_DEP_3)
	v_lshl_or_b32 v37, v35, 2, v34
	v_lshl_or_b32 v6, v2, 9, v1
	v_mov_b32_e32 v1, v0
	v_mov_b32_e32 v7, s2
	ds_store_b32 v37, v7
.LBB188_5:                              ; =>This Inner Loop Header: Depth=1
	v_add_nc_u32_e32 v3, 16, v3
	ds_store_b64 v6, v[0:1]
	v_add_nc_u32_e32 v6, 0x80, v6
	v_cmp_lt_u32_e32 vcc_lo, 47, v3
	s_or_b32 s3, vcc_lo, s3
	s_delay_alu instid0(SALU_CYCLE_1)
	s_and_not1_b32 exec_lo, exec_lo, s3
	s_cbranch_execnz .LBB188_5
; %bb.6:
	s_or_b32 exec_lo, exec_lo, s3
	v_lshl_or_b32 v0, s15, 4, v2
	s_waitcnt vmcnt(0) lgkmcnt(0)
	s_barrier
	buffer_gl0_inv
	v_cmp_gt_i32_e32 vcc_lo, s1, v0
	s_and_saveexec_b32 s1, vcc_lo
	s_cbranch_execz .LBB188_152
; %bb.7:
	s_cmp_eq_u64 s[42:43], 0
	s_cbranch_scc1 .LBB188_9
; %bb.8:
	s_load_b32 s1, s[40:41], 0x0
	s_waitcnt lgkmcnt(0)
	v_add_nc_u32_e32 v0, s1, v0
	s_delay_alu instid0(VALU_DEP_1) | instskip(NEXT) | instid1(VALU_DEP_1)
	v_ashrrev_i32_e32 v1, 31, v0
	v_lshlrev_b64 v[0:1], 2, v[0:1]
	s_delay_alu instid0(VALU_DEP_1) | instskip(NEXT) | instid1(VALU_DEP_2)
	v_add_co_u32 v0, vcc_lo, s42, v0
	v_add_co_ci_u32_e32 v1, vcc_lo, s43, v1, vcc_lo
	global_load_b32 v0, v[0:1], off
.LBB188_9:
	s_waitcnt vmcnt(0)
	v_ashrrev_i32_e32 v1, 31, v0
	v_lshlrev_b32_e32 v36, 9, v2
	s_and_not1_b32 vcc_lo, exec_lo, s13
	s_delay_alu instid0(VALU_DEP_2)
	v_lshlrev_b64 v[6:7], 3, v[0:1]
	s_cbranch_vccnz .LBB188_81
; %bb.10:
	s_delay_alu instid0(VALU_DEP_1) | instskip(NEXT) | instid1(VALU_DEP_2)
	v_add_co_u32 v0, vcc_lo, s16, v6
	v_add_co_ci_u32_e32 v1, vcc_lo, s17, v7, vcc_lo
	v_sub_co_u32 v12, s1, v35, s24
	s_delay_alu instid0(VALU_DEP_1)
	v_sub_co_ci_u32_e64 v13, null, 0, 0, s1
	global_load_b128 v[0:3], v[0:1], off
	s_mov_b32 s3, 0
	s_mov_b32 s1, exec_lo
	s_waitcnt vmcnt(0)
	v_sub_co_u32 v10, vcc_lo, v2, s24
	v_subrev_co_ci_u32_e32 v11, vcc_lo, 0, v3, vcc_lo
	v_add_co_u32 v12, vcc_lo, v0, v12
	v_add_co_ci_u32_e32 v13, vcc_lo, v1, v13, vcc_lo
	s_delay_alu instid0(VALU_DEP_1)
	v_cmpx_lt_i64_e64 v[12:13], v[10:11]
	s_cbranch_execz .LBB188_80
; %bb.11:
	v_add_nc_u32_e32 v38, 8, v36
	v_add_nc_u32_e32 v39, 16, v36
	;; [unrolled: 1-line block ×3, first 2 shown]
	s_cmp_eq_u32 s0, 0
	s_mov_b32 s13, s25
	s_cselect_b32 s14, 1, 2
	s_cselect_b32 s15, 2, 1
	s_branch .LBB188_13
.LBB188_12:                             ;   in Loop: Header=BB188_13 Depth=1
	s_or_b32 exec_lo, exec_lo, s16
	v_add_co_u32 v12, vcc_lo, v12, 16
	v_add_co_ci_u32_e32 v13, vcc_lo, 0, v13, vcc_lo
	s_delay_alu instid0(VALU_DEP_1) | instskip(SKIP_1) | instid1(SALU_CYCLE_1)
	v_cmp_ge_i64_e32 vcc_lo, v[12:13], v[10:11]
	s_or_b32 s3, vcc_lo, s3
	s_and_not1_b32 exec_lo, exec_lo, s3
	s_cbranch_execz .LBB188_80
.LBB188_13:                             ; =>This Loop Header: Depth=1
                                        ;     Child Loop BB188_16 Depth 2
                                        ;       Child Loop BB188_18 Depth 3
                                        ;         Child Loop BB188_24 Depth 4
                                        ;         Child Loop BB188_30 Depth 4
                                        ;       Child Loop BB188_34 Depth 3
                                        ;         Child Loop BB188_40 Depth 4
                                        ;         Child Loop BB188_46 Depth 4
                                        ;       Child Loop BB188_50 Depth 3
                                        ;         Child Loop BB188_56 Depth 4
                                        ;         Child Loop BB188_62 Depth 4
                                        ;       Child Loop BB188_66 Depth 3
                                        ;         Child Loop BB188_72 Depth 4
                                        ;         Child Loop BB188_78 Depth 4
	v_lshlrev_b64 v[14:15], 2, v[12:13]
	s_mov_b32 s16, exec_lo
	s_delay_alu instid0(VALU_DEP_1) | instskip(NEXT) | instid1(VALU_DEP_2)
	v_add_co_u32 v0, vcc_lo, s18, v14
	v_add_co_ci_u32_e32 v1, vcc_lo, s19, v15, vcc_lo
	global_load_b32 v0, v[0:1], off
	s_waitcnt vmcnt(0)
	v_subrev_nc_u32_e32 v0, s24, v0
	s_delay_alu instid0(VALU_DEP_1) | instskip(NEXT) | instid1(VALU_DEP_1)
	v_ashrrev_i32_e32 v1, 31, v0
	v_lshlrev_b64 v[0:1], 3, v[0:1]
	s_delay_alu instid0(VALU_DEP_1) | instskip(NEXT) | instid1(VALU_DEP_2)
	v_add_co_u32 v0, vcc_lo, s22, v0
	v_add_co_ci_u32_e32 v1, vcc_lo, s23, v1, vcc_lo
	global_load_b128 v[0:3], v[0:1], off
	s_waitcnt vmcnt(0)
	v_cmpx_lt_i64_e64 v[0:1], v[2:3]
	s_cbranch_execz .LBB188_12
; %bb.14:                               ;   in Loop: Header=BB188_13 Depth=1
	v_or_b32_e32 v17, 0, v15
	v_or_b32_e32 v16, s15, v14
	v_lshlrev_b64 v[18:19], 5, v[12:13]
	v_or_b32_e32 v15, 0, v15
	v_or_b32_e32 v14, s14, v14
	s_mov_b32 s17, 0
	v_lshlrev_b64 v[16:17], 3, v[16:17]
	s_delay_alu instid0(VALU_DEP_4) | instskip(NEXT) | instid1(VALU_DEP_3)
	v_add_co_u32 v18, vcc_lo, s20, v18
	v_lshlrev_b64 v[14:15], 3, v[14:15]
	v_add_co_ci_u32_e32 v19, vcc_lo, s21, v19, vcc_lo
	s_delay_alu instid0(VALU_DEP_4) | instskip(SKIP_1) | instid1(VALU_DEP_4)
	v_add_co_u32 v16, vcc_lo, s20, v16
	v_add_co_ci_u32_e32 v17, vcc_lo, s21, v17, vcc_lo
	v_add_co_u32 v14, vcc_lo, s20, v14
	v_add_co_ci_u32_e32 v15, vcc_lo, s21, v15, vcc_lo
	s_clause 0x3
	global_load_b64 v[20:21], v[18:19], off offset:24
	global_load_b64 v[16:17], v[16:17], off
	global_load_b64 v[22:23], v[14:15], off
	;; [unrolled: 1-line block ×3, first 2 shown]
	v_sub_co_u32 v2, vcc_lo, v2, s13
	v_subrev_co_ci_u32_e32 v3, vcc_lo, 0, v3, vcc_lo
	v_sub_co_u32 v0, vcc_lo, v0, s13
	v_subrev_co_ci_u32_e32 v1, vcc_lo, 0, v1, vcc_lo
	s_waitcnt vmcnt(3)
	v_mul_f64 v[14:15], v[8:9], v[20:21]
	s_waitcnt vmcnt(2)
	v_mul_f64 v[16:17], v[8:9], v[16:17]
	;; [unrolled: 2-line block ×4, first 2 shown]
	s_branch .LBB188_16
.LBB188_15:                             ;   in Loop: Header=BB188_16 Depth=2
	s_or_b32 exec_lo, exec_lo, s33
	v_add_co_u32 v0, vcc_lo, v0, 1
	v_add_co_ci_u32_e32 v1, vcc_lo, 0, v1, vcc_lo
	s_delay_alu instid0(VALU_DEP_1) | instskip(SKIP_1) | instid1(SALU_CYCLE_1)
	v_cmp_ge_i64_e32 vcc_lo, v[0:1], v[2:3]
	s_or_b32 s17, vcc_lo, s17
	s_and_not1_b32 exec_lo, exec_lo, s17
	s_cbranch_execz .LBB188_12
.LBB188_16:                             ;   Parent Loop BB188_13 Depth=1
                                        ; =>  This Loop Header: Depth=2
                                        ;       Child Loop BB188_18 Depth 3
                                        ;         Child Loop BB188_24 Depth 4
                                        ;         Child Loop BB188_30 Depth 4
                                        ;       Child Loop BB188_34 Depth 3
                                        ;         Child Loop BB188_40 Depth 4
                                        ;         Child Loop BB188_46 Depth 4
	;; [unrolled: 3-line block ×4, first 2 shown]
	v_lshlrev_b64 v[22:23], 2, v[0:1]
	s_mov_b32 s33, 0
	s_delay_alu instid0(VALU_DEP_1) | instskip(NEXT) | instid1(VALU_DEP_2)
	v_or_b32_e32 v25, 0, v23
	v_or_b32_e32 v24, s15, v22
	s_delay_alu instid0(VALU_DEP_1) | instskip(NEXT) | instid1(VALU_DEP_1)
	v_lshlrev_b64 v[24:25], 3, v[24:25]
	v_add_co_u32 v24, vcc_lo, s38, v24
	s_delay_alu instid0(VALU_DEP_2) | instskip(SKIP_2) | instid1(VALU_DEP_1)
	v_add_co_ci_u32_e32 v25, vcc_lo, s39, v25, vcc_lo
	global_load_b64 v[26:27], v[24:25], off
	v_lshlrev_b64 v[24:25], 5, v[0:1]
	v_add_co_u32 v24, vcc_lo, s38, v24
	s_delay_alu instid0(VALU_DEP_2)
	v_add_co_ci_u32_e32 v25, vcc_lo, s39, v25, vcc_lo
	v_add_co_u32 v30, vcc_lo, s36, v22
	v_add_co_ci_u32_e32 v31, vcc_lo, s37, v23, vcc_lo
	global_load_b64 v[28:29], v[24:25], off
	v_or_b32_e32 v23, 0, v23
	v_or_b32_e32 v22, s14, v22
	global_load_b32 v32, v[30:31], off
	v_lshlrev_b64 v[22:23], 3, v[22:23]
	s_delay_alu instid0(VALU_DEP_1) | instskip(NEXT) | instid1(VALU_DEP_2)
	v_add_co_u32 v22, vcc_lo, s38, v22
	v_add_co_ci_u32_e32 v23, vcc_lo, s39, v23, vcc_lo
	s_clause 0x1
	global_load_b64 v[22:23], v[22:23], off
	global_load_b64 v[24:25], v[24:25], off offset:24
	s_waitcnt vmcnt(4)
	v_mul_f64 v[30:31], v[20:21], v[26:27]
	s_waitcnt vmcnt(2)
	v_subrev_nc_u32_e32 v41, s25, v32
	s_delay_alu instid0(VALU_DEP_1) | instskip(NEXT) | instid1(VALU_DEP_1)
	v_lshl_add_u32 v32, v41, 3, v41
	v_and_b32_e32 v42, 15, v32
	s_delay_alu instid0(VALU_DEP_1)
	v_mov_b32_e32 v43, v42
	v_fma_f64 v[30:31], v[18:19], v[28:29], v[30:31]
	s_branch .LBB188_18
.LBB188_17:                             ;   in Loop: Header=BB188_18 Depth=3
	s_or_b32 exec_lo, exec_lo, s34
	s_xor_b32 s34, s35, -1
	s_delay_alu instid0(SALU_CYCLE_1) | instskip(NEXT) | instid1(SALU_CYCLE_1)
	s_and_b32 s34, exec_lo, s34
	s_or_b32 s33, s34, s33
	s_delay_alu instid0(SALU_CYCLE_1)
	s_and_not1_b32 exec_lo, exec_lo, s33
	s_cbranch_execz .LBB188_32
.LBB188_18:                             ;   Parent Loop BB188_13 Depth=1
                                        ;     Parent Loop BB188_16 Depth=2
                                        ; =>    This Loop Header: Depth=3
                                        ;         Child Loop BB188_24 Depth 4
                                        ;         Child Loop BB188_30 Depth 4
	s_delay_alu instid0(VALU_DEP_2)
	v_lshl_add_u32 v32, v43, 2, v34
	s_mov_b32 s34, exec_lo
                                        ; implicit-def: $sgpr35
	ds_load_b32 v33, v32
	s_waitcnt lgkmcnt(0)
	v_cmpx_ne_u32_e64 v33, v41
	s_xor_b32 s34, exec_lo, s34
	s_cbranch_execz .LBB188_28
; %bb.19:                               ;   in Loop: Header=BB188_18 Depth=3
	s_mov_b32 s40, exec_lo
                                        ; implicit-def: $sgpr35
	v_cmpx_ne_u32_e64 s2, v33
	s_xor_b32 s40, exec_lo, s40
; %bb.20:                               ;   in Loop: Header=BB188_18 Depth=3
	v_add_nc_u32_e32 v32, 1, v43
	s_mov_b32 s35, -1
	s_delay_alu instid0(VALU_DEP_1)
	v_and_b32_e32 v43, 15, v32
                                        ; implicit-def: $vgpr32
; %bb.21:                               ;   in Loop: Header=BB188_18 Depth=3
	s_and_not1_saveexec_b32 s40, s40
	s_cbranch_execz .LBB188_27
; %bb.22:                               ;   in Loop: Header=BB188_18 Depth=3
	v_mov_b32_e32 v33, s2
	s_mov_b32 s42, -1
	s_mov_b32 s41, exec_lo
	ds_cmpstore_rtn_b32 v32, v32, v41, v33
	s_waitcnt lgkmcnt(0)
	v_cmpx_eq_u32_e64 s2, v32
	s_cbranch_execz .LBB188_26
; %bb.23:                               ;   in Loop: Header=BB188_18 Depth=3
	v_lshlrev_b32_e32 v32, 5, v43
	s_mov_b32 s42, 0
	s_delay_alu instid0(VALU_DEP_1)
	v_add_nc_u32_e32 v44, v36, v32
	ds_load_b64 v[32:33], v44
.LBB188_24:                             ;   Parent Loop BB188_13 Depth=1
                                        ;     Parent Loop BB188_16 Depth=2
                                        ;       Parent Loop BB188_18 Depth=3
                                        ; =>      This Inner Loop Header: Depth=4
	s_waitcnt lgkmcnt(0)
	v_add_f64 v[45:46], v[32:33], v[30:31]
	ds_cmpstore_rtn_b64 v[45:46], v44, v[45:46], v[32:33]
	s_waitcnt lgkmcnt(0)
	v_cmp_eq_u64_e32 vcc_lo, v[45:46], v[32:33]
	v_dual_mov_b32 v32, v45 :: v_dual_mov_b32 v33, v46
	s_or_b32 s42, vcc_lo, s42
	s_delay_alu instid0(SALU_CYCLE_1)
	s_and_not1_b32 exec_lo, exec_lo, s42
	s_cbranch_execnz .LBB188_24
; %bb.25:                               ;   in Loop: Header=BB188_18 Depth=3
	s_or_b32 exec_lo, exec_lo, s42
	s_delay_alu instid0(SALU_CYCLE_1)
	s_xor_b32 s42, exec_lo, -1
.LBB188_26:                             ;   in Loop: Header=BB188_18 Depth=3
	s_or_b32 exec_lo, exec_lo, s41
	s_delay_alu instid0(SALU_CYCLE_1) | instskip(SKIP_1) | instid1(SALU_CYCLE_1)
	s_and_not1_b32 s35, s35, exec_lo
	s_and_b32 s41, s42, exec_lo
	s_or_b32 s35, s35, s41
.LBB188_27:                             ;   in Loop: Header=BB188_18 Depth=3
	s_or_b32 exec_lo, exec_lo, s40
	s_delay_alu instid0(SALU_CYCLE_1)
	s_and_b32 s35, s35, exec_lo
.LBB188_28:                             ;   in Loop: Header=BB188_18 Depth=3
	s_and_not1_saveexec_b32 s34, s34
	s_cbranch_execz .LBB188_17
; %bb.29:                               ;   in Loop: Header=BB188_18 Depth=3
	v_lshlrev_b32_e32 v32, 5, v43
	s_mov_b32 s40, 0
	s_delay_alu instid0(VALU_DEP_1)
	v_add_nc_u32_e32 v44, v36, v32
	ds_load_b64 v[32:33], v44
.LBB188_30:                             ;   Parent Loop BB188_13 Depth=1
                                        ;     Parent Loop BB188_16 Depth=2
                                        ;       Parent Loop BB188_18 Depth=3
                                        ; =>      This Inner Loop Header: Depth=4
	s_waitcnt lgkmcnt(0)
	v_add_f64 v[45:46], v[32:33], v[30:31]
	ds_cmpstore_rtn_b64 v[45:46], v44, v[45:46], v[32:33]
	s_waitcnt lgkmcnt(0)
	v_cmp_eq_u64_e32 vcc_lo, v[45:46], v[32:33]
	v_dual_mov_b32 v32, v45 :: v_dual_mov_b32 v33, v46
	s_or_b32 s40, vcc_lo, s40
	s_delay_alu instid0(SALU_CYCLE_1)
	s_and_not1_b32 exec_lo, exec_lo, s40
	s_cbranch_execnz .LBB188_30
; %bb.31:                               ;   in Loop: Header=BB188_18 Depth=3
	s_or_b32 exec_lo, exec_lo, s40
	s_delay_alu instid0(SALU_CYCLE_1)
	s_and_not1_b32 s35, s35, exec_lo
	s_branch .LBB188_17
.LBB188_32:                             ;   in Loop: Header=BB188_16 Depth=2
	s_or_b32 exec_lo, exec_lo, s33
	s_waitcnt vmcnt(0)
	v_mul_f64 v[30:31], v[20:21], v[24:25]
	v_mov_b32_e32 v43, v42
	s_mov_b32 s33, 0
	s_delay_alu instid0(VALU_DEP_2)
	v_fma_f64 v[30:31], v[18:19], v[22:23], v[30:31]
	s_branch .LBB188_34
.LBB188_33:                             ;   in Loop: Header=BB188_34 Depth=3
	s_or_b32 exec_lo, exec_lo, s34
	s_xor_b32 s34, s35, -1
	s_delay_alu instid0(SALU_CYCLE_1) | instskip(NEXT) | instid1(SALU_CYCLE_1)
	s_and_b32 s34, exec_lo, s34
	s_or_b32 s33, s34, s33
	s_delay_alu instid0(SALU_CYCLE_1)
	s_and_not1_b32 exec_lo, exec_lo, s33
	s_cbranch_execz .LBB188_48
.LBB188_34:                             ;   Parent Loop BB188_13 Depth=1
                                        ;     Parent Loop BB188_16 Depth=2
                                        ; =>    This Loop Header: Depth=3
                                        ;         Child Loop BB188_40 Depth 4
                                        ;         Child Loop BB188_46 Depth 4
	s_delay_alu instid0(VALU_DEP_2)
	v_lshl_add_u32 v32, v43, 2, v34
	s_mov_b32 s34, exec_lo
                                        ; implicit-def: $sgpr35
	ds_load_b32 v33, v32
	s_waitcnt lgkmcnt(0)
	v_cmpx_ne_u32_e64 v33, v41
	s_xor_b32 s34, exec_lo, s34
	s_cbranch_execz .LBB188_44
; %bb.35:                               ;   in Loop: Header=BB188_34 Depth=3
	s_mov_b32 s40, exec_lo
                                        ; implicit-def: $sgpr35
	v_cmpx_ne_u32_e64 s2, v33
	s_xor_b32 s40, exec_lo, s40
; %bb.36:                               ;   in Loop: Header=BB188_34 Depth=3
	v_add_nc_u32_e32 v32, 1, v43
	s_mov_b32 s35, -1
	s_delay_alu instid0(VALU_DEP_1)
	v_and_b32_e32 v43, 15, v32
                                        ; implicit-def: $vgpr32
; %bb.37:                               ;   in Loop: Header=BB188_34 Depth=3
	s_and_not1_saveexec_b32 s40, s40
	s_cbranch_execz .LBB188_43
; %bb.38:                               ;   in Loop: Header=BB188_34 Depth=3
	v_mov_b32_e32 v33, s2
	s_mov_b32 s42, -1
	s_mov_b32 s41, exec_lo
	ds_cmpstore_rtn_b32 v32, v32, v41, v33
	s_waitcnt lgkmcnt(0)
	v_cmpx_eq_u32_e64 s2, v32
	s_cbranch_execz .LBB188_42
; %bb.39:                               ;   in Loop: Header=BB188_34 Depth=3
	v_lshl_add_u32 v44, v43, 5, v38
	s_mov_b32 s42, 0
	ds_load_b64 v[32:33], v44
.LBB188_40:                             ;   Parent Loop BB188_13 Depth=1
                                        ;     Parent Loop BB188_16 Depth=2
                                        ;       Parent Loop BB188_34 Depth=3
                                        ; =>      This Inner Loop Header: Depth=4
	s_waitcnt lgkmcnt(0)
	v_add_f64 v[45:46], v[32:33], v[30:31]
	ds_cmpstore_rtn_b64 v[45:46], v44, v[45:46], v[32:33]
	s_waitcnt lgkmcnt(0)
	v_cmp_eq_u64_e32 vcc_lo, v[45:46], v[32:33]
	v_dual_mov_b32 v32, v45 :: v_dual_mov_b32 v33, v46
	s_or_b32 s42, vcc_lo, s42
	s_delay_alu instid0(SALU_CYCLE_1)
	s_and_not1_b32 exec_lo, exec_lo, s42
	s_cbranch_execnz .LBB188_40
; %bb.41:                               ;   in Loop: Header=BB188_34 Depth=3
	s_or_b32 exec_lo, exec_lo, s42
	s_delay_alu instid0(SALU_CYCLE_1)
	s_xor_b32 s42, exec_lo, -1
.LBB188_42:                             ;   in Loop: Header=BB188_34 Depth=3
	s_or_b32 exec_lo, exec_lo, s41
	s_delay_alu instid0(SALU_CYCLE_1) | instskip(SKIP_1) | instid1(SALU_CYCLE_1)
	s_and_not1_b32 s35, s35, exec_lo
	s_and_b32 s41, s42, exec_lo
	s_or_b32 s35, s35, s41
.LBB188_43:                             ;   in Loop: Header=BB188_34 Depth=3
	s_or_b32 exec_lo, exec_lo, s40
	s_delay_alu instid0(SALU_CYCLE_1)
	s_and_b32 s35, s35, exec_lo
.LBB188_44:                             ;   in Loop: Header=BB188_34 Depth=3
	s_and_not1_saveexec_b32 s34, s34
	s_cbranch_execz .LBB188_33
; %bb.45:                               ;   in Loop: Header=BB188_34 Depth=3
	v_lshl_add_u32 v44, v43, 5, v38
	s_mov_b32 s40, 0
	ds_load_b64 v[32:33], v44
.LBB188_46:                             ;   Parent Loop BB188_13 Depth=1
                                        ;     Parent Loop BB188_16 Depth=2
                                        ;       Parent Loop BB188_34 Depth=3
                                        ; =>      This Inner Loop Header: Depth=4
	s_waitcnt lgkmcnt(0)
	v_add_f64 v[45:46], v[32:33], v[30:31]
	ds_cmpstore_rtn_b64 v[45:46], v44, v[45:46], v[32:33]
	s_waitcnt lgkmcnt(0)
	v_cmp_eq_u64_e32 vcc_lo, v[45:46], v[32:33]
	v_dual_mov_b32 v32, v45 :: v_dual_mov_b32 v33, v46
	s_or_b32 s40, vcc_lo, s40
	s_delay_alu instid0(SALU_CYCLE_1)
	s_and_not1_b32 exec_lo, exec_lo, s40
	s_cbranch_execnz .LBB188_46
; %bb.47:                               ;   in Loop: Header=BB188_34 Depth=3
	s_or_b32 exec_lo, exec_lo, s40
	s_delay_alu instid0(SALU_CYCLE_1)
	s_and_not1_b32 s35, s35, exec_lo
	s_branch .LBB188_33
.LBB188_48:                             ;   in Loop: Header=BB188_16 Depth=2
	s_or_b32 exec_lo, exec_lo, s33
	v_mul_f64 v[26:27], v[14:15], v[26:27]
	v_mov_b32_e32 v30, v42
	s_mov_b32 s33, 0
	s_delay_alu instid0(VALU_DEP_2)
	v_fma_f64 v[26:27], v[16:17], v[28:29], v[26:27]
	s_branch .LBB188_50
.LBB188_49:                             ;   in Loop: Header=BB188_50 Depth=3
	s_or_b32 exec_lo, exec_lo, s34
	s_xor_b32 s34, s35, -1
	s_delay_alu instid0(SALU_CYCLE_1) | instskip(NEXT) | instid1(SALU_CYCLE_1)
	s_and_b32 s34, exec_lo, s34
	s_or_b32 s33, s34, s33
	s_delay_alu instid0(SALU_CYCLE_1)
	s_and_not1_b32 exec_lo, exec_lo, s33
	s_cbranch_execz .LBB188_64
.LBB188_50:                             ;   Parent Loop BB188_13 Depth=1
                                        ;     Parent Loop BB188_16 Depth=2
                                        ; =>    This Loop Header: Depth=3
                                        ;         Child Loop BB188_56 Depth 4
                                        ;         Child Loop BB188_62 Depth 4
	s_delay_alu instid0(VALU_DEP_2)
	v_lshl_add_u32 v28, v30, 2, v34
	s_mov_b32 s34, exec_lo
                                        ; implicit-def: $sgpr35
	ds_load_b32 v29, v28
	s_waitcnt lgkmcnt(0)
	v_cmpx_ne_u32_e64 v29, v41
	s_xor_b32 s34, exec_lo, s34
	s_cbranch_execz .LBB188_60
; %bb.51:                               ;   in Loop: Header=BB188_50 Depth=3
	s_mov_b32 s40, exec_lo
                                        ; implicit-def: $sgpr35
	v_cmpx_ne_u32_e64 s2, v29
	s_xor_b32 s40, exec_lo, s40
; %bb.52:                               ;   in Loop: Header=BB188_50 Depth=3
	v_add_nc_u32_e32 v28, 1, v30
	s_mov_b32 s35, -1
	s_delay_alu instid0(VALU_DEP_1)
	v_and_b32_e32 v30, 15, v28
                                        ; implicit-def: $vgpr28
; %bb.53:                               ;   in Loop: Header=BB188_50 Depth=3
	s_and_not1_saveexec_b32 s40, s40
	s_cbranch_execz .LBB188_59
; %bb.54:                               ;   in Loop: Header=BB188_50 Depth=3
	v_mov_b32_e32 v29, s2
	s_mov_b32 s42, -1
	s_mov_b32 s41, exec_lo
	ds_cmpstore_rtn_b32 v28, v28, v41, v29
	s_waitcnt lgkmcnt(0)
	v_cmpx_eq_u32_e64 s2, v28
	s_cbranch_execz .LBB188_58
; %bb.55:                               ;   in Loop: Header=BB188_50 Depth=3
	v_lshl_add_u32 v31, v30, 5, v39
	s_mov_b32 s42, 0
	ds_load_b64 v[28:29], v31
.LBB188_56:                             ;   Parent Loop BB188_13 Depth=1
                                        ;     Parent Loop BB188_16 Depth=2
                                        ;       Parent Loop BB188_50 Depth=3
                                        ; =>      This Inner Loop Header: Depth=4
	s_waitcnt lgkmcnt(0)
	v_add_f64 v[32:33], v[28:29], v[26:27]
	ds_cmpstore_rtn_b64 v[32:33], v31, v[32:33], v[28:29]
	s_waitcnt lgkmcnt(0)
	v_cmp_eq_u64_e32 vcc_lo, v[32:33], v[28:29]
	v_dual_mov_b32 v28, v32 :: v_dual_mov_b32 v29, v33
	s_or_b32 s42, vcc_lo, s42
	s_delay_alu instid0(SALU_CYCLE_1)
	s_and_not1_b32 exec_lo, exec_lo, s42
	s_cbranch_execnz .LBB188_56
; %bb.57:                               ;   in Loop: Header=BB188_50 Depth=3
	s_or_b32 exec_lo, exec_lo, s42
	s_delay_alu instid0(SALU_CYCLE_1)
	s_xor_b32 s42, exec_lo, -1
.LBB188_58:                             ;   in Loop: Header=BB188_50 Depth=3
	s_or_b32 exec_lo, exec_lo, s41
	s_delay_alu instid0(SALU_CYCLE_1) | instskip(SKIP_1) | instid1(SALU_CYCLE_1)
	s_and_not1_b32 s35, s35, exec_lo
	s_and_b32 s41, s42, exec_lo
	s_or_b32 s35, s35, s41
.LBB188_59:                             ;   in Loop: Header=BB188_50 Depth=3
	s_or_b32 exec_lo, exec_lo, s40
	s_delay_alu instid0(SALU_CYCLE_1)
	s_and_b32 s35, s35, exec_lo
.LBB188_60:                             ;   in Loop: Header=BB188_50 Depth=3
	s_and_not1_saveexec_b32 s34, s34
	s_cbranch_execz .LBB188_49
; %bb.61:                               ;   in Loop: Header=BB188_50 Depth=3
	v_lshl_add_u32 v31, v30, 5, v39
	s_mov_b32 s40, 0
	ds_load_b64 v[28:29], v31
.LBB188_62:                             ;   Parent Loop BB188_13 Depth=1
                                        ;     Parent Loop BB188_16 Depth=2
                                        ;       Parent Loop BB188_50 Depth=3
                                        ; =>      This Inner Loop Header: Depth=4
	s_waitcnt lgkmcnt(0)
	v_add_f64 v[32:33], v[28:29], v[26:27]
	ds_cmpstore_rtn_b64 v[32:33], v31, v[32:33], v[28:29]
	s_waitcnt lgkmcnt(0)
	v_cmp_eq_u64_e32 vcc_lo, v[32:33], v[28:29]
	v_dual_mov_b32 v28, v32 :: v_dual_mov_b32 v29, v33
	s_or_b32 s40, vcc_lo, s40
	s_delay_alu instid0(SALU_CYCLE_1)
	s_and_not1_b32 exec_lo, exec_lo, s40
	s_cbranch_execnz .LBB188_62
; %bb.63:                               ;   in Loop: Header=BB188_50 Depth=3
	s_or_b32 exec_lo, exec_lo, s40
	s_delay_alu instid0(SALU_CYCLE_1)
	s_and_not1_b32 s35, s35, exec_lo
	s_branch .LBB188_49
.LBB188_64:                             ;   in Loop: Header=BB188_16 Depth=2
	s_or_b32 exec_lo, exec_lo, s33
	v_mul_f64 v[24:25], v[14:15], v[24:25]
	s_mov_b32 s33, 0
	s_delay_alu instid0(VALU_DEP_1)
	v_fma_f64 v[22:23], v[16:17], v[22:23], v[24:25]
	s_branch .LBB188_66
.LBB188_65:                             ;   in Loop: Header=BB188_66 Depth=3
	s_or_b32 exec_lo, exec_lo, s34
	s_xor_b32 s34, s35, -1
	s_delay_alu instid0(SALU_CYCLE_1) | instskip(NEXT) | instid1(SALU_CYCLE_1)
	s_and_b32 s34, exec_lo, s34
	s_or_b32 s33, s34, s33
	s_delay_alu instid0(SALU_CYCLE_1)
	s_and_not1_b32 exec_lo, exec_lo, s33
	s_cbranch_execz .LBB188_15
.LBB188_66:                             ;   Parent Loop BB188_13 Depth=1
                                        ;     Parent Loop BB188_16 Depth=2
                                        ; =>    This Loop Header: Depth=3
                                        ;         Child Loop BB188_72 Depth 4
                                        ;         Child Loop BB188_78 Depth 4
	v_lshl_add_u32 v24, v42, 2, v34
	s_mov_b32 s34, exec_lo
                                        ; implicit-def: $sgpr35
	ds_load_b32 v25, v24
	s_waitcnt lgkmcnt(0)
	v_cmpx_ne_u32_e64 v25, v41
	s_xor_b32 s34, exec_lo, s34
	s_cbranch_execz .LBB188_76
; %bb.67:                               ;   in Loop: Header=BB188_66 Depth=3
	s_mov_b32 s40, exec_lo
                                        ; implicit-def: $sgpr35
	v_cmpx_ne_u32_e64 s2, v25
	s_xor_b32 s40, exec_lo, s40
; %bb.68:                               ;   in Loop: Header=BB188_66 Depth=3
	v_add_nc_u32_e32 v24, 1, v42
	s_mov_b32 s35, -1
	s_delay_alu instid0(VALU_DEP_1)
	v_and_b32_e32 v42, 15, v24
                                        ; implicit-def: $vgpr24
; %bb.69:                               ;   in Loop: Header=BB188_66 Depth=3
	s_and_not1_saveexec_b32 s40, s40
	s_cbranch_execz .LBB188_75
; %bb.70:                               ;   in Loop: Header=BB188_66 Depth=3
	v_mov_b32_e32 v25, s2
	s_mov_b32 s42, -1
	s_mov_b32 s41, exec_lo
	ds_cmpstore_rtn_b32 v24, v24, v41, v25
	s_waitcnt lgkmcnt(0)
	v_cmpx_eq_u32_e64 s2, v24
	s_cbranch_execz .LBB188_74
; %bb.71:                               ;   in Loop: Header=BB188_66 Depth=3
	v_lshl_add_u32 v26, v42, 5, v40
	s_mov_b32 s42, 0
	ds_load_b64 v[24:25], v26
.LBB188_72:                             ;   Parent Loop BB188_13 Depth=1
                                        ;     Parent Loop BB188_16 Depth=2
                                        ;       Parent Loop BB188_66 Depth=3
                                        ; =>      This Inner Loop Header: Depth=4
	s_waitcnt lgkmcnt(0)
	v_add_f64 v[27:28], v[24:25], v[22:23]
	ds_cmpstore_rtn_b64 v[27:28], v26, v[27:28], v[24:25]
	s_waitcnt lgkmcnt(0)
	v_cmp_eq_u64_e32 vcc_lo, v[27:28], v[24:25]
	v_dual_mov_b32 v24, v27 :: v_dual_mov_b32 v25, v28
	s_or_b32 s42, vcc_lo, s42
	s_delay_alu instid0(SALU_CYCLE_1)
	s_and_not1_b32 exec_lo, exec_lo, s42
	s_cbranch_execnz .LBB188_72
; %bb.73:                               ;   in Loop: Header=BB188_66 Depth=3
	s_or_b32 exec_lo, exec_lo, s42
	s_delay_alu instid0(SALU_CYCLE_1)
	s_xor_b32 s42, exec_lo, -1
.LBB188_74:                             ;   in Loop: Header=BB188_66 Depth=3
	s_or_b32 exec_lo, exec_lo, s41
	s_delay_alu instid0(SALU_CYCLE_1) | instskip(SKIP_1) | instid1(SALU_CYCLE_1)
	s_and_not1_b32 s35, s35, exec_lo
	s_and_b32 s41, s42, exec_lo
	s_or_b32 s35, s35, s41
.LBB188_75:                             ;   in Loop: Header=BB188_66 Depth=3
	s_or_b32 exec_lo, exec_lo, s40
	s_delay_alu instid0(SALU_CYCLE_1)
	s_and_b32 s35, s35, exec_lo
.LBB188_76:                             ;   in Loop: Header=BB188_66 Depth=3
	s_and_not1_saveexec_b32 s34, s34
	s_cbranch_execz .LBB188_65
; %bb.77:                               ;   in Loop: Header=BB188_66 Depth=3
	v_lshl_add_u32 v26, v42, 5, v40
	s_mov_b32 s40, 0
	ds_load_b64 v[24:25], v26
.LBB188_78:                             ;   Parent Loop BB188_13 Depth=1
                                        ;     Parent Loop BB188_16 Depth=2
                                        ;       Parent Loop BB188_66 Depth=3
                                        ; =>      This Inner Loop Header: Depth=4
	s_waitcnt lgkmcnt(0)
	v_add_f64 v[27:28], v[24:25], v[22:23]
	ds_cmpstore_rtn_b64 v[27:28], v26, v[27:28], v[24:25]
	s_waitcnt lgkmcnt(0)
	v_cmp_eq_u64_e32 vcc_lo, v[27:28], v[24:25]
	v_dual_mov_b32 v24, v27 :: v_dual_mov_b32 v25, v28
	s_or_b32 s40, vcc_lo, s40
	s_delay_alu instid0(SALU_CYCLE_1)
	s_and_not1_b32 exec_lo, exec_lo, s40
	s_cbranch_execnz .LBB188_78
; %bb.79:                               ;   in Loop: Header=BB188_66 Depth=3
	s_or_b32 exec_lo, exec_lo, s40
	s_delay_alu instid0(SALU_CYCLE_1)
	s_and_not1_b32 s35, s35, exec_lo
	s_branch .LBB188_65
.LBB188_80:
	s_or_b32 exec_lo, exec_lo, s1
.LBB188_81:
	s_delay_alu instid0(SALU_CYCLE_1)
	s_and_not1_b32 vcc_lo, exec_lo, s12
	buffer_gl0_inv
	s_cbranch_vccnz .LBB188_150
; %bb.82:
	v_add_co_u32 v0, vcc_lo, s4, v6
	v_add_co_ci_u32_e32 v1, vcc_lo, s5, v7, vcc_lo
	v_sub_co_u32 v2, s1, v35, s27
	s_delay_alu instid0(VALU_DEP_1)
	v_sub_co_ci_u32_e64 v3, null, 0, 0, s1
	global_load_b128 v[8:11], v[0:1], off
	s_mov_b32 s3, 0
	s_mov_b32 s1, exec_lo
	s_waitcnt vmcnt(0)
	v_sub_co_u32 v0, vcc_lo, v10, s27
	v_subrev_co_ci_u32_e32 v1, vcc_lo, 0, v11, vcc_lo
	v_add_co_u32 v2, vcc_lo, v8, v2
	v_add_co_ci_u32_e32 v3, vcc_lo, v9, v3, vcc_lo
	s_delay_alu instid0(VALU_DEP_1)
	v_cmpx_lt_i64_e64 v[2:3], v[0:1]
	s_cbranch_execz .LBB188_149
; %bb.83:
	v_add_nc_u32_e32 v18, 8, v36
	v_add_nc_u32_e32 v19, 16, v36
	;; [unrolled: 1-line block ×3, first 2 shown]
	s_cmp_eq_u32 s0, 0
	s_cselect_b32 s4, 1, 2
	s_cselect_b32 s5, 2, 1
	s_branch .LBB188_85
.LBB188_84:                             ;   in Loop: Header=BB188_85 Depth=1
	s_or_b32 exec_lo, exec_lo, s12
	v_add_co_u32 v2, vcc_lo, v2, 16
	v_add_co_ci_u32_e32 v3, vcc_lo, 0, v3, vcc_lo
	s_delay_alu instid0(VALU_DEP_1) | instskip(SKIP_1) | instid1(SALU_CYCLE_1)
	v_cmp_ge_i64_e32 vcc_lo, v[2:3], v[0:1]
	s_or_b32 s3, vcc_lo, s3
	s_and_not1_b32 exec_lo, exec_lo, s3
	s_cbranch_execz .LBB188_149
.LBB188_85:                             ; =>This Loop Header: Depth=1
                                        ;     Child Loop BB188_87 Depth 2
                                        ;       Child Loop BB188_93 Depth 3
                                        ;       Child Loop BB188_99 Depth 3
                                        ;     Child Loop BB188_103 Depth 2
                                        ;       Child Loop BB188_109 Depth 3
                                        ;       Child Loop BB188_115 Depth 3
                                        ;     Child Loop BB188_119 Depth 2
                                        ;       Child Loop BB188_125 Depth 3
                                        ;       Child Loop BB188_131 Depth 3
                                        ;     Child Loop BB188_135 Depth 2
                                        ;       Child Loop BB188_141 Depth 3
                                        ;       Child Loop BB188_147 Depth 3
	v_lshlrev_b64 v[8:9], 5, v[2:3]
	v_lshlrev_b64 v[10:11], 2, v[2:3]
	s_mov_b32 s12, 0
	s_delay_alu instid0(VALU_DEP_2) | instskip(NEXT) | instid1(VALU_DEP_3)
	v_add_co_u32 v8, vcc_lo, s8, v8
	v_add_co_ci_u32_e32 v9, vcc_lo, s9, v9, vcc_lo
	s_delay_alu instid0(VALU_DEP_3) | instskip(NEXT) | instid1(VALU_DEP_4)
	v_add_co_u32 v12, vcc_lo, s6, v10
	v_add_co_ci_u32_e32 v13, vcc_lo, s7, v11, vcc_lo
	global_load_b64 v[14:15], v[8:9], off
	v_or_b32_e32 v17, 0, v11
	v_or_b32_e32 v16, s5, v10
	global_load_b32 v21, v[12:13], off
	v_or_b32_e32 v11, 0, v11
	v_or_b32_e32 v10, s4, v10
	v_lshlrev_b64 v[12:13], 3, v[16:17]
	s_delay_alu instid0(VALU_DEP_2) | instskip(NEXT) | instid1(VALU_DEP_2)
	v_lshlrev_b64 v[10:11], 3, v[10:11]
	v_add_co_u32 v12, vcc_lo, s8, v12
	s_delay_alu instid0(VALU_DEP_3) | instskip(NEXT) | instid1(VALU_DEP_3)
	v_add_co_ci_u32_e32 v13, vcc_lo, s9, v13, vcc_lo
	v_add_co_u32 v16, vcc_lo, s8, v10
	s_delay_alu instid0(VALU_DEP_4)
	v_add_co_ci_u32_e32 v17, vcc_lo, s9, v11, vcc_lo
	s_clause 0x2
	global_load_b64 v[10:11], v[12:13], off
	global_load_b64 v[12:13], v[16:17], off
	global_load_b64 v[8:9], v[8:9], off offset:24
	s_waitcnt vmcnt(4)
	v_mul_f64 v[14:15], v[4:5], v[14:15]
	s_waitcnt vmcnt(3)
	v_subrev_nc_u32_e32 v21, s27, v21
	s_delay_alu instid0(VALU_DEP_1) | instskip(NEXT) | instid1(VALU_DEP_1)
	v_lshl_add_u32 v16, v21, 3, v21
	v_and_b32_e32 v22, 15, v16
	s_delay_alu instid0(VALU_DEP_1)
	v_mov_b32_e32 v23, v22
	s_branch .LBB188_87
.LBB188_86:                             ;   in Loop: Header=BB188_87 Depth=2
	s_or_b32 exec_lo, exec_lo, s13
	s_xor_b32 s13, s14, -1
	s_delay_alu instid0(SALU_CYCLE_1) | instskip(NEXT) | instid1(SALU_CYCLE_1)
	s_and_b32 s13, exec_lo, s13
	s_or_b32 s12, s13, s12
	s_delay_alu instid0(SALU_CYCLE_1)
	s_and_not1_b32 exec_lo, exec_lo, s12
	s_cbranch_execz .LBB188_101
.LBB188_87:                             ;   Parent Loop BB188_85 Depth=1
                                        ; =>  This Loop Header: Depth=2
                                        ;       Child Loop BB188_93 Depth 3
                                        ;       Child Loop BB188_99 Depth 3
	s_delay_alu instid0(VALU_DEP_1)
	v_lshl_add_u32 v16, v23, 2, v34
	s_mov_b32 s13, exec_lo
                                        ; implicit-def: $sgpr14
	ds_load_b32 v17, v16
	s_waitcnt lgkmcnt(0)
	v_cmpx_ne_u32_e64 v17, v21
	s_xor_b32 s13, exec_lo, s13
	s_cbranch_execz .LBB188_97
; %bb.88:                               ;   in Loop: Header=BB188_87 Depth=2
	s_mov_b32 s15, exec_lo
                                        ; implicit-def: $sgpr14
	v_cmpx_ne_u32_e64 s2, v17
	s_xor_b32 s15, exec_lo, s15
; %bb.89:                               ;   in Loop: Header=BB188_87 Depth=2
	v_add_nc_u32_e32 v16, 1, v23
	s_mov_b32 s14, -1
	s_delay_alu instid0(VALU_DEP_1)
	v_and_b32_e32 v23, 15, v16
                                        ; implicit-def: $vgpr16
; %bb.90:                               ;   in Loop: Header=BB188_87 Depth=2
	s_and_not1_saveexec_b32 s15, s15
	s_cbranch_execz .LBB188_96
; %bb.91:                               ;   in Loop: Header=BB188_87 Depth=2
	v_mov_b32_e32 v17, s2
	s_mov_b32 s17, -1
	s_mov_b32 s16, exec_lo
	ds_cmpstore_rtn_b32 v16, v16, v21, v17
	s_waitcnt lgkmcnt(0)
	v_cmpx_eq_u32_e64 s2, v16
	s_cbranch_execz .LBB188_95
; %bb.92:                               ;   in Loop: Header=BB188_87 Depth=2
	v_lshlrev_b32_e32 v16, 5, v23
	s_mov_b32 s17, 0
	s_delay_alu instid0(VALU_DEP_1)
	v_add_nc_u32_e32 v24, v36, v16
	ds_load_b64 v[16:17], v24
.LBB188_93:                             ;   Parent Loop BB188_85 Depth=1
                                        ;     Parent Loop BB188_87 Depth=2
                                        ; =>    This Inner Loop Header: Depth=3
	s_waitcnt lgkmcnt(0)
	v_add_f64 v[25:26], v[16:17], v[14:15]
	ds_cmpstore_rtn_b64 v[25:26], v24, v[25:26], v[16:17]
	s_waitcnt lgkmcnt(0)
	v_cmp_eq_u64_e32 vcc_lo, v[25:26], v[16:17]
	v_dual_mov_b32 v16, v25 :: v_dual_mov_b32 v17, v26
	s_or_b32 s17, vcc_lo, s17
	s_delay_alu instid0(SALU_CYCLE_1)
	s_and_not1_b32 exec_lo, exec_lo, s17
	s_cbranch_execnz .LBB188_93
; %bb.94:                               ;   in Loop: Header=BB188_87 Depth=2
	s_or_b32 exec_lo, exec_lo, s17
	s_delay_alu instid0(SALU_CYCLE_1)
	s_xor_b32 s17, exec_lo, -1
.LBB188_95:                             ;   in Loop: Header=BB188_87 Depth=2
	s_or_b32 exec_lo, exec_lo, s16
	s_delay_alu instid0(SALU_CYCLE_1) | instskip(SKIP_1) | instid1(SALU_CYCLE_1)
	s_and_not1_b32 s14, s14, exec_lo
	s_and_b32 s16, s17, exec_lo
	s_or_b32 s14, s14, s16
.LBB188_96:                             ;   in Loop: Header=BB188_87 Depth=2
	s_or_b32 exec_lo, exec_lo, s15
	s_delay_alu instid0(SALU_CYCLE_1)
	s_and_b32 s14, s14, exec_lo
.LBB188_97:                             ;   in Loop: Header=BB188_87 Depth=2
	s_and_not1_saveexec_b32 s13, s13
	s_cbranch_execz .LBB188_86
; %bb.98:                               ;   in Loop: Header=BB188_87 Depth=2
	v_lshlrev_b32_e32 v16, 5, v23
	s_mov_b32 s15, 0
	s_delay_alu instid0(VALU_DEP_1)
	v_add_nc_u32_e32 v24, v36, v16
	ds_load_b64 v[16:17], v24
.LBB188_99:                             ;   Parent Loop BB188_85 Depth=1
                                        ;     Parent Loop BB188_87 Depth=2
                                        ; =>    This Inner Loop Header: Depth=3
	s_waitcnt lgkmcnt(0)
	v_add_f64 v[25:26], v[16:17], v[14:15]
	ds_cmpstore_rtn_b64 v[25:26], v24, v[25:26], v[16:17]
	s_waitcnt lgkmcnt(0)
	v_cmp_eq_u64_e32 vcc_lo, v[25:26], v[16:17]
	v_dual_mov_b32 v16, v25 :: v_dual_mov_b32 v17, v26
	s_or_b32 s15, vcc_lo, s15
	s_delay_alu instid0(SALU_CYCLE_1)
	s_and_not1_b32 exec_lo, exec_lo, s15
	s_cbranch_execnz .LBB188_99
; %bb.100:                              ;   in Loop: Header=BB188_87 Depth=2
	s_or_b32 exec_lo, exec_lo, s15
	s_delay_alu instid0(SALU_CYCLE_1)
	s_and_not1_b32 s14, s14, exec_lo
	s_branch .LBB188_86
.LBB188_101:                            ;   in Loop: Header=BB188_85 Depth=1
	s_or_b32 exec_lo, exec_lo, s12
	s_waitcnt vmcnt(1)
	v_mul_f64 v[12:13], v[4:5], v[12:13]
	v_mov_b32_e32 v16, v22
	s_mov_b32 s12, 0
	s_branch .LBB188_103
.LBB188_102:                            ;   in Loop: Header=BB188_103 Depth=2
	s_or_b32 exec_lo, exec_lo, s13
	s_xor_b32 s13, s14, -1
	s_delay_alu instid0(SALU_CYCLE_1) | instskip(NEXT) | instid1(SALU_CYCLE_1)
	s_and_b32 s13, exec_lo, s13
	s_or_b32 s12, s13, s12
	s_delay_alu instid0(SALU_CYCLE_1)
	s_and_not1_b32 exec_lo, exec_lo, s12
	s_cbranch_execz .LBB188_117
.LBB188_103:                            ;   Parent Loop BB188_85 Depth=1
                                        ; =>  This Loop Header: Depth=2
                                        ;       Child Loop BB188_109 Depth 3
                                        ;       Child Loop BB188_115 Depth 3
	s_delay_alu instid0(VALU_DEP_1)
	v_lshl_add_u32 v14, v16, 2, v34
	s_mov_b32 s13, exec_lo
                                        ; implicit-def: $sgpr14
	ds_load_b32 v15, v14
	s_waitcnt lgkmcnt(0)
	v_cmpx_ne_u32_e64 v15, v21
	s_xor_b32 s13, exec_lo, s13
	s_cbranch_execz .LBB188_113
; %bb.104:                              ;   in Loop: Header=BB188_103 Depth=2
	s_mov_b32 s15, exec_lo
                                        ; implicit-def: $sgpr14
	v_cmpx_ne_u32_e64 s2, v15
	s_xor_b32 s15, exec_lo, s15
; %bb.105:                              ;   in Loop: Header=BB188_103 Depth=2
	v_add_nc_u32_e32 v14, 1, v16
	s_mov_b32 s14, -1
	s_delay_alu instid0(VALU_DEP_1)
	v_and_b32_e32 v16, 15, v14
                                        ; implicit-def: $vgpr14
; %bb.106:                              ;   in Loop: Header=BB188_103 Depth=2
	s_and_not1_saveexec_b32 s15, s15
	s_cbranch_execz .LBB188_112
; %bb.107:                              ;   in Loop: Header=BB188_103 Depth=2
	v_mov_b32_e32 v15, s2
	s_mov_b32 s17, -1
	s_mov_b32 s16, exec_lo
	ds_cmpstore_rtn_b32 v14, v14, v21, v15
	s_waitcnt lgkmcnt(0)
	v_cmpx_eq_u32_e64 s2, v14
	s_cbranch_execz .LBB188_111
; %bb.108:                              ;   in Loop: Header=BB188_103 Depth=2
	v_lshl_add_u32 v17, v16, 5, v18
	s_mov_b32 s17, 0
	ds_load_b64 v[14:15], v17
.LBB188_109:                            ;   Parent Loop BB188_85 Depth=1
                                        ;     Parent Loop BB188_103 Depth=2
                                        ; =>    This Inner Loop Header: Depth=3
	s_waitcnt lgkmcnt(0)
	v_add_f64 v[23:24], v[14:15], v[12:13]
	ds_cmpstore_rtn_b64 v[23:24], v17, v[23:24], v[14:15]
	s_waitcnt lgkmcnt(0)
	v_cmp_eq_u64_e32 vcc_lo, v[23:24], v[14:15]
	v_dual_mov_b32 v14, v23 :: v_dual_mov_b32 v15, v24
	s_or_b32 s17, vcc_lo, s17
	s_delay_alu instid0(SALU_CYCLE_1)
	s_and_not1_b32 exec_lo, exec_lo, s17
	s_cbranch_execnz .LBB188_109
; %bb.110:                              ;   in Loop: Header=BB188_103 Depth=2
	s_or_b32 exec_lo, exec_lo, s17
	s_delay_alu instid0(SALU_CYCLE_1)
	s_xor_b32 s17, exec_lo, -1
.LBB188_111:                            ;   in Loop: Header=BB188_103 Depth=2
	s_or_b32 exec_lo, exec_lo, s16
	s_delay_alu instid0(SALU_CYCLE_1) | instskip(SKIP_1) | instid1(SALU_CYCLE_1)
	s_and_not1_b32 s14, s14, exec_lo
	s_and_b32 s16, s17, exec_lo
	s_or_b32 s14, s14, s16
.LBB188_112:                            ;   in Loop: Header=BB188_103 Depth=2
	s_or_b32 exec_lo, exec_lo, s15
	s_delay_alu instid0(SALU_CYCLE_1)
	s_and_b32 s14, s14, exec_lo
.LBB188_113:                            ;   in Loop: Header=BB188_103 Depth=2
	s_and_not1_saveexec_b32 s13, s13
	s_cbranch_execz .LBB188_102
; %bb.114:                              ;   in Loop: Header=BB188_103 Depth=2
	v_lshl_add_u32 v17, v16, 5, v18
	s_mov_b32 s15, 0
	ds_load_b64 v[14:15], v17
.LBB188_115:                            ;   Parent Loop BB188_85 Depth=1
                                        ;     Parent Loop BB188_103 Depth=2
                                        ; =>    This Inner Loop Header: Depth=3
	s_waitcnt lgkmcnt(0)
	v_add_f64 v[23:24], v[14:15], v[12:13]
	ds_cmpstore_rtn_b64 v[23:24], v17, v[23:24], v[14:15]
	s_waitcnt lgkmcnt(0)
	v_cmp_eq_u64_e32 vcc_lo, v[23:24], v[14:15]
	v_dual_mov_b32 v14, v23 :: v_dual_mov_b32 v15, v24
	s_or_b32 s15, vcc_lo, s15
	s_delay_alu instid0(SALU_CYCLE_1)
	s_and_not1_b32 exec_lo, exec_lo, s15
	s_cbranch_execnz .LBB188_115
; %bb.116:                              ;   in Loop: Header=BB188_103 Depth=2
	s_or_b32 exec_lo, exec_lo, s15
	s_delay_alu instid0(SALU_CYCLE_1)
	s_and_not1_b32 s14, s14, exec_lo
	s_branch .LBB188_102
.LBB188_117:                            ;   in Loop: Header=BB188_85 Depth=1
	s_or_b32 exec_lo, exec_lo, s12
	v_mul_f64 v[10:11], v[4:5], v[10:11]
	v_mov_b32_e32 v14, v22
	s_mov_b32 s12, 0
	s_branch .LBB188_119
.LBB188_118:                            ;   in Loop: Header=BB188_119 Depth=2
	s_or_b32 exec_lo, exec_lo, s13
	s_xor_b32 s13, s14, -1
	s_delay_alu instid0(SALU_CYCLE_1) | instskip(NEXT) | instid1(SALU_CYCLE_1)
	s_and_b32 s13, exec_lo, s13
	s_or_b32 s12, s13, s12
	s_delay_alu instid0(SALU_CYCLE_1)
	s_and_not1_b32 exec_lo, exec_lo, s12
	s_cbranch_execz .LBB188_133
.LBB188_119:                            ;   Parent Loop BB188_85 Depth=1
                                        ; =>  This Loop Header: Depth=2
                                        ;       Child Loop BB188_125 Depth 3
                                        ;       Child Loop BB188_131 Depth 3
	s_delay_alu instid0(VALU_DEP_1)
	v_lshl_add_u32 v12, v14, 2, v34
	s_mov_b32 s13, exec_lo
                                        ; implicit-def: $sgpr14
	ds_load_b32 v13, v12
	s_waitcnt lgkmcnt(0)
	v_cmpx_ne_u32_e64 v13, v21
	s_xor_b32 s13, exec_lo, s13
	s_cbranch_execz .LBB188_129
; %bb.120:                              ;   in Loop: Header=BB188_119 Depth=2
	s_mov_b32 s15, exec_lo
                                        ; implicit-def: $sgpr14
	v_cmpx_ne_u32_e64 s2, v13
	s_xor_b32 s15, exec_lo, s15
; %bb.121:                              ;   in Loop: Header=BB188_119 Depth=2
	v_add_nc_u32_e32 v12, 1, v14
	s_mov_b32 s14, -1
	s_delay_alu instid0(VALU_DEP_1)
	v_and_b32_e32 v14, 15, v12
                                        ; implicit-def: $vgpr12
; %bb.122:                              ;   in Loop: Header=BB188_119 Depth=2
	s_and_not1_saveexec_b32 s15, s15
	s_cbranch_execz .LBB188_128
; %bb.123:                              ;   in Loop: Header=BB188_119 Depth=2
	v_mov_b32_e32 v13, s2
	s_mov_b32 s17, -1
	s_mov_b32 s16, exec_lo
	ds_cmpstore_rtn_b32 v12, v12, v21, v13
	s_waitcnt lgkmcnt(0)
	v_cmpx_eq_u32_e64 s2, v12
	s_cbranch_execz .LBB188_127
; %bb.124:                              ;   in Loop: Header=BB188_119 Depth=2
	v_lshl_add_u32 v15, v14, 5, v19
	s_mov_b32 s17, 0
	ds_load_b64 v[12:13], v15
.LBB188_125:                            ;   Parent Loop BB188_85 Depth=1
                                        ;     Parent Loop BB188_119 Depth=2
                                        ; =>    This Inner Loop Header: Depth=3
	s_waitcnt lgkmcnt(0)
	v_add_f64 v[16:17], v[12:13], v[10:11]
	ds_cmpstore_rtn_b64 v[16:17], v15, v[16:17], v[12:13]
	s_waitcnt lgkmcnt(0)
	v_cmp_eq_u64_e32 vcc_lo, v[16:17], v[12:13]
	v_dual_mov_b32 v12, v16 :: v_dual_mov_b32 v13, v17
	s_or_b32 s17, vcc_lo, s17
	s_delay_alu instid0(SALU_CYCLE_1)
	s_and_not1_b32 exec_lo, exec_lo, s17
	s_cbranch_execnz .LBB188_125
; %bb.126:                              ;   in Loop: Header=BB188_119 Depth=2
	s_or_b32 exec_lo, exec_lo, s17
	s_delay_alu instid0(SALU_CYCLE_1)
	s_xor_b32 s17, exec_lo, -1
.LBB188_127:                            ;   in Loop: Header=BB188_119 Depth=2
	s_or_b32 exec_lo, exec_lo, s16
	s_delay_alu instid0(SALU_CYCLE_1) | instskip(SKIP_1) | instid1(SALU_CYCLE_1)
	s_and_not1_b32 s14, s14, exec_lo
	s_and_b32 s16, s17, exec_lo
	s_or_b32 s14, s14, s16
.LBB188_128:                            ;   in Loop: Header=BB188_119 Depth=2
	s_or_b32 exec_lo, exec_lo, s15
	s_delay_alu instid0(SALU_CYCLE_1)
	s_and_b32 s14, s14, exec_lo
.LBB188_129:                            ;   in Loop: Header=BB188_119 Depth=2
	s_and_not1_saveexec_b32 s13, s13
	s_cbranch_execz .LBB188_118
; %bb.130:                              ;   in Loop: Header=BB188_119 Depth=2
	v_lshl_add_u32 v15, v14, 5, v19
	s_mov_b32 s15, 0
	ds_load_b64 v[12:13], v15
.LBB188_131:                            ;   Parent Loop BB188_85 Depth=1
                                        ;     Parent Loop BB188_119 Depth=2
                                        ; =>    This Inner Loop Header: Depth=3
	s_waitcnt lgkmcnt(0)
	v_add_f64 v[16:17], v[12:13], v[10:11]
	ds_cmpstore_rtn_b64 v[16:17], v15, v[16:17], v[12:13]
	s_waitcnt lgkmcnt(0)
	v_cmp_eq_u64_e32 vcc_lo, v[16:17], v[12:13]
	v_dual_mov_b32 v12, v16 :: v_dual_mov_b32 v13, v17
	s_or_b32 s15, vcc_lo, s15
	s_delay_alu instid0(SALU_CYCLE_1)
	s_and_not1_b32 exec_lo, exec_lo, s15
	s_cbranch_execnz .LBB188_131
; %bb.132:                              ;   in Loop: Header=BB188_119 Depth=2
	s_or_b32 exec_lo, exec_lo, s15
	s_delay_alu instid0(SALU_CYCLE_1)
	s_and_not1_b32 s14, s14, exec_lo
	s_branch .LBB188_118
.LBB188_133:                            ;   in Loop: Header=BB188_85 Depth=1
	s_or_b32 exec_lo, exec_lo, s12
	s_waitcnt vmcnt(0)
	v_mul_f64 v[8:9], v[4:5], v[8:9]
	s_mov_b32 s12, 0
	s_branch .LBB188_135
.LBB188_134:                            ;   in Loop: Header=BB188_135 Depth=2
	s_or_b32 exec_lo, exec_lo, s13
	s_xor_b32 s13, s14, -1
	s_delay_alu instid0(SALU_CYCLE_1) | instskip(NEXT) | instid1(SALU_CYCLE_1)
	s_and_b32 s13, exec_lo, s13
	s_or_b32 s12, s13, s12
	s_delay_alu instid0(SALU_CYCLE_1)
	s_and_not1_b32 exec_lo, exec_lo, s12
	s_cbranch_execz .LBB188_84
.LBB188_135:                            ;   Parent Loop BB188_85 Depth=1
                                        ; =>  This Loop Header: Depth=2
                                        ;       Child Loop BB188_141 Depth 3
                                        ;       Child Loop BB188_147 Depth 3
	v_lshl_add_u32 v10, v22, 2, v34
	s_mov_b32 s13, exec_lo
                                        ; implicit-def: $sgpr14
	ds_load_b32 v11, v10
	s_waitcnt lgkmcnt(0)
	v_cmpx_ne_u32_e64 v11, v21
	s_xor_b32 s13, exec_lo, s13
	s_cbranch_execz .LBB188_145
; %bb.136:                              ;   in Loop: Header=BB188_135 Depth=2
	s_mov_b32 s15, exec_lo
                                        ; implicit-def: $sgpr14
	v_cmpx_ne_u32_e64 s2, v11
	s_xor_b32 s15, exec_lo, s15
; %bb.137:                              ;   in Loop: Header=BB188_135 Depth=2
	v_add_nc_u32_e32 v10, 1, v22
	s_mov_b32 s14, -1
	s_delay_alu instid0(VALU_DEP_1)
	v_and_b32_e32 v22, 15, v10
                                        ; implicit-def: $vgpr10
; %bb.138:                              ;   in Loop: Header=BB188_135 Depth=2
	s_and_not1_saveexec_b32 s15, s15
	s_cbranch_execz .LBB188_144
; %bb.139:                              ;   in Loop: Header=BB188_135 Depth=2
	v_mov_b32_e32 v11, s2
	s_mov_b32 s17, -1
	s_mov_b32 s16, exec_lo
	ds_cmpstore_rtn_b32 v10, v10, v21, v11
	s_waitcnt lgkmcnt(0)
	v_cmpx_eq_u32_e64 s2, v10
	s_cbranch_execz .LBB188_143
; %bb.140:                              ;   in Loop: Header=BB188_135 Depth=2
	v_lshl_add_u32 v12, v22, 5, v20
	s_mov_b32 s17, 0
	ds_load_b64 v[10:11], v12
.LBB188_141:                            ;   Parent Loop BB188_85 Depth=1
                                        ;     Parent Loop BB188_135 Depth=2
                                        ; =>    This Inner Loop Header: Depth=3
	s_waitcnt lgkmcnt(0)
	v_add_f64 v[13:14], v[10:11], v[8:9]
	ds_cmpstore_rtn_b64 v[13:14], v12, v[13:14], v[10:11]
	s_waitcnt lgkmcnt(0)
	v_cmp_eq_u64_e32 vcc_lo, v[13:14], v[10:11]
	v_dual_mov_b32 v10, v13 :: v_dual_mov_b32 v11, v14
	s_or_b32 s17, vcc_lo, s17
	s_delay_alu instid0(SALU_CYCLE_1)
	s_and_not1_b32 exec_lo, exec_lo, s17
	s_cbranch_execnz .LBB188_141
; %bb.142:                              ;   in Loop: Header=BB188_135 Depth=2
	s_or_b32 exec_lo, exec_lo, s17
	s_delay_alu instid0(SALU_CYCLE_1)
	s_xor_b32 s17, exec_lo, -1
.LBB188_143:                            ;   in Loop: Header=BB188_135 Depth=2
	s_or_b32 exec_lo, exec_lo, s16
	s_delay_alu instid0(SALU_CYCLE_1) | instskip(SKIP_1) | instid1(SALU_CYCLE_1)
	s_and_not1_b32 s14, s14, exec_lo
	s_and_b32 s16, s17, exec_lo
	s_or_b32 s14, s14, s16
.LBB188_144:                            ;   in Loop: Header=BB188_135 Depth=2
	s_or_b32 exec_lo, exec_lo, s15
	s_delay_alu instid0(SALU_CYCLE_1)
	s_and_b32 s14, s14, exec_lo
.LBB188_145:                            ;   in Loop: Header=BB188_135 Depth=2
	s_and_not1_saveexec_b32 s13, s13
	s_cbranch_execz .LBB188_134
; %bb.146:                              ;   in Loop: Header=BB188_135 Depth=2
	v_lshl_add_u32 v12, v22, 5, v20
	s_mov_b32 s15, 0
	ds_load_b64 v[10:11], v12
.LBB188_147:                            ;   Parent Loop BB188_85 Depth=1
                                        ;     Parent Loop BB188_135 Depth=2
                                        ; =>    This Inner Loop Header: Depth=3
	s_waitcnt lgkmcnt(0)
	v_add_f64 v[13:14], v[10:11], v[8:9]
	ds_cmpstore_rtn_b64 v[13:14], v12, v[13:14], v[10:11]
	s_waitcnt lgkmcnt(0)
	v_cmp_eq_u64_e32 vcc_lo, v[13:14], v[10:11]
	v_dual_mov_b32 v10, v13 :: v_dual_mov_b32 v11, v14
	s_or_b32 s15, vcc_lo, s15
	s_delay_alu instid0(SALU_CYCLE_1)
	s_and_not1_b32 exec_lo, exec_lo, s15
	s_cbranch_execnz .LBB188_147
; %bb.148:                              ;   in Loop: Header=BB188_135 Depth=2
	s_or_b32 exec_lo, exec_lo, s15
	s_delay_alu instid0(SALU_CYCLE_1)
	s_and_not1_b32 s14, s14, exec_lo
	s_branch .LBB188_134
.LBB188_149:
	s_or_b32 exec_lo, exec_lo, s1
.LBB188_150:
	buffer_gl0_inv
	ds_load_b32 v0, v37
	s_waitcnt lgkmcnt(0)
	v_cmp_gt_i32_e32 vcc_lo, s2, v0
	s_and_b32 exec_lo, exec_lo, vcc_lo
	s_cbranch_execz .LBB188_152
; %bb.151:
	v_add_co_u32 v1, vcc_lo, s10, v6
	v_add_co_ci_u32_e32 v2, vcc_lo, s11, v7, vcc_lo
	v_lshlrev_b32_e32 v9, 2, v35
	s_cmp_eq_u32 s0, 0
	v_lshl_add_u32 v17, v35, 5, v36
	global_load_b64 v[21:22], v[1:2], off
	ds_load_b128 v[1:4], v34
	ds_load_b128 v[5:8], v34 offset:16
	s_cselect_b32 s0, 1, 2
	s_cselect_b32 s1, 2, 1
	v_or_b32_e32 v23, s0, v9
	v_or_b32_e32 v24, s1, v9
	ds_load_b128 v[9:12], v34 offset:32
	ds_load_b128 v[13:16], v34 offset:48
	ds_load_2addr_b64 v[17:20], v17 offset1:3
	v_lshl_add_u32 v23, v23, 3, v36
	v_lshl_add_u32 v24, v24, 3, v36
	s_waitcnt lgkmcnt(4)
	v_cmp_gt_i32_e32 vcc_lo, v0, v1
	v_cndmask_b32_e64 v1, 0, 1, vcc_lo
	s_waitcnt vmcnt(0)
	v_sub_co_u32 v21, vcc_lo, v21, s26
	v_subrev_co_ci_u32_e32 v22, vcc_lo, 0, v22, vcc_lo
	v_cmp_gt_i32_e32 vcc_lo, v0, v2
	v_cndmask_b32_e64 v2, 0, 1, vcc_lo
	s_delay_alu instid0(VALU_DEP_4) | instskip(NEXT) | instid1(VALU_DEP_4)
	v_add_co_u32 v1, vcc_lo, v21, v1
	v_add_co_ci_u32_e32 v21, vcc_lo, 0, v22, vcc_lo
	v_cmp_gt_i32_e32 vcc_lo, v0, v3
	v_cndmask_b32_e64 v3, 0, 1, vcc_lo
	s_delay_alu instid0(VALU_DEP_4) | instskip(NEXT) | instid1(VALU_DEP_4)
	v_add_co_u32 v1, vcc_lo, v1, v2
	v_add_co_ci_u32_e32 v2, vcc_lo, 0, v21, vcc_lo
	v_cmp_gt_i32_e32 vcc_lo, v0, v4
	v_cndmask_b32_e64 v4, 0, 1, vcc_lo
	s_delay_alu instid0(VALU_DEP_4) | instskip(NEXT) | instid1(VALU_DEP_4)
	v_add_co_u32 v1, vcc_lo, v1, v3
	v_add_co_ci_u32_e32 v2, vcc_lo, 0, v2, vcc_lo
	s_waitcnt lgkmcnt(3)
	v_cmp_gt_i32_e32 vcc_lo, v0, v5
	v_cndmask_b32_e64 v3, 0, 1, vcc_lo
	v_add_co_u32 v1, vcc_lo, v1, v4
	v_add_co_ci_u32_e32 v2, vcc_lo, 0, v2, vcc_lo
	v_cmp_gt_i32_e32 vcc_lo, v0, v6
	v_cndmask_b32_e64 v4, 0, 1, vcc_lo
	s_delay_alu instid0(VALU_DEP_4) | instskip(NEXT) | instid1(VALU_DEP_4)
	v_add_co_u32 v1, vcc_lo, v1, v3
	v_add_co_ci_u32_e32 v2, vcc_lo, 0, v2, vcc_lo
	v_cmp_gt_i32_e32 vcc_lo, v0, v7
	v_cndmask_b32_e64 v3, 0, 1, vcc_lo
	s_delay_alu instid0(VALU_DEP_4) | instskip(NEXT) | instid1(VALU_DEP_4)
	v_add_co_u32 v1, vcc_lo, v1, v4
	v_add_co_ci_u32_e32 v2, vcc_lo, 0, v2, vcc_lo
	v_cmp_gt_i32_e32 vcc_lo, v0, v8
	v_cndmask_b32_e64 v4, 0, 1, vcc_lo
	s_delay_alu instid0(VALU_DEP_4) | instskip(NEXT) | instid1(VALU_DEP_4)
	v_add_co_u32 v1, vcc_lo, v1, v3
	v_add_co_ci_u32_e32 v2, vcc_lo, 0, v2, vcc_lo
	s_waitcnt lgkmcnt(2)
	v_cmp_gt_i32_e32 vcc_lo, v0, v9
	v_cndmask_b32_e64 v3, 0, 1, vcc_lo
	v_add_co_u32 v1, vcc_lo, v1, v4
	v_add_co_ci_u32_e32 v2, vcc_lo, 0, v2, vcc_lo
	;; [unrolled: 20-line block ×3, first 2 shown]
	v_cmp_gt_i32_e32 vcc_lo, v0, v14
	v_cndmask_b32_e64 v4, 0, 1, vcc_lo
	s_delay_alu instid0(VALU_DEP_4) | instskip(NEXT) | instid1(VALU_DEP_4)
	v_add_co_u32 v1, vcc_lo, v1, v3
	v_add_co_ci_u32_e32 v2, vcc_lo, 0, v2, vcc_lo
	v_cmp_gt_i32_e32 vcc_lo, v0, v15
	v_cndmask_b32_e64 v3, 0, 1, vcc_lo
	s_delay_alu instid0(VALU_DEP_4) | instskip(NEXT) | instid1(VALU_DEP_4)
	v_add_co_u32 v1, vcc_lo, v1, v4
	v_add_co_ci_u32_e32 v2, vcc_lo, 0, v2, vcc_lo
	v_cmp_gt_i32_e32 vcc_lo, v0, v16
	v_add_nc_u32_e32 v0, s26, v0
	v_cndmask_b32_e64 v4, 0, 1, vcc_lo
	v_add_co_u32 v3, vcc_lo, v1, v3
	v_add_co_ci_u32_e32 v2, vcc_lo, 0, v2, vcc_lo
	s_waitcnt lgkmcnt(0)
	v_mov_b32_e32 v1, v17
	s_delay_alu instid0(VALU_DEP_3) | instskip(NEXT) | instid1(VALU_DEP_3)
	v_add_co_u32 v5, vcc_lo, v3, v4
	v_add_co_ci_u32_e32 v6, vcc_lo, 0, v2, vcc_lo
	v_mov_b32_e32 v2, v18
	ds_load_b64 v[3:4], v23
	ds_load_b64 v[17:18], v24
	v_lshlrev_b64 v[7:8], 2, v[5:6]
	v_lshlrev_b64 v[5:6], 5, v[5:6]
	s_delay_alu instid0(VALU_DEP_2) | instskip(NEXT) | instid1(VALU_DEP_3)
	v_add_co_u32 v7, vcc_lo, s28, v7
	v_add_co_ci_u32_e32 v8, vcc_lo, s29, v8, vcc_lo
	s_delay_alu instid0(VALU_DEP_3) | instskip(NEXT) | instid1(VALU_DEP_4)
	v_add_co_u32 v5, vcc_lo, s30, v5
	v_add_co_ci_u32_e32 v6, vcc_lo, s31, v6, vcc_lo
	global_store_b32 v[7:8], v0, off
	s_waitcnt lgkmcnt(1)
	global_store_b128 v[5:6], v[1:4], off
	s_waitcnt lgkmcnt(0)
	global_store_b128 v[5:6], v[17:20], off offset:16
.LBB188_152:
	s_nop 0
	s_sendmsg sendmsg(MSG_DEALLOC_VGPRS)
	s_endpgm
	.section	.rodata,"a",@progbits
	.p2align	6, 0x0
	.amdhsa_kernel _ZN9rocsparseL27bsrgemm_fill_wf_per_row_2x2ILj256ELj16ELj16ELj137ElidEEv20rocsparse_direction_T4_S2_PKS2_S4_NS_24const_host_device_scalarIT5_EEPKT3_S4_PKS6_SA_S4_SC_S7_SA_S4_SC_SA_PS2_PS6_21rocsparse_index_base_SF_SF_SF_bbb
		.amdhsa_group_segment_fixed_size 9216
		.amdhsa_private_segment_fixed_size 0
		.amdhsa_kernarg_size 164
		.amdhsa_user_sgpr_count 15
		.amdhsa_user_sgpr_dispatch_ptr 0
		.amdhsa_user_sgpr_queue_ptr 0
		.amdhsa_user_sgpr_kernarg_segment_ptr 1
		.amdhsa_user_sgpr_dispatch_id 0
		.amdhsa_user_sgpr_private_segment_size 0
		.amdhsa_wavefront_size32 1
		.amdhsa_uses_dynamic_stack 0
		.amdhsa_enable_private_segment 0
		.amdhsa_system_sgpr_workgroup_id_x 1
		.amdhsa_system_sgpr_workgroup_id_y 0
		.amdhsa_system_sgpr_workgroup_id_z 0
		.amdhsa_system_sgpr_workgroup_info 0
		.amdhsa_system_vgpr_workitem_id 0
		.amdhsa_next_free_vgpr 47
		.amdhsa_next_free_sgpr 44
		.amdhsa_reserve_vcc 1
		.amdhsa_float_round_mode_32 0
		.amdhsa_float_round_mode_16_64 0
		.amdhsa_float_denorm_mode_32 3
		.amdhsa_float_denorm_mode_16_64 3
		.amdhsa_dx10_clamp 1
		.amdhsa_ieee_mode 1
		.amdhsa_fp16_overflow 0
		.amdhsa_workgroup_processor_mode 1
		.amdhsa_memory_ordered 1
		.amdhsa_forward_progress 0
		.amdhsa_shared_vgpr_count 0
		.amdhsa_exception_fp_ieee_invalid_op 0
		.amdhsa_exception_fp_denorm_src 0
		.amdhsa_exception_fp_ieee_div_zero 0
		.amdhsa_exception_fp_ieee_overflow 0
		.amdhsa_exception_fp_ieee_underflow 0
		.amdhsa_exception_fp_ieee_inexact 0
		.amdhsa_exception_int_div_zero 0
	.end_amdhsa_kernel
	.section	.text._ZN9rocsparseL27bsrgemm_fill_wf_per_row_2x2ILj256ELj16ELj16ELj137ElidEEv20rocsparse_direction_T4_S2_PKS2_S4_NS_24const_host_device_scalarIT5_EEPKT3_S4_PKS6_SA_S4_SC_S7_SA_S4_SC_SA_PS2_PS6_21rocsparse_index_base_SF_SF_SF_bbb,"axG",@progbits,_ZN9rocsparseL27bsrgemm_fill_wf_per_row_2x2ILj256ELj16ELj16ELj137ElidEEv20rocsparse_direction_T4_S2_PKS2_S4_NS_24const_host_device_scalarIT5_EEPKT3_S4_PKS6_SA_S4_SC_S7_SA_S4_SC_SA_PS2_PS6_21rocsparse_index_base_SF_SF_SF_bbb,comdat
.Lfunc_end188:
	.size	_ZN9rocsparseL27bsrgemm_fill_wf_per_row_2x2ILj256ELj16ELj16ELj137ElidEEv20rocsparse_direction_T4_S2_PKS2_S4_NS_24const_host_device_scalarIT5_EEPKT3_S4_PKS6_SA_S4_SC_S7_SA_S4_SC_SA_PS2_PS6_21rocsparse_index_base_SF_SF_SF_bbb, .Lfunc_end188-_ZN9rocsparseL27bsrgemm_fill_wf_per_row_2x2ILj256ELj16ELj16ELj137ElidEEv20rocsparse_direction_T4_S2_PKS2_S4_NS_24const_host_device_scalarIT5_EEPKT3_S4_PKS6_SA_S4_SC_S7_SA_S4_SC_SA_PS2_PS6_21rocsparse_index_base_SF_SF_SF_bbb
                                        ; -- End function
	.section	.AMDGPU.csdata,"",@progbits
; Kernel info:
; codeLenInByte = 5448
; NumSgprs: 46
; NumVgprs: 47
; ScratchSize: 0
; MemoryBound: 0
; FloatMode: 240
; IeeeMode: 1
; LDSByteSize: 9216 bytes/workgroup (compile time only)
; SGPRBlocks: 5
; VGPRBlocks: 5
; NumSGPRsForWavesPerEU: 46
; NumVGPRsForWavesPerEU: 47
; Occupancy: 16
; WaveLimiterHint : 1
; COMPUTE_PGM_RSRC2:SCRATCH_EN: 0
; COMPUTE_PGM_RSRC2:USER_SGPR: 15
; COMPUTE_PGM_RSRC2:TRAP_HANDLER: 0
; COMPUTE_PGM_RSRC2:TGID_X_EN: 1
; COMPUTE_PGM_RSRC2:TGID_Y_EN: 0
; COMPUTE_PGM_RSRC2:TGID_Z_EN: 0
; COMPUTE_PGM_RSRC2:TIDIG_COMP_CNT: 0
	.section	.text._ZN9rocsparseL27bsrgemm_fill_wf_per_row_2x2ILj256ELj16ELj32ELj137ElidEEv20rocsparse_direction_T4_S2_PKS2_S4_NS_24const_host_device_scalarIT5_EEPKT3_S4_PKS6_SA_S4_SC_S7_SA_S4_SC_SA_PS2_PS6_21rocsparse_index_base_SF_SF_SF_bbb,"axG",@progbits,_ZN9rocsparseL27bsrgemm_fill_wf_per_row_2x2ILj256ELj16ELj32ELj137ElidEEv20rocsparse_direction_T4_S2_PKS2_S4_NS_24const_host_device_scalarIT5_EEPKT3_S4_PKS6_SA_S4_SC_S7_SA_S4_SC_SA_PS2_PS6_21rocsparse_index_base_SF_SF_SF_bbb,comdat
	.globl	_ZN9rocsparseL27bsrgemm_fill_wf_per_row_2x2ILj256ELj16ELj32ELj137ElidEEv20rocsparse_direction_T4_S2_PKS2_S4_NS_24const_host_device_scalarIT5_EEPKT3_S4_PKS6_SA_S4_SC_S7_SA_S4_SC_SA_PS2_PS6_21rocsparse_index_base_SF_SF_SF_bbb ; -- Begin function _ZN9rocsparseL27bsrgemm_fill_wf_per_row_2x2ILj256ELj16ELj32ELj137ElidEEv20rocsparse_direction_T4_S2_PKS2_S4_NS_24const_host_device_scalarIT5_EEPKT3_S4_PKS6_SA_S4_SC_S7_SA_S4_SC_SA_PS2_PS6_21rocsparse_index_base_SF_SF_SF_bbb
	.p2align	8
	.type	_ZN9rocsparseL27bsrgemm_fill_wf_per_row_2x2ILj256ELj16ELj32ELj137ElidEEv20rocsparse_direction_T4_S2_PKS2_S4_NS_24const_host_device_scalarIT5_EEPKT3_S4_PKS6_SA_S4_SC_S7_SA_S4_SC_SA_PS2_PS6_21rocsparse_index_base_SF_SF_SF_bbb,@function
_ZN9rocsparseL27bsrgemm_fill_wf_per_row_2x2ILj256ELj16ELj32ELj137ElidEEv20rocsparse_direction_T4_S2_PKS2_S4_NS_24const_host_device_scalarIT5_EEPKT3_S4_PKS6_SA_S4_SC_S7_SA_S4_SC_SA_PS2_PS6_21rocsparse_index_base_SF_SF_SF_bbb: ; @_ZN9rocsparseL27bsrgemm_fill_wf_per_row_2x2ILj256ELj16ELj32ELj137ElidEEv20rocsparse_direction_T4_S2_PKS2_S4_NS_24const_host_device_scalarIT5_EEPKT3_S4_PKS6_SA_S4_SC_S7_SA_S4_SC_SA_PS2_PS6_21rocsparse_index_base_SF_SF_SF_bbb
; %bb.0:
	s_clause 0x3
	s_load_b32 s12, s[0:1], 0xa0
	s_load_b64 s[4:5], s[0:1], 0x20
	s_load_b128 s[24:27], s[0:1], 0x90
	s_load_b64 s[2:3], s[0:1], 0x58
	s_waitcnt lgkmcnt(0)
	s_and_b32 s6, 1, s12
	s_bitcmp1_b32 s12, 16
	s_cselect_b32 s14, -1, 0
	s_cmp_eq_u32 s6, 1
	s_cselect_b32 s13, -1, 0
	s_delay_alu instid0(SALU_CYCLE_1)
	s_and_b32 s6, s13, exec_lo
	s_cselect_b32 s7, s5, 0
	s_cselect_b32 s6, s4, 0
	s_xor_b32 s8, s13, -1
	v_dual_mov_b32 v9, s7 :: v_dual_mov_b32 v8, s6
	s_or_b32 s8, s8, s14
	s_delay_alu instid0(SALU_CYCLE_1)
	s_and_b32 vcc_lo, exec_lo, s8
	s_cbranch_vccnz .LBB189_2
; %bb.1:
	v_dual_mov_b32 v1, s4 :: v_dual_mov_b32 v2, s5
	flat_load_b64 v[8:9], v[1:2]
.LBB189_2:
	s_clause 0x4
	s_load_b128 s[28:31], s[0:1], 0x80
	s_load_b256 s[4:11], s[0:1], 0x60
	s_load_b128 s[36:39], s[0:1], 0x48
	s_load_b128 s[40:43], s[0:1], 0x10
	s_load_b256 s[16:23], s[0:1], 0x28
	s_bitcmp1_b32 s12, 8
	s_cselect_b32 s12, -1, 0
	s_delay_alu instid0(SALU_CYCLE_1)
	s_and_b32 s33, s12, exec_lo
	s_cselect_b32 s35, s3, 0
	s_cselect_b32 s34, s2, 0
	s_xor_b32 s33, s12, -1
	v_dual_mov_b32 v4, s34 :: v_dual_mov_b32 v5, s35
	s_or_b32 s14, s33, s14
	s_delay_alu instid0(SALU_CYCLE_1)
	s_and_b32 vcc_lo, exec_lo, s14
	s_cbranch_vccnz .LBB189_4
; %bb.3:
	v_dual_mov_b32 v1, s2 :: v_dual_mov_b32 v2, s3
	flat_load_b64 v[4:5], v[1:2]
.LBB189_4:
	s_load_b128 s[0:3], s[0:1], 0x0
	v_lshrrev_b32_e32 v2, 4, v0
	v_and_b32_e32 v37, 15, v0
	s_waitcnt lgkmcnt(0)
	s_mov_b32 s3, 0
	s_delay_alu instid0(VALU_DEP_2) | instskip(NEXT) | instid1(VALU_DEP_2)
	v_lshlrev_b32_e32 v3, 7, v2
	v_dual_mov_b32 v1, s2 :: v_dual_lshlrev_b32 v0, 2, v37
	s_delay_alu instid0(VALU_DEP_1) | instskip(NEXT) | instid1(VALU_DEP_1)
	v_or3_b32 v34, v3, v0, 0x4000
	v_mov_b32_e32 v0, v34
	v_or_b32_e32 v35, -16, v37
	s_delay_alu instid0(VALU_DEP_1)
	v_mov_b32_e32 v6, v35
.LBB189_5:                              ; =>This Inner Loop Header: Depth=1
	s_delay_alu instid0(VALU_DEP_1) | instskip(NEXT) | instid1(VALU_DEP_1)
	v_add_co_u32 v6, s14, v6, 16
	s_xor_b32 s14, s14, -1
	ds_store_b32 v0, v1
	v_add_nc_u32_e32 v0, 64, v0
	s_and_b32 s14, exec_lo, s14
	s_delay_alu instid0(SALU_CYCLE_1) | instskip(NEXT) | instid1(SALU_CYCLE_1)
	s_or_b32 s3, s14, s3
	s_and_not1_b32 exec_lo, exec_lo, s3
	s_cbranch_execnz .LBB189_5
; %bb.6:
	s_or_b32 exec_lo, exec_lo, s3
	v_dual_mov_b32 v0, 0 :: v_dual_mov_b32 v7, v35
	v_lshlrev_b32_e32 v38, 10, v2
	s_mov_b32 s3, 0
	s_delay_alu instid0(VALU_DEP_2) | instskip(NEXT) | instid1(VALU_DEP_2)
	v_mov_b32_e32 v1, v0
	v_lshl_or_b32 v6, v37, 3, v38
.LBB189_7:                              ; =>This Inner Loop Header: Depth=1
	v_add_nc_u32_e32 v7, 16, v7
	ds_store_b64 v6, v[0:1]
	v_add_nc_u32_e32 v6, 0x80, v6
	v_cmp_lt_u32_e32 vcc_lo, 0x6f, v7
	s_or_b32 s3, vcc_lo, s3
	s_delay_alu instid0(SALU_CYCLE_1)
	s_and_not1_b32 exec_lo, exec_lo, s3
	s_cbranch_execnz .LBB189_7
; %bb.8:
	s_or_b32 exec_lo, exec_lo, s3
	v_lshl_or_b32 v0, s15, 4, v2
	s_waitcnt vmcnt(0) lgkmcnt(0)
	s_barrier
	buffer_gl0_inv
	v_cmp_gt_i32_e32 vcc_lo, s1, v0
	s_and_saveexec_b32 s1, vcc_lo
	s_cbranch_execz .LBB189_156
; %bb.9:
	s_cmp_eq_u64 s[42:43], 0
	s_cbranch_scc1 .LBB189_11
; %bb.10:
	s_load_b32 s1, s[40:41], 0x0
	s_waitcnt lgkmcnt(0)
	v_add_nc_u32_e32 v0, s1, v0
	s_delay_alu instid0(VALU_DEP_1) | instskip(NEXT) | instid1(VALU_DEP_1)
	v_ashrrev_i32_e32 v1, 31, v0
	v_lshlrev_b64 v[0:1], 2, v[0:1]
	s_delay_alu instid0(VALU_DEP_1) | instskip(NEXT) | instid1(VALU_DEP_2)
	v_add_co_u32 v0, vcc_lo, s42, v0
	v_add_co_ci_u32_e32 v1, vcc_lo, s43, v1, vcc_lo
	global_load_b32 v0, v[0:1], off
.LBB189_11:
	s_waitcnt vmcnt(0)
	v_ashrrev_i32_e32 v1, 31, v0
	v_lshlrev_b32_e32 v39, 3, v3
	v_lshl_or_b32 v36, v2, 7, 0x4000
	s_and_not1_b32 vcc_lo, exec_lo, s13
	s_delay_alu instid0(VALU_DEP_3)
	v_lshlrev_b64 v[6:7], 3, v[0:1]
	s_cbranch_vccnz .LBB189_83
; %bb.12:
	s_delay_alu instid0(VALU_DEP_1) | instskip(NEXT) | instid1(VALU_DEP_2)
	v_add_co_u32 v0, vcc_lo, s16, v6
	v_add_co_ci_u32_e32 v1, vcc_lo, s17, v7, vcc_lo
	v_sub_co_u32 v12, s1, v37, s24
	s_delay_alu instid0(VALU_DEP_1)
	v_sub_co_ci_u32_e64 v13, null, 0, 0, s1
	global_load_b128 v[0:3], v[0:1], off
	s_mov_b32 s3, 0
	s_mov_b32 s1, exec_lo
	s_waitcnt vmcnt(0)
	v_sub_co_u32 v10, vcc_lo, v2, s24
	v_subrev_co_ci_u32_e32 v11, vcc_lo, 0, v3, vcc_lo
	v_add_co_u32 v12, vcc_lo, v0, v12
	v_add_co_ci_u32_e32 v13, vcc_lo, v1, v13, vcc_lo
	s_delay_alu instid0(VALU_DEP_1)
	v_cmpx_lt_i64_e64 v[12:13], v[10:11]
	s_cbranch_execz .LBB189_82
; %bb.13:
	v_add_nc_u32_e32 v40, 8, v39
	v_add_nc_u32_e32 v41, 16, v39
	;; [unrolled: 1-line block ×3, first 2 shown]
	s_cmp_eq_u32 s0, 0
	s_mov_b32 s13, s25
	s_cselect_b32 s14, 1, 2
	s_cselect_b32 s15, 2, 1
	s_branch .LBB189_15
.LBB189_14:                             ;   in Loop: Header=BB189_15 Depth=1
	s_or_b32 exec_lo, exec_lo, s16
	v_add_co_u32 v12, vcc_lo, v12, 16
	v_add_co_ci_u32_e32 v13, vcc_lo, 0, v13, vcc_lo
	s_delay_alu instid0(VALU_DEP_1) | instskip(SKIP_1) | instid1(SALU_CYCLE_1)
	v_cmp_ge_i64_e32 vcc_lo, v[12:13], v[10:11]
	s_or_b32 s3, vcc_lo, s3
	s_and_not1_b32 exec_lo, exec_lo, s3
	s_cbranch_execz .LBB189_82
.LBB189_15:                             ; =>This Loop Header: Depth=1
                                        ;     Child Loop BB189_18 Depth 2
                                        ;       Child Loop BB189_20 Depth 3
                                        ;         Child Loop BB189_26 Depth 4
                                        ;         Child Loop BB189_32 Depth 4
                                        ;       Child Loop BB189_36 Depth 3
                                        ;         Child Loop BB189_42 Depth 4
                                        ;         Child Loop BB189_48 Depth 4
	;; [unrolled: 3-line block ×4, first 2 shown]
	v_lshlrev_b64 v[14:15], 2, v[12:13]
	s_mov_b32 s16, exec_lo
	s_delay_alu instid0(VALU_DEP_1) | instskip(NEXT) | instid1(VALU_DEP_2)
	v_add_co_u32 v0, vcc_lo, s18, v14
	v_add_co_ci_u32_e32 v1, vcc_lo, s19, v15, vcc_lo
	global_load_b32 v0, v[0:1], off
	s_waitcnt vmcnt(0)
	v_subrev_nc_u32_e32 v0, s24, v0
	s_delay_alu instid0(VALU_DEP_1) | instskip(NEXT) | instid1(VALU_DEP_1)
	v_ashrrev_i32_e32 v1, 31, v0
	v_lshlrev_b64 v[0:1], 3, v[0:1]
	s_delay_alu instid0(VALU_DEP_1) | instskip(NEXT) | instid1(VALU_DEP_2)
	v_add_co_u32 v0, vcc_lo, s22, v0
	v_add_co_ci_u32_e32 v1, vcc_lo, s23, v1, vcc_lo
	global_load_b128 v[0:3], v[0:1], off
	s_waitcnt vmcnt(0)
	v_cmpx_lt_i64_e64 v[0:1], v[2:3]
	s_cbranch_execz .LBB189_14
; %bb.16:                               ;   in Loop: Header=BB189_15 Depth=1
	v_or_b32_e32 v17, 0, v15
	v_or_b32_e32 v16, s15, v14
	v_lshlrev_b64 v[18:19], 5, v[12:13]
	v_or_b32_e32 v15, 0, v15
	v_or_b32_e32 v14, s14, v14
	s_mov_b32 s17, 0
	v_lshlrev_b64 v[16:17], 3, v[16:17]
	s_delay_alu instid0(VALU_DEP_4) | instskip(NEXT) | instid1(VALU_DEP_3)
	v_add_co_u32 v18, vcc_lo, s20, v18
	v_lshlrev_b64 v[14:15], 3, v[14:15]
	v_add_co_ci_u32_e32 v19, vcc_lo, s21, v19, vcc_lo
	s_delay_alu instid0(VALU_DEP_4) | instskip(SKIP_1) | instid1(VALU_DEP_4)
	v_add_co_u32 v16, vcc_lo, s20, v16
	v_add_co_ci_u32_e32 v17, vcc_lo, s21, v17, vcc_lo
	v_add_co_u32 v14, vcc_lo, s20, v14
	v_add_co_ci_u32_e32 v15, vcc_lo, s21, v15, vcc_lo
	s_clause 0x3
	global_load_b64 v[20:21], v[18:19], off offset:24
	global_load_b64 v[16:17], v[16:17], off
	global_load_b64 v[22:23], v[14:15], off
	;; [unrolled: 1-line block ×3, first 2 shown]
	v_sub_co_u32 v2, vcc_lo, v2, s13
	v_subrev_co_ci_u32_e32 v3, vcc_lo, 0, v3, vcc_lo
	v_sub_co_u32 v0, vcc_lo, v0, s13
	v_subrev_co_ci_u32_e32 v1, vcc_lo, 0, v1, vcc_lo
	s_waitcnt vmcnt(3)
	v_mul_f64 v[14:15], v[8:9], v[20:21]
	s_waitcnt vmcnt(2)
	v_mul_f64 v[16:17], v[8:9], v[16:17]
	s_waitcnt vmcnt(1)
	v_mul_f64 v[20:21], v[8:9], v[22:23]
	s_waitcnt vmcnt(0)
	v_mul_f64 v[18:19], v[8:9], v[18:19]
	s_branch .LBB189_18
.LBB189_17:                             ;   in Loop: Header=BB189_18 Depth=2
	s_or_b32 exec_lo, exec_lo, s33
	v_add_co_u32 v0, vcc_lo, v0, 1
	v_add_co_ci_u32_e32 v1, vcc_lo, 0, v1, vcc_lo
	s_delay_alu instid0(VALU_DEP_1) | instskip(SKIP_1) | instid1(SALU_CYCLE_1)
	v_cmp_ge_i64_e32 vcc_lo, v[0:1], v[2:3]
	s_or_b32 s17, vcc_lo, s17
	s_and_not1_b32 exec_lo, exec_lo, s17
	s_cbranch_execz .LBB189_14
.LBB189_18:                             ;   Parent Loop BB189_15 Depth=1
                                        ; =>  This Loop Header: Depth=2
                                        ;       Child Loop BB189_20 Depth 3
                                        ;         Child Loop BB189_26 Depth 4
                                        ;         Child Loop BB189_32 Depth 4
                                        ;       Child Loop BB189_36 Depth 3
                                        ;         Child Loop BB189_42 Depth 4
                                        ;         Child Loop BB189_48 Depth 4
                                        ;       Child Loop BB189_52 Depth 3
                                        ;         Child Loop BB189_58 Depth 4
                                        ;         Child Loop BB189_64 Depth 4
                                        ;       Child Loop BB189_68 Depth 3
                                        ;         Child Loop BB189_74 Depth 4
                                        ;         Child Loop BB189_80 Depth 4
	v_lshlrev_b64 v[22:23], 2, v[0:1]
	s_mov_b32 s33, 0
	s_delay_alu instid0(VALU_DEP_1) | instskip(NEXT) | instid1(VALU_DEP_2)
	v_or_b32_e32 v25, 0, v23
	v_or_b32_e32 v24, s15, v22
	s_delay_alu instid0(VALU_DEP_1) | instskip(NEXT) | instid1(VALU_DEP_1)
	v_lshlrev_b64 v[24:25], 3, v[24:25]
	v_add_co_u32 v24, vcc_lo, s38, v24
	s_delay_alu instid0(VALU_DEP_2) | instskip(SKIP_2) | instid1(VALU_DEP_1)
	v_add_co_ci_u32_e32 v25, vcc_lo, s39, v25, vcc_lo
	global_load_b64 v[26:27], v[24:25], off
	v_lshlrev_b64 v[24:25], 5, v[0:1]
	v_add_co_u32 v24, vcc_lo, s38, v24
	s_delay_alu instid0(VALU_DEP_2)
	v_add_co_ci_u32_e32 v25, vcc_lo, s39, v25, vcc_lo
	v_add_co_u32 v30, vcc_lo, s36, v22
	v_add_co_ci_u32_e32 v31, vcc_lo, s37, v23, vcc_lo
	global_load_b64 v[28:29], v[24:25], off
	v_or_b32_e32 v23, 0, v23
	v_or_b32_e32 v22, s14, v22
	global_load_b32 v32, v[30:31], off
	v_lshlrev_b64 v[22:23], 3, v[22:23]
	s_delay_alu instid0(VALU_DEP_1) | instskip(NEXT) | instid1(VALU_DEP_2)
	v_add_co_u32 v22, vcc_lo, s38, v22
	v_add_co_ci_u32_e32 v23, vcc_lo, s39, v23, vcc_lo
	s_clause 0x1
	global_load_b64 v[22:23], v[22:23], off
	global_load_b64 v[24:25], v[24:25], off offset:24
	s_waitcnt vmcnt(4)
	v_mul_f64 v[30:31], v[20:21], v[26:27]
	s_waitcnt vmcnt(2)
	v_subrev_nc_u32_e32 v43, s25, v32
	s_delay_alu instid0(VALU_DEP_1) | instskip(NEXT) | instid1(VALU_DEP_1)
	v_lshl_add_u32 v32, v43, 3, v43
	v_and_b32_e32 v44, 31, v32
	s_delay_alu instid0(VALU_DEP_1)
	v_mov_b32_e32 v45, v44
	v_fma_f64 v[30:31], v[18:19], v[28:29], v[30:31]
	s_branch .LBB189_20
.LBB189_19:                             ;   in Loop: Header=BB189_20 Depth=3
	s_or_b32 exec_lo, exec_lo, s34
	s_xor_b32 s34, s35, -1
	s_delay_alu instid0(SALU_CYCLE_1) | instskip(NEXT) | instid1(SALU_CYCLE_1)
	s_and_b32 s34, exec_lo, s34
	s_or_b32 s33, s34, s33
	s_delay_alu instid0(SALU_CYCLE_1)
	s_and_not1_b32 exec_lo, exec_lo, s33
	s_cbranch_execz .LBB189_34
.LBB189_20:                             ;   Parent Loop BB189_15 Depth=1
                                        ;     Parent Loop BB189_18 Depth=2
                                        ; =>    This Loop Header: Depth=3
                                        ;         Child Loop BB189_26 Depth 4
                                        ;         Child Loop BB189_32 Depth 4
	s_delay_alu instid0(VALU_DEP_2)
	v_lshl_add_u32 v32, v45, 2, v36
	s_mov_b32 s34, exec_lo
                                        ; implicit-def: $sgpr35
	ds_load_b32 v33, v32
	s_waitcnt lgkmcnt(0)
	v_cmpx_ne_u32_e64 v33, v43
	s_xor_b32 s34, exec_lo, s34
	s_cbranch_execz .LBB189_30
; %bb.21:                               ;   in Loop: Header=BB189_20 Depth=3
	s_mov_b32 s40, exec_lo
                                        ; implicit-def: $sgpr35
	v_cmpx_ne_u32_e64 s2, v33
	s_xor_b32 s40, exec_lo, s40
; %bb.22:                               ;   in Loop: Header=BB189_20 Depth=3
	v_add_nc_u32_e32 v32, 1, v45
	s_mov_b32 s35, -1
	s_delay_alu instid0(VALU_DEP_1)
	v_and_b32_e32 v45, 31, v32
                                        ; implicit-def: $vgpr32
; %bb.23:                               ;   in Loop: Header=BB189_20 Depth=3
	s_and_not1_saveexec_b32 s40, s40
	s_cbranch_execz .LBB189_29
; %bb.24:                               ;   in Loop: Header=BB189_20 Depth=3
	v_mov_b32_e32 v33, s2
	s_mov_b32 s42, -1
	s_mov_b32 s41, exec_lo
	ds_cmpstore_rtn_b32 v32, v32, v43, v33
	s_waitcnt lgkmcnt(0)
	v_cmpx_eq_u32_e64 s2, v32
	s_cbranch_execz .LBB189_28
; %bb.25:                               ;   in Loop: Header=BB189_20 Depth=3
	v_lshlrev_b32_e32 v32, 5, v45
	s_mov_b32 s42, 0
	s_delay_alu instid0(VALU_DEP_1)
	v_add_nc_u32_e32 v46, v39, v32
	ds_load_b64 v[32:33], v46
.LBB189_26:                             ;   Parent Loop BB189_15 Depth=1
                                        ;     Parent Loop BB189_18 Depth=2
                                        ;       Parent Loop BB189_20 Depth=3
                                        ; =>      This Inner Loop Header: Depth=4
	s_waitcnt lgkmcnt(0)
	v_add_f64 v[47:48], v[32:33], v[30:31]
	ds_cmpstore_rtn_b64 v[47:48], v46, v[47:48], v[32:33]
	s_waitcnt lgkmcnt(0)
	v_cmp_eq_u64_e32 vcc_lo, v[47:48], v[32:33]
	v_dual_mov_b32 v32, v47 :: v_dual_mov_b32 v33, v48
	s_or_b32 s42, vcc_lo, s42
	s_delay_alu instid0(SALU_CYCLE_1)
	s_and_not1_b32 exec_lo, exec_lo, s42
	s_cbranch_execnz .LBB189_26
; %bb.27:                               ;   in Loop: Header=BB189_20 Depth=3
	s_or_b32 exec_lo, exec_lo, s42
	s_delay_alu instid0(SALU_CYCLE_1)
	s_xor_b32 s42, exec_lo, -1
.LBB189_28:                             ;   in Loop: Header=BB189_20 Depth=3
	s_or_b32 exec_lo, exec_lo, s41
	s_delay_alu instid0(SALU_CYCLE_1) | instskip(SKIP_1) | instid1(SALU_CYCLE_1)
	s_and_not1_b32 s35, s35, exec_lo
	s_and_b32 s41, s42, exec_lo
	s_or_b32 s35, s35, s41
.LBB189_29:                             ;   in Loop: Header=BB189_20 Depth=3
	s_or_b32 exec_lo, exec_lo, s40
	s_delay_alu instid0(SALU_CYCLE_1)
	s_and_b32 s35, s35, exec_lo
.LBB189_30:                             ;   in Loop: Header=BB189_20 Depth=3
	s_and_not1_saveexec_b32 s34, s34
	s_cbranch_execz .LBB189_19
; %bb.31:                               ;   in Loop: Header=BB189_20 Depth=3
	v_lshlrev_b32_e32 v32, 5, v45
	s_mov_b32 s40, 0
	s_delay_alu instid0(VALU_DEP_1)
	v_add_nc_u32_e32 v46, v39, v32
	ds_load_b64 v[32:33], v46
.LBB189_32:                             ;   Parent Loop BB189_15 Depth=1
                                        ;     Parent Loop BB189_18 Depth=2
                                        ;       Parent Loop BB189_20 Depth=3
                                        ; =>      This Inner Loop Header: Depth=4
	s_waitcnt lgkmcnt(0)
	v_add_f64 v[47:48], v[32:33], v[30:31]
	ds_cmpstore_rtn_b64 v[47:48], v46, v[47:48], v[32:33]
	s_waitcnt lgkmcnt(0)
	v_cmp_eq_u64_e32 vcc_lo, v[47:48], v[32:33]
	v_dual_mov_b32 v32, v47 :: v_dual_mov_b32 v33, v48
	s_or_b32 s40, vcc_lo, s40
	s_delay_alu instid0(SALU_CYCLE_1)
	s_and_not1_b32 exec_lo, exec_lo, s40
	s_cbranch_execnz .LBB189_32
; %bb.33:                               ;   in Loop: Header=BB189_20 Depth=3
	s_or_b32 exec_lo, exec_lo, s40
	s_delay_alu instid0(SALU_CYCLE_1)
	s_and_not1_b32 s35, s35, exec_lo
	s_branch .LBB189_19
.LBB189_34:                             ;   in Loop: Header=BB189_18 Depth=2
	s_or_b32 exec_lo, exec_lo, s33
	s_waitcnt vmcnt(0)
	v_mul_f64 v[30:31], v[20:21], v[24:25]
	v_mov_b32_e32 v45, v44
	s_mov_b32 s33, 0
	s_delay_alu instid0(VALU_DEP_2)
	v_fma_f64 v[30:31], v[18:19], v[22:23], v[30:31]
	s_branch .LBB189_36
.LBB189_35:                             ;   in Loop: Header=BB189_36 Depth=3
	s_or_b32 exec_lo, exec_lo, s34
	s_xor_b32 s34, s35, -1
	s_delay_alu instid0(SALU_CYCLE_1) | instskip(NEXT) | instid1(SALU_CYCLE_1)
	s_and_b32 s34, exec_lo, s34
	s_or_b32 s33, s34, s33
	s_delay_alu instid0(SALU_CYCLE_1)
	s_and_not1_b32 exec_lo, exec_lo, s33
	s_cbranch_execz .LBB189_50
.LBB189_36:                             ;   Parent Loop BB189_15 Depth=1
                                        ;     Parent Loop BB189_18 Depth=2
                                        ; =>    This Loop Header: Depth=3
                                        ;         Child Loop BB189_42 Depth 4
                                        ;         Child Loop BB189_48 Depth 4
	s_delay_alu instid0(VALU_DEP_2)
	v_lshl_add_u32 v32, v45, 2, v36
	s_mov_b32 s34, exec_lo
                                        ; implicit-def: $sgpr35
	ds_load_b32 v33, v32
	s_waitcnt lgkmcnt(0)
	v_cmpx_ne_u32_e64 v33, v43
	s_xor_b32 s34, exec_lo, s34
	s_cbranch_execz .LBB189_46
; %bb.37:                               ;   in Loop: Header=BB189_36 Depth=3
	s_mov_b32 s40, exec_lo
                                        ; implicit-def: $sgpr35
	v_cmpx_ne_u32_e64 s2, v33
	s_xor_b32 s40, exec_lo, s40
; %bb.38:                               ;   in Loop: Header=BB189_36 Depth=3
	v_add_nc_u32_e32 v32, 1, v45
	s_mov_b32 s35, -1
	s_delay_alu instid0(VALU_DEP_1)
	v_and_b32_e32 v45, 31, v32
                                        ; implicit-def: $vgpr32
; %bb.39:                               ;   in Loop: Header=BB189_36 Depth=3
	s_and_not1_saveexec_b32 s40, s40
	s_cbranch_execz .LBB189_45
; %bb.40:                               ;   in Loop: Header=BB189_36 Depth=3
	v_mov_b32_e32 v33, s2
	s_mov_b32 s42, -1
	s_mov_b32 s41, exec_lo
	ds_cmpstore_rtn_b32 v32, v32, v43, v33
	s_waitcnt lgkmcnt(0)
	v_cmpx_eq_u32_e64 s2, v32
	s_cbranch_execz .LBB189_44
; %bb.41:                               ;   in Loop: Header=BB189_36 Depth=3
	v_lshl_add_u32 v46, v45, 5, v40
	s_mov_b32 s42, 0
	ds_load_b64 v[32:33], v46
.LBB189_42:                             ;   Parent Loop BB189_15 Depth=1
                                        ;     Parent Loop BB189_18 Depth=2
                                        ;       Parent Loop BB189_36 Depth=3
                                        ; =>      This Inner Loop Header: Depth=4
	s_waitcnt lgkmcnt(0)
	v_add_f64 v[47:48], v[32:33], v[30:31]
	ds_cmpstore_rtn_b64 v[47:48], v46, v[47:48], v[32:33]
	s_waitcnt lgkmcnt(0)
	v_cmp_eq_u64_e32 vcc_lo, v[47:48], v[32:33]
	v_dual_mov_b32 v32, v47 :: v_dual_mov_b32 v33, v48
	s_or_b32 s42, vcc_lo, s42
	s_delay_alu instid0(SALU_CYCLE_1)
	s_and_not1_b32 exec_lo, exec_lo, s42
	s_cbranch_execnz .LBB189_42
; %bb.43:                               ;   in Loop: Header=BB189_36 Depth=3
	s_or_b32 exec_lo, exec_lo, s42
	s_delay_alu instid0(SALU_CYCLE_1)
	s_xor_b32 s42, exec_lo, -1
.LBB189_44:                             ;   in Loop: Header=BB189_36 Depth=3
	s_or_b32 exec_lo, exec_lo, s41
	s_delay_alu instid0(SALU_CYCLE_1) | instskip(SKIP_1) | instid1(SALU_CYCLE_1)
	s_and_not1_b32 s35, s35, exec_lo
	s_and_b32 s41, s42, exec_lo
	s_or_b32 s35, s35, s41
.LBB189_45:                             ;   in Loop: Header=BB189_36 Depth=3
	s_or_b32 exec_lo, exec_lo, s40
	s_delay_alu instid0(SALU_CYCLE_1)
	s_and_b32 s35, s35, exec_lo
.LBB189_46:                             ;   in Loop: Header=BB189_36 Depth=3
	s_and_not1_saveexec_b32 s34, s34
	s_cbranch_execz .LBB189_35
; %bb.47:                               ;   in Loop: Header=BB189_36 Depth=3
	v_lshl_add_u32 v46, v45, 5, v40
	s_mov_b32 s40, 0
	ds_load_b64 v[32:33], v46
.LBB189_48:                             ;   Parent Loop BB189_15 Depth=1
                                        ;     Parent Loop BB189_18 Depth=2
                                        ;       Parent Loop BB189_36 Depth=3
                                        ; =>      This Inner Loop Header: Depth=4
	s_waitcnt lgkmcnt(0)
	v_add_f64 v[47:48], v[32:33], v[30:31]
	ds_cmpstore_rtn_b64 v[47:48], v46, v[47:48], v[32:33]
	s_waitcnt lgkmcnt(0)
	v_cmp_eq_u64_e32 vcc_lo, v[47:48], v[32:33]
	v_dual_mov_b32 v32, v47 :: v_dual_mov_b32 v33, v48
	s_or_b32 s40, vcc_lo, s40
	s_delay_alu instid0(SALU_CYCLE_1)
	s_and_not1_b32 exec_lo, exec_lo, s40
	s_cbranch_execnz .LBB189_48
; %bb.49:                               ;   in Loop: Header=BB189_36 Depth=3
	s_or_b32 exec_lo, exec_lo, s40
	s_delay_alu instid0(SALU_CYCLE_1)
	s_and_not1_b32 s35, s35, exec_lo
	s_branch .LBB189_35
.LBB189_50:                             ;   in Loop: Header=BB189_18 Depth=2
	s_or_b32 exec_lo, exec_lo, s33
	v_mul_f64 v[26:27], v[14:15], v[26:27]
	v_mov_b32_e32 v30, v44
	s_mov_b32 s33, 0
	s_delay_alu instid0(VALU_DEP_2)
	v_fma_f64 v[26:27], v[16:17], v[28:29], v[26:27]
	s_branch .LBB189_52
.LBB189_51:                             ;   in Loop: Header=BB189_52 Depth=3
	s_or_b32 exec_lo, exec_lo, s34
	s_xor_b32 s34, s35, -1
	s_delay_alu instid0(SALU_CYCLE_1) | instskip(NEXT) | instid1(SALU_CYCLE_1)
	s_and_b32 s34, exec_lo, s34
	s_or_b32 s33, s34, s33
	s_delay_alu instid0(SALU_CYCLE_1)
	s_and_not1_b32 exec_lo, exec_lo, s33
	s_cbranch_execz .LBB189_66
.LBB189_52:                             ;   Parent Loop BB189_15 Depth=1
                                        ;     Parent Loop BB189_18 Depth=2
                                        ; =>    This Loop Header: Depth=3
                                        ;         Child Loop BB189_58 Depth 4
                                        ;         Child Loop BB189_64 Depth 4
	s_delay_alu instid0(VALU_DEP_2)
	v_lshl_add_u32 v28, v30, 2, v36
	s_mov_b32 s34, exec_lo
                                        ; implicit-def: $sgpr35
	ds_load_b32 v29, v28
	s_waitcnt lgkmcnt(0)
	v_cmpx_ne_u32_e64 v29, v43
	s_xor_b32 s34, exec_lo, s34
	s_cbranch_execz .LBB189_62
; %bb.53:                               ;   in Loop: Header=BB189_52 Depth=3
	s_mov_b32 s40, exec_lo
                                        ; implicit-def: $sgpr35
	v_cmpx_ne_u32_e64 s2, v29
	s_xor_b32 s40, exec_lo, s40
; %bb.54:                               ;   in Loop: Header=BB189_52 Depth=3
	v_add_nc_u32_e32 v28, 1, v30
	s_mov_b32 s35, -1
	s_delay_alu instid0(VALU_DEP_1)
	v_and_b32_e32 v30, 31, v28
                                        ; implicit-def: $vgpr28
; %bb.55:                               ;   in Loop: Header=BB189_52 Depth=3
	s_and_not1_saveexec_b32 s40, s40
	s_cbranch_execz .LBB189_61
; %bb.56:                               ;   in Loop: Header=BB189_52 Depth=3
	v_mov_b32_e32 v29, s2
	s_mov_b32 s42, -1
	s_mov_b32 s41, exec_lo
	ds_cmpstore_rtn_b32 v28, v28, v43, v29
	s_waitcnt lgkmcnt(0)
	v_cmpx_eq_u32_e64 s2, v28
	s_cbranch_execz .LBB189_60
; %bb.57:                               ;   in Loop: Header=BB189_52 Depth=3
	v_lshl_add_u32 v31, v30, 5, v41
	s_mov_b32 s42, 0
	ds_load_b64 v[28:29], v31
.LBB189_58:                             ;   Parent Loop BB189_15 Depth=1
                                        ;     Parent Loop BB189_18 Depth=2
                                        ;       Parent Loop BB189_52 Depth=3
                                        ; =>      This Inner Loop Header: Depth=4
	s_waitcnt lgkmcnt(0)
	v_add_f64 v[32:33], v[28:29], v[26:27]
	ds_cmpstore_rtn_b64 v[32:33], v31, v[32:33], v[28:29]
	s_waitcnt lgkmcnt(0)
	v_cmp_eq_u64_e32 vcc_lo, v[32:33], v[28:29]
	v_dual_mov_b32 v28, v32 :: v_dual_mov_b32 v29, v33
	s_or_b32 s42, vcc_lo, s42
	s_delay_alu instid0(SALU_CYCLE_1)
	s_and_not1_b32 exec_lo, exec_lo, s42
	s_cbranch_execnz .LBB189_58
; %bb.59:                               ;   in Loop: Header=BB189_52 Depth=3
	s_or_b32 exec_lo, exec_lo, s42
	s_delay_alu instid0(SALU_CYCLE_1)
	s_xor_b32 s42, exec_lo, -1
.LBB189_60:                             ;   in Loop: Header=BB189_52 Depth=3
	s_or_b32 exec_lo, exec_lo, s41
	s_delay_alu instid0(SALU_CYCLE_1) | instskip(SKIP_1) | instid1(SALU_CYCLE_1)
	s_and_not1_b32 s35, s35, exec_lo
	s_and_b32 s41, s42, exec_lo
	s_or_b32 s35, s35, s41
.LBB189_61:                             ;   in Loop: Header=BB189_52 Depth=3
	s_or_b32 exec_lo, exec_lo, s40
	s_delay_alu instid0(SALU_CYCLE_1)
	s_and_b32 s35, s35, exec_lo
.LBB189_62:                             ;   in Loop: Header=BB189_52 Depth=3
	s_and_not1_saveexec_b32 s34, s34
	s_cbranch_execz .LBB189_51
; %bb.63:                               ;   in Loop: Header=BB189_52 Depth=3
	v_lshl_add_u32 v31, v30, 5, v41
	s_mov_b32 s40, 0
	ds_load_b64 v[28:29], v31
.LBB189_64:                             ;   Parent Loop BB189_15 Depth=1
                                        ;     Parent Loop BB189_18 Depth=2
                                        ;       Parent Loop BB189_52 Depth=3
                                        ; =>      This Inner Loop Header: Depth=4
	s_waitcnt lgkmcnt(0)
	v_add_f64 v[32:33], v[28:29], v[26:27]
	ds_cmpstore_rtn_b64 v[32:33], v31, v[32:33], v[28:29]
	s_waitcnt lgkmcnt(0)
	v_cmp_eq_u64_e32 vcc_lo, v[32:33], v[28:29]
	v_dual_mov_b32 v28, v32 :: v_dual_mov_b32 v29, v33
	s_or_b32 s40, vcc_lo, s40
	s_delay_alu instid0(SALU_CYCLE_1)
	s_and_not1_b32 exec_lo, exec_lo, s40
	s_cbranch_execnz .LBB189_64
; %bb.65:                               ;   in Loop: Header=BB189_52 Depth=3
	s_or_b32 exec_lo, exec_lo, s40
	s_delay_alu instid0(SALU_CYCLE_1)
	s_and_not1_b32 s35, s35, exec_lo
	s_branch .LBB189_51
.LBB189_66:                             ;   in Loop: Header=BB189_18 Depth=2
	s_or_b32 exec_lo, exec_lo, s33
	v_mul_f64 v[24:25], v[14:15], v[24:25]
	s_mov_b32 s33, 0
	s_delay_alu instid0(VALU_DEP_1)
	v_fma_f64 v[22:23], v[16:17], v[22:23], v[24:25]
	s_branch .LBB189_68
.LBB189_67:                             ;   in Loop: Header=BB189_68 Depth=3
	s_or_b32 exec_lo, exec_lo, s34
	s_xor_b32 s34, s35, -1
	s_delay_alu instid0(SALU_CYCLE_1) | instskip(NEXT) | instid1(SALU_CYCLE_1)
	s_and_b32 s34, exec_lo, s34
	s_or_b32 s33, s34, s33
	s_delay_alu instid0(SALU_CYCLE_1)
	s_and_not1_b32 exec_lo, exec_lo, s33
	s_cbranch_execz .LBB189_17
.LBB189_68:                             ;   Parent Loop BB189_15 Depth=1
                                        ;     Parent Loop BB189_18 Depth=2
                                        ; =>    This Loop Header: Depth=3
                                        ;         Child Loop BB189_74 Depth 4
                                        ;         Child Loop BB189_80 Depth 4
	v_lshl_add_u32 v24, v44, 2, v36
	s_mov_b32 s34, exec_lo
                                        ; implicit-def: $sgpr35
	ds_load_b32 v25, v24
	s_waitcnt lgkmcnt(0)
	v_cmpx_ne_u32_e64 v25, v43
	s_xor_b32 s34, exec_lo, s34
	s_cbranch_execz .LBB189_78
; %bb.69:                               ;   in Loop: Header=BB189_68 Depth=3
	s_mov_b32 s40, exec_lo
                                        ; implicit-def: $sgpr35
	v_cmpx_ne_u32_e64 s2, v25
	s_xor_b32 s40, exec_lo, s40
; %bb.70:                               ;   in Loop: Header=BB189_68 Depth=3
	v_add_nc_u32_e32 v24, 1, v44
	s_mov_b32 s35, -1
	s_delay_alu instid0(VALU_DEP_1)
	v_and_b32_e32 v44, 31, v24
                                        ; implicit-def: $vgpr24
; %bb.71:                               ;   in Loop: Header=BB189_68 Depth=3
	s_and_not1_saveexec_b32 s40, s40
	s_cbranch_execz .LBB189_77
; %bb.72:                               ;   in Loop: Header=BB189_68 Depth=3
	v_mov_b32_e32 v25, s2
	s_mov_b32 s42, -1
	s_mov_b32 s41, exec_lo
	ds_cmpstore_rtn_b32 v24, v24, v43, v25
	s_waitcnt lgkmcnt(0)
	v_cmpx_eq_u32_e64 s2, v24
	s_cbranch_execz .LBB189_76
; %bb.73:                               ;   in Loop: Header=BB189_68 Depth=3
	v_lshl_add_u32 v26, v44, 5, v42
	s_mov_b32 s42, 0
	ds_load_b64 v[24:25], v26
.LBB189_74:                             ;   Parent Loop BB189_15 Depth=1
                                        ;     Parent Loop BB189_18 Depth=2
                                        ;       Parent Loop BB189_68 Depth=3
                                        ; =>      This Inner Loop Header: Depth=4
	s_waitcnt lgkmcnt(0)
	v_add_f64 v[27:28], v[24:25], v[22:23]
	ds_cmpstore_rtn_b64 v[27:28], v26, v[27:28], v[24:25]
	s_waitcnt lgkmcnt(0)
	v_cmp_eq_u64_e32 vcc_lo, v[27:28], v[24:25]
	v_dual_mov_b32 v24, v27 :: v_dual_mov_b32 v25, v28
	s_or_b32 s42, vcc_lo, s42
	s_delay_alu instid0(SALU_CYCLE_1)
	s_and_not1_b32 exec_lo, exec_lo, s42
	s_cbranch_execnz .LBB189_74
; %bb.75:                               ;   in Loop: Header=BB189_68 Depth=3
	s_or_b32 exec_lo, exec_lo, s42
	s_delay_alu instid0(SALU_CYCLE_1)
	s_xor_b32 s42, exec_lo, -1
.LBB189_76:                             ;   in Loop: Header=BB189_68 Depth=3
	s_or_b32 exec_lo, exec_lo, s41
	s_delay_alu instid0(SALU_CYCLE_1) | instskip(SKIP_1) | instid1(SALU_CYCLE_1)
	s_and_not1_b32 s35, s35, exec_lo
	s_and_b32 s41, s42, exec_lo
	s_or_b32 s35, s35, s41
.LBB189_77:                             ;   in Loop: Header=BB189_68 Depth=3
	s_or_b32 exec_lo, exec_lo, s40
	s_delay_alu instid0(SALU_CYCLE_1)
	s_and_b32 s35, s35, exec_lo
.LBB189_78:                             ;   in Loop: Header=BB189_68 Depth=3
	s_and_not1_saveexec_b32 s34, s34
	s_cbranch_execz .LBB189_67
; %bb.79:                               ;   in Loop: Header=BB189_68 Depth=3
	v_lshl_add_u32 v26, v44, 5, v42
	s_mov_b32 s40, 0
	ds_load_b64 v[24:25], v26
.LBB189_80:                             ;   Parent Loop BB189_15 Depth=1
                                        ;     Parent Loop BB189_18 Depth=2
                                        ;       Parent Loop BB189_68 Depth=3
                                        ; =>      This Inner Loop Header: Depth=4
	s_waitcnt lgkmcnt(0)
	v_add_f64 v[27:28], v[24:25], v[22:23]
	ds_cmpstore_rtn_b64 v[27:28], v26, v[27:28], v[24:25]
	s_waitcnt lgkmcnt(0)
	v_cmp_eq_u64_e32 vcc_lo, v[27:28], v[24:25]
	v_dual_mov_b32 v24, v27 :: v_dual_mov_b32 v25, v28
	s_or_b32 s40, vcc_lo, s40
	s_delay_alu instid0(SALU_CYCLE_1)
	s_and_not1_b32 exec_lo, exec_lo, s40
	s_cbranch_execnz .LBB189_80
; %bb.81:                               ;   in Loop: Header=BB189_68 Depth=3
	s_or_b32 exec_lo, exec_lo, s40
	s_delay_alu instid0(SALU_CYCLE_1)
	s_and_not1_b32 s35, s35, exec_lo
	s_branch .LBB189_67
.LBB189_82:
	s_or_b32 exec_lo, exec_lo, s1
.LBB189_83:
	s_delay_alu instid0(SALU_CYCLE_1)
	s_and_not1_b32 vcc_lo, exec_lo, s12
	buffer_gl0_inv
	s_cbranch_vccnz .LBB189_152
; %bb.84:
	v_add_co_u32 v0, vcc_lo, s4, v6
	v_add_co_ci_u32_e32 v1, vcc_lo, s5, v7, vcc_lo
	v_sub_co_u32 v2, s1, v37, s27
	s_delay_alu instid0(VALU_DEP_1)
	v_sub_co_ci_u32_e64 v3, null, 0, 0, s1
	global_load_b128 v[8:11], v[0:1], off
	s_mov_b32 s3, 0
	s_mov_b32 s1, exec_lo
	s_waitcnt vmcnt(0)
	v_sub_co_u32 v0, vcc_lo, v10, s27
	v_subrev_co_ci_u32_e32 v1, vcc_lo, 0, v11, vcc_lo
	v_add_co_u32 v2, vcc_lo, v8, v2
	v_add_co_ci_u32_e32 v3, vcc_lo, v9, v3, vcc_lo
	s_delay_alu instid0(VALU_DEP_1)
	v_cmpx_lt_i64_e64 v[2:3], v[0:1]
	s_cbranch_execz .LBB189_151
; %bb.85:
	v_add_nc_u32_e32 v18, 8, v39
	v_add_nc_u32_e32 v19, 16, v39
	;; [unrolled: 1-line block ×3, first 2 shown]
	s_cmp_eq_u32 s0, 0
	s_cselect_b32 s4, 1, 2
	s_cselect_b32 s5, 2, 1
	s_branch .LBB189_87
.LBB189_86:                             ;   in Loop: Header=BB189_87 Depth=1
	s_or_b32 exec_lo, exec_lo, s12
	v_add_co_u32 v2, vcc_lo, v2, 16
	v_add_co_ci_u32_e32 v3, vcc_lo, 0, v3, vcc_lo
	s_delay_alu instid0(VALU_DEP_1) | instskip(SKIP_1) | instid1(SALU_CYCLE_1)
	v_cmp_ge_i64_e32 vcc_lo, v[2:3], v[0:1]
	s_or_b32 s3, vcc_lo, s3
	s_and_not1_b32 exec_lo, exec_lo, s3
	s_cbranch_execz .LBB189_151
.LBB189_87:                             ; =>This Loop Header: Depth=1
                                        ;     Child Loop BB189_89 Depth 2
                                        ;       Child Loop BB189_95 Depth 3
                                        ;       Child Loop BB189_101 Depth 3
                                        ;     Child Loop BB189_105 Depth 2
                                        ;       Child Loop BB189_111 Depth 3
                                        ;       Child Loop BB189_117 Depth 3
	;; [unrolled: 3-line block ×4, first 2 shown]
	v_lshlrev_b64 v[8:9], 5, v[2:3]
	v_lshlrev_b64 v[10:11], 2, v[2:3]
	s_mov_b32 s12, 0
	s_delay_alu instid0(VALU_DEP_2) | instskip(NEXT) | instid1(VALU_DEP_3)
	v_add_co_u32 v8, vcc_lo, s8, v8
	v_add_co_ci_u32_e32 v9, vcc_lo, s9, v9, vcc_lo
	s_delay_alu instid0(VALU_DEP_3) | instskip(NEXT) | instid1(VALU_DEP_4)
	v_add_co_u32 v12, vcc_lo, s6, v10
	v_add_co_ci_u32_e32 v13, vcc_lo, s7, v11, vcc_lo
	global_load_b64 v[14:15], v[8:9], off
	v_or_b32_e32 v17, 0, v11
	v_or_b32_e32 v16, s5, v10
	global_load_b32 v21, v[12:13], off
	v_or_b32_e32 v11, 0, v11
	v_or_b32_e32 v10, s4, v10
	v_lshlrev_b64 v[12:13], 3, v[16:17]
	s_delay_alu instid0(VALU_DEP_2) | instskip(NEXT) | instid1(VALU_DEP_2)
	v_lshlrev_b64 v[10:11], 3, v[10:11]
	v_add_co_u32 v12, vcc_lo, s8, v12
	s_delay_alu instid0(VALU_DEP_3) | instskip(NEXT) | instid1(VALU_DEP_3)
	v_add_co_ci_u32_e32 v13, vcc_lo, s9, v13, vcc_lo
	v_add_co_u32 v16, vcc_lo, s8, v10
	s_delay_alu instid0(VALU_DEP_4)
	v_add_co_ci_u32_e32 v17, vcc_lo, s9, v11, vcc_lo
	s_clause 0x2
	global_load_b64 v[10:11], v[12:13], off
	global_load_b64 v[12:13], v[16:17], off
	global_load_b64 v[8:9], v[8:9], off offset:24
	s_waitcnt vmcnt(4)
	v_mul_f64 v[14:15], v[4:5], v[14:15]
	s_waitcnt vmcnt(3)
	v_subrev_nc_u32_e32 v21, s27, v21
	s_delay_alu instid0(VALU_DEP_1) | instskip(NEXT) | instid1(VALU_DEP_1)
	v_lshl_add_u32 v16, v21, 3, v21
	v_and_b32_e32 v22, 31, v16
	s_delay_alu instid0(VALU_DEP_1)
	v_mov_b32_e32 v23, v22
	s_branch .LBB189_89
.LBB189_88:                             ;   in Loop: Header=BB189_89 Depth=2
	s_or_b32 exec_lo, exec_lo, s13
	s_xor_b32 s13, s14, -1
	s_delay_alu instid0(SALU_CYCLE_1) | instskip(NEXT) | instid1(SALU_CYCLE_1)
	s_and_b32 s13, exec_lo, s13
	s_or_b32 s12, s13, s12
	s_delay_alu instid0(SALU_CYCLE_1)
	s_and_not1_b32 exec_lo, exec_lo, s12
	s_cbranch_execz .LBB189_103
.LBB189_89:                             ;   Parent Loop BB189_87 Depth=1
                                        ; =>  This Loop Header: Depth=2
                                        ;       Child Loop BB189_95 Depth 3
                                        ;       Child Loop BB189_101 Depth 3
	s_delay_alu instid0(VALU_DEP_1)
	v_lshl_add_u32 v16, v23, 2, v36
	s_mov_b32 s13, exec_lo
                                        ; implicit-def: $sgpr14
	ds_load_b32 v17, v16
	s_waitcnt lgkmcnt(0)
	v_cmpx_ne_u32_e64 v17, v21
	s_xor_b32 s13, exec_lo, s13
	s_cbranch_execz .LBB189_99
; %bb.90:                               ;   in Loop: Header=BB189_89 Depth=2
	s_mov_b32 s15, exec_lo
                                        ; implicit-def: $sgpr14
	v_cmpx_ne_u32_e64 s2, v17
	s_xor_b32 s15, exec_lo, s15
; %bb.91:                               ;   in Loop: Header=BB189_89 Depth=2
	v_add_nc_u32_e32 v16, 1, v23
	s_mov_b32 s14, -1
	s_delay_alu instid0(VALU_DEP_1)
	v_and_b32_e32 v23, 31, v16
                                        ; implicit-def: $vgpr16
; %bb.92:                               ;   in Loop: Header=BB189_89 Depth=2
	s_and_not1_saveexec_b32 s15, s15
	s_cbranch_execz .LBB189_98
; %bb.93:                               ;   in Loop: Header=BB189_89 Depth=2
	v_mov_b32_e32 v17, s2
	s_mov_b32 s17, -1
	s_mov_b32 s16, exec_lo
	ds_cmpstore_rtn_b32 v16, v16, v21, v17
	s_waitcnt lgkmcnt(0)
	v_cmpx_eq_u32_e64 s2, v16
	s_cbranch_execz .LBB189_97
; %bb.94:                               ;   in Loop: Header=BB189_89 Depth=2
	v_lshlrev_b32_e32 v16, 5, v23
	s_mov_b32 s17, 0
	s_delay_alu instid0(VALU_DEP_1)
	v_add_nc_u32_e32 v24, v39, v16
	ds_load_b64 v[16:17], v24
.LBB189_95:                             ;   Parent Loop BB189_87 Depth=1
                                        ;     Parent Loop BB189_89 Depth=2
                                        ; =>    This Inner Loop Header: Depth=3
	s_waitcnt lgkmcnt(0)
	v_add_f64 v[25:26], v[16:17], v[14:15]
	ds_cmpstore_rtn_b64 v[25:26], v24, v[25:26], v[16:17]
	s_waitcnt lgkmcnt(0)
	v_cmp_eq_u64_e32 vcc_lo, v[25:26], v[16:17]
	v_dual_mov_b32 v16, v25 :: v_dual_mov_b32 v17, v26
	s_or_b32 s17, vcc_lo, s17
	s_delay_alu instid0(SALU_CYCLE_1)
	s_and_not1_b32 exec_lo, exec_lo, s17
	s_cbranch_execnz .LBB189_95
; %bb.96:                               ;   in Loop: Header=BB189_89 Depth=2
	s_or_b32 exec_lo, exec_lo, s17
	s_delay_alu instid0(SALU_CYCLE_1)
	s_xor_b32 s17, exec_lo, -1
.LBB189_97:                             ;   in Loop: Header=BB189_89 Depth=2
	s_or_b32 exec_lo, exec_lo, s16
	s_delay_alu instid0(SALU_CYCLE_1) | instskip(SKIP_1) | instid1(SALU_CYCLE_1)
	s_and_not1_b32 s14, s14, exec_lo
	s_and_b32 s16, s17, exec_lo
	s_or_b32 s14, s14, s16
.LBB189_98:                             ;   in Loop: Header=BB189_89 Depth=2
	s_or_b32 exec_lo, exec_lo, s15
	s_delay_alu instid0(SALU_CYCLE_1)
	s_and_b32 s14, s14, exec_lo
.LBB189_99:                             ;   in Loop: Header=BB189_89 Depth=2
	s_and_not1_saveexec_b32 s13, s13
	s_cbranch_execz .LBB189_88
; %bb.100:                              ;   in Loop: Header=BB189_89 Depth=2
	v_lshlrev_b32_e32 v16, 5, v23
	s_mov_b32 s15, 0
	s_delay_alu instid0(VALU_DEP_1)
	v_add_nc_u32_e32 v24, v39, v16
	ds_load_b64 v[16:17], v24
.LBB189_101:                            ;   Parent Loop BB189_87 Depth=1
                                        ;     Parent Loop BB189_89 Depth=2
                                        ; =>    This Inner Loop Header: Depth=3
	s_waitcnt lgkmcnt(0)
	v_add_f64 v[25:26], v[16:17], v[14:15]
	ds_cmpstore_rtn_b64 v[25:26], v24, v[25:26], v[16:17]
	s_waitcnt lgkmcnt(0)
	v_cmp_eq_u64_e32 vcc_lo, v[25:26], v[16:17]
	v_dual_mov_b32 v16, v25 :: v_dual_mov_b32 v17, v26
	s_or_b32 s15, vcc_lo, s15
	s_delay_alu instid0(SALU_CYCLE_1)
	s_and_not1_b32 exec_lo, exec_lo, s15
	s_cbranch_execnz .LBB189_101
; %bb.102:                              ;   in Loop: Header=BB189_89 Depth=2
	s_or_b32 exec_lo, exec_lo, s15
	s_delay_alu instid0(SALU_CYCLE_1)
	s_and_not1_b32 s14, s14, exec_lo
	s_branch .LBB189_88
.LBB189_103:                            ;   in Loop: Header=BB189_87 Depth=1
	s_or_b32 exec_lo, exec_lo, s12
	s_waitcnt vmcnt(1)
	v_mul_f64 v[12:13], v[4:5], v[12:13]
	v_mov_b32_e32 v16, v22
	s_mov_b32 s12, 0
	s_branch .LBB189_105
.LBB189_104:                            ;   in Loop: Header=BB189_105 Depth=2
	s_or_b32 exec_lo, exec_lo, s13
	s_xor_b32 s13, s14, -1
	s_delay_alu instid0(SALU_CYCLE_1) | instskip(NEXT) | instid1(SALU_CYCLE_1)
	s_and_b32 s13, exec_lo, s13
	s_or_b32 s12, s13, s12
	s_delay_alu instid0(SALU_CYCLE_1)
	s_and_not1_b32 exec_lo, exec_lo, s12
	s_cbranch_execz .LBB189_119
.LBB189_105:                            ;   Parent Loop BB189_87 Depth=1
                                        ; =>  This Loop Header: Depth=2
                                        ;       Child Loop BB189_111 Depth 3
                                        ;       Child Loop BB189_117 Depth 3
	s_delay_alu instid0(VALU_DEP_1)
	v_lshl_add_u32 v14, v16, 2, v36
	s_mov_b32 s13, exec_lo
                                        ; implicit-def: $sgpr14
	ds_load_b32 v15, v14
	s_waitcnt lgkmcnt(0)
	v_cmpx_ne_u32_e64 v15, v21
	s_xor_b32 s13, exec_lo, s13
	s_cbranch_execz .LBB189_115
; %bb.106:                              ;   in Loop: Header=BB189_105 Depth=2
	s_mov_b32 s15, exec_lo
                                        ; implicit-def: $sgpr14
	v_cmpx_ne_u32_e64 s2, v15
	s_xor_b32 s15, exec_lo, s15
; %bb.107:                              ;   in Loop: Header=BB189_105 Depth=2
	v_add_nc_u32_e32 v14, 1, v16
	s_mov_b32 s14, -1
	s_delay_alu instid0(VALU_DEP_1)
	v_and_b32_e32 v16, 31, v14
                                        ; implicit-def: $vgpr14
; %bb.108:                              ;   in Loop: Header=BB189_105 Depth=2
	s_and_not1_saveexec_b32 s15, s15
	s_cbranch_execz .LBB189_114
; %bb.109:                              ;   in Loop: Header=BB189_105 Depth=2
	v_mov_b32_e32 v15, s2
	s_mov_b32 s17, -1
	s_mov_b32 s16, exec_lo
	ds_cmpstore_rtn_b32 v14, v14, v21, v15
	s_waitcnt lgkmcnt(0)
	v_cmpx_eq_u32_e64 s2, v14
	s_cbranch_execz .LBB189_113
; %bb.110:                              ;   in Loop: Header=BB189_105 Depth=2
	v_lshl_add_u32 v17, v16, 5, v18
	s_mov_b32 s17, 0
	ds_load_b64 v[14:15], v17
.LBB189_111:                            ;   Parent Loop BB189_87 Depth=1
                                        ;     Parent Loop BB189_105 Depth=2
                                        ; =>    This Inner Loop Header: Depth=3
	s_waitcnt lgkmcnt(0)
	v_add_f64 v[23:24], v[14:15], v[12:13]
	ds_cmpstore_rtn_b64 v[23:24], v17, v[23:24], v[14:15]
	s_waitcnt lgkmcnt(0)
	v_cmp_eq_u64_e32 vcc_lo, v[23:24], v[14:15]
	v_dual_mov_b32 v14, v23 :: v_dual_mov_b32 v15, v24
	s_or_b32 s17, vcc_lo, s17
	s_delay_alu instid0(SALU_CYCLE_1)
	s_and_not1_b32 exec_lo, exec_lo, s17
	s_cbranch_execnz .LBB189_111
; %bb.112:                              ;   in Loop: Header=BB189_105 Depth=2
	s_or_b32 exec_lo, exec_lo, s17
	s_delay_alu instid0(SALU_CYCLE_1)
	s_xor_b32 s17, exec_lo, -1
.LBB189_113:                            ;   in Loop: Header=BB189_105 Depth=2
	s_or_b32 exec_lo, exec_lo, s16
	s_delay_alu instid0(SALU_CYCLE_1) | instskip(SKIP_1) | instid1(SALU_CYCLE_1)
	s_and_not1_b32 s14, s14, exec_lo
	s_and_b32 s16, s17, exec_lo
	s_or_b32 s14, s14, s16
.LBB189_114:                            ;   in Loop: Header=BB189_105 Depth=2
	s_or_b32 exec_lo, exec_lo, s15
	s_delay_alu instid0(SALU_CYCLE_1)
	s_and_b32 s14, s14, exec_lo
.LBB189_115:                            ;   in Loop: Header=BB189_105 Depth=2
	s_and_not1_saveexec_b32 s13, s13
	s_cbranch_execz .LBB189_104
; %bb.116:                              ;   in Loop: Header=BB189_105 Depth=2
	v_lshl_add_u32 v17, v16, 5, v18
	s_mov_b32 s15, 0
	ds_load_b64 v[14:15], v17
.LBB189_117:                            ;   Parent Loop BB189_87 Depth=1
                                        ;     Parent Loop BB189_105 Depth=2
                                        ; =>    This Inner Loop Header: Depth=3
	s_waitcnt lgkmcnt(0)
	v_add_f64 v[23:24], v[14:15], v[12:13]
	ds_cmpstore_rtn_b64 v[23:24], v17, v[23:24], v[14:15]
	s_waitcnt lgkmcnt(0)
	v_cmp_eq_u64_e32 vcc_lo, v[23:24], v[14:15]
	v_dual_mov_b32 v14, v23 :: v_dual_mov_b32 v15, v24
	s_or_b32 s15, vcc_lo, s15
	s_delay_alu instid0(SALU_CYCLE_1)
	s_and_not1_b32 exec_lo, exec_lo, s15
	s_cbranch_execnz .LBB189_117
; %bb.118:                              ;   in Loop: Header=BB189_105 Depth=2
	s_or_b32 exec_lo, exec_lo, s15
	s_delay_alu instid0(SALU_CYCLE_1)
	s_and_not1_b32 s14, s14, exec_lo
	s_branch .LBB189_104
.LBB189_119:                            ;   in Loop: Header=BB189_87 Depth=1
	s_or_b32 exec_lo, exec_lo, s12
	v_mul_f64 v[10:11], v[4:5], v[10:11]
	v_mov_b32_e32 v14, v22
	s_mov_b32 s12, 0
	s_branch .LBB189_121
.LBB189_120:                            ;   in Loop: Header=BB189_121 Depth=2
	s_or_b32 exec_lo, exec_lo, s13
	s_xor_b32 s13, s14, -1
	s_delay_alu instid0(SALU_CYCLE_1) | instskip(NEXT) | instid1(SALU_CYCLE_1)
	s_and_b32 s13, exec_lo, s13
	s_or_b32 s12, s13, s12
	s_delay_alu instid0(SALU_CYCLE_1)
	s_and_not1_b32 exec_lo, exec_lo, s12
	s_cbranch_execz .LBB189_135
.LBB189_121:                            ;   Parent Loop BB189_87 Depth=1
                                        ; =>  This Loop Header: Depth=2
                                        ;       Child Loop BB189_127 Depth 3
                                        ;       Child Loop BB189_133 Depth 3
	s_delay_alu instid0(VALU_DEP_1)
	v_lshl_add_u32 v12, v14, 2, v36
	s_mov_b32 s13, exec_lo
                                        ; implicit-def: $sgpr14
	ds_load_b32 v13, v12
	s_waitcnt lgkmcnt(0)
	v_cmpx_ne_u32_e64 v13, v21
	s_xor_b32 s13, exec_lo, s13
	s_cbranch_execz .LBB189_131
; %bb.122:                              ;   in Loop: Header=BB189_121 Depth=2
	s_mov_b32 s15, exec_lo
                                        ; implicit-def: $sgpr14
	v_cmpx_ne_u32_e64 s2, v13
	s_xor_b32 s15, exec_lo, s15
; %bb.123:                              ;   in Loop: Header=BB189_121 Depth=2
	v_add_nc_u32_e32 v12, 1, v14
	s_mov_b32 s14, -1
	s_delay_alu instid0(VALU_DEP_1)
	v_and_b32_e32 v14, 31, v12
                                        ; implicit-def: $vgpr12
; %bb.124:                              ;   in Loop: Header=BB189_121 Depth=2
	s_and_not1_saveexec_b32 s15, s15
	s_cbranch_execz .LBB189_130
; %bb.125:                              ;   in Loop: Header=BB189_121 Depth=2
	v_mov_b32_e32 v13, s2
	s_mov_b32 s17, -1
	s_mov_b32 s16, exec_lo
	ds_cmpstore_rtn_b32 v12, v12, v21, v13
	s_waitcnt lgkmcnt(0)
	v_cmpx_eq_u32_e64 s2, v12
	s_cbranch_execz .LBB189_129
; %bb.126:                              ;   in Loop: Header=BB189_121 Depth=2
	v_lshl_add_u32 v15, v14, 5, v19
	s_mov_b32 s17, 0
	ds_load_b64 v[12:13], v15
.LBB189_127:                            ;   Parent Loop BB189_87 Depth=1
                                        ;     Parent Loop BB189_121 Depth=2
                                        ; =>    This Inner Loop Header: Depth=3
	s_waitcnt lgkmcnt(0)
	v_add_f64 v[16:17], v[12:13], v[10:11]
	ds_cmpstore_rtn_b64 v[16:17], v15, v[16:17], v[12:13]
	s_waitcnt lgkmcnt(0)
	v_cmp_eq_u64_e32 vcc_lo, v[16:17], v[12:13]
	v_dual_mov_b32 v12, v16 :: v_dual_mov_b32 v13, v17
	s_or_b32 s17, vcc_lo, s17
	s_delay_alu instid0(SALU_CYCLE_1)
	s_and_not1_b32 exec_lo, exec_lo, s17
	s_cbranch_execnz .LBB189_127
; %bb.128:                              ;   in Loop: Header=BB189_121 Depth=2
	s_or_b32 exec_lo, exec_lo, s17
	s_delay_alu instid0(SALU_CYCLE_1)
	s_xor_b32 s17, exec_lo, -1
.LBB189_129:                            ;   in Loop: Header=BB189_121 Depth=2
	s_or_b32 exec_lo, exec_lo, s16
	s_delay_alu instid0(SALU_CYCLE_1) | instskip(SKIP_1) | instid1(SALU_CYCLE_1)
	s_and_not1_b32 s14, s14, exec_lo
	s_and_b32 s16, s17, exec_lo
	s_or_b32 s14, s14, s16
.LBB189_130:                            ;   in Loop: Header=BB189_121 Depth=2
	s_or_b32 exec_lo, exec_lo, s15
	s_delay_alu instid0(SALU_CYCLE_1)
	s_and_b32 s14, s14, exec_lo
.LBB189_131:                            ;   in Loop: Header=BB189_121 Depth=2
	s_and_not1_saveexec_b32 s13, s13
	s_cbranch_execz .LBB189_120
; %bb.132:                              ;   in Loop: Header=BB189_121 Depth=2
	v_lshl_add_u32 v15, v14, 5, v19
	s_mov_b32 s15, 0
	ds_load_b64 v[12:13], v15
.LBB189_133:                            ;   Parent Loop BB189_87 Depth=1
                                        ;     Parent Loop BB189_121 Depth=2
                                        ; =>    This Inner Loop Header: Depth=3
	s_waitcnt lgkmcnt(0)
	v_add_f64 v[16:17], v[12:13], v[10:11]
	ds_cmpstore_rtn_b64 v[16:17], v15, v[16:17], v[12:13]
	s_waitcnt lgkmcnt(0)
	v_cmp_eq_u64_e32 vcc_lo, v[16:17], v[12:13]
	v_dual_mov_b32 v12, v16 :: v_dual_mov_b32 v13, v17
	s_or_b32 s15, vcc_lo, s15
	s_delay_alu instid0(SALU_CYCLE_1)
	s_and_not1_b32 exec_lo, exec_lo, s15
	s_cbranch_execnz .LBB189_133
; %bb.134:                              ;   in Loop: Header=BB189_121 Depth=2
	s_or_b32 exec_lo, exec_lo, s15
	s_delay_alu instid0(SALU_CYCLE_1)
	s_and_not1_b32 s14, s14, exec_lo
	s_branch .LBB189_120
.LBB189_135:                            ;   in Loop: Header=BB189_87 Depth=1
	s_or_b32 exec_lo, exec_lo, s12
	s_waitcnt vmcnt(0)
	v_mul_f64 v[8:9], v[4:5], v[8:9]
	s_mov_b32 s12, 0
	s_branch .LBB189_137
.LBB189_136:                            ;   in Loop: Header=BB189_137 Depth=2
	s_or_b32 exec_lo, exec_lo, s13
	s_xor_b32 s13, s14, -1
	s_delay_alu instid0(SALU_CYCLE_1) | instskip(NEXT) | instid1(SALU_CYCLE_1)
	s_and_b32 s13, exec_lo, s13
	s_or_b32 s12, s13, s12
	s_delay_alu instid0(SALU_CYCLE_1)
	s_and_not1_b32 exec_lo, exec_lo, s12
	s_cbranch_execz .LBB189_86
.LBB189_137:                            ;   Parent Loop BB189_87 Depth=1
                                        ; =>  This Loop Header: Depth=2
                                        ;       Child Loop BB189_143 Depth 3
                                        ;       Child Loop BB189_149 Depth 3
	v_lshl_add_u32 v10, v22, 2, v36
	s_mov_b32 s13, exec_lo
                                        ; implicit-def: $sgpr14
	ds_load_b32 v11, v10
	s_waitcnt lgkmcnt(0)
	v_cmpx_ne_u32_e64 v11, v21
	s_xor_b32 s13, exec_lo, s13
	s_cbranch_execz .LBB189_147
; %bb.138:                              ;   in Loop: Header=BB189_137 Depth=2
	s_mov_b32 s15, exec_lo
                                        ; implicit-def: $sgpr14
	v_cmpx_ne_u32_e64 s2, v11
	s_xor_b32 s15, exec_lo, s15
; %bb.139:                              ;   in Loop: Header=BB189_137 Depth=2
	v_add_nc_u32_e32 v10, 1, v22
	s_mov_b32 s14, -1
	s_delay_alu instid0(VALU_DEP_1)
	v_and_b32_e32 v22, 31, v10
                                        ; implicit-def: $vgpr10
; %bb.140:                              ;   in Loop: Header=BB189_137 Depth=2
	s_and_not1_saveexec_b32 s15, s15
	s_cbranch_execz .LBB189_146
; %bb.141:                              ;   in Loop: Header=BB189_137 Depth=2
	v_mov_b32_e32 v11, s2
	s_mov_b32 s17, -1
	s_mov_b32 s16, exec_lo
	ds_cmpstore_rtn_b32 v10, v10, v21, v11
	s_waitcnt lgkmcnt(0)
	v_cmpx_eq_u32_e64 s2, v10
	s_cbranch_execz .LBB189_145
; %bb.142:                              ;   in Loop: Header=BB189_137 Depth=2
	v_lshl_add_u32 v12, v22, 5, v20
	s_mov_b32 s17, 0
	ds_load_b64 v[10:11], v12
.LBB189_143:                            ;   Parent Loop BB189_87 Depth=1
                                        ;     Parent Loop BB189_137 Depth=2
                                        ; =>    This Inner Loop Header: Depth=3
	s_waitcnt lgkmcnt(0)
	v_add_f64 v[13:14], v[10:11], v[8:9]
	ds_cmpstore_rtn_b64 v[13:14], v12, v[13:14], v[10:11]
	s_waitcnt lgkmcnt(0)
	v_cmp_eq_u64_e32 vcc_lo, v[13:14], v[10:11]
	v_dual_mov_b32 v10, v13 :: v_dual_mov_b32 v11, v14
	s_or_b32 s17, vcc_lo, s17
	s_delay_alu instid0(SALU_CYCLE_1)
	s_and_not1_b32 exec_lo, exec_lo, s17
	s_cbranch_execnz .LBB189_143
; %bb.144:                              ;   in Loop: Header=BB189_137 Depth=2
	s_or_b32 exec_lo, exec_lo, s17
	s_delay_alu instid0(SALU_CYCLE_1)
	s_xor_b32 s17, exec_lo, -1
.LBB189_145:                            ;   in Loop: Header=BB189_137 Depth=2
	s_or_b32 exec_lo, exec_lo, s16
	s_delay_alu instid0(SALU_CYCLE_1) | instskip(SKIP_1) | instid1(SALU_CYCLE_1)
	s_and_not1_b32 s14, s14, exec_lo
	s_and_b32 s16, s17, exec_lo
	s_or_b32 s14, s14, s16
.LBB189_146:                            ;   in Loop: Header=BB189_137 Depth=2
	s_or_b32 exec_lo, exec_lo, s15
	s_delay_alu instid0(SALU_CYCLE_1)
	s_and_b32 s14, s14, exec_lo
.LBB189_147:                            ;   in Loop: Header=BB189_137 Depth=2
	s_and_not1_saveexec_b32 s13, s13
	s_cbranch_execz .LBB189_136
; %bb.148:                              ;   in Loop: Header=BB189_137 Depth=2
	v_lshl_add_u32 v12, v22, 5, v20
	s_mov_b32 s15, 0
	ds_load_b64 v[10:11], v12
.LBB189_149:                            ;   Parent Loop BB189_87 Depth=1
                                        ;     Parent Loop BB189_137 Depth=2
                                        ; =>    This Inner Loop Header: Depth=3
	s_waitcnt lgkmcnt(0)
	v_add_f64 v[13:14], v[10:11], v[8:9]
	ds_cmpstore_rtn_b64 v[13:14], v12, v[13:14], v[10:11]
	s_waitcnt lgkmcnt(0)
	v_cmp_eq_u64_e32 vcc_lo, v[13:14], v[10:11]
	v_dual_mov_b32 v10, v13 :: v_dual_mov_b32 v11, v14
	s_or_b32 s15, vcc_lo, s15
	s_delay_alu instid0(SALU_CYCLE_1)
	s_and_not1_b32 exec_lo, exec_lo, s15
	s_cbranch_execnz .LBB189_149
; %bb.150:                              ;   in Loop: Header=BB189_137 Depth=2
	s_or_b32 exec_lo, exec_lo, s15
	s_delay_alu instid0(SALU_CYCLE_1)
	s_and_not1_b32 s14, s14, exec_lo
	s_branch .LBB189_136
.LBB189_151:
	s_or_b32 exec_lo, exec_lo, s1
.LBB189_152:
	v_add_co_u32 v0, vcc_lo, s10, v6
	v_add_co_ci_u32_e32 v1, vcc_lo, s11, v7, vcc_lo
	buffer_gl0_inv
	v_lshl_add_u32 v2, v37, 5, v38
	s_cmp_eq_u32 s0, 0
	global_load_b64 v[0:1], v[0:1], off
	s_mov_b32 s0, 0
	s_cselect_b32 s1, 8, 16
	s_cselect_b32 s3, 16, 8
	s_waitcnt vmcnt(0)
	v_sub_co_u32 v0, vcc_lo, v0, s26
	v_subrev_co_ci_u32_e32 v1, vcc_lo, 0, v1, vcc_lo
	s_branch .LBB189_154
.LBB189_153:                            ;   in Loop: Header=BB189_154 Depth=1
	s_or_b32 exec_lo, exec_lo, s4
	v_add_co_u32 v35, s4, v35, 16
	s_delay_alu instid0(VALU_DEP_1) | instskip(SKIP_3) | instid1(SALU_CYCLE_1)
	s_xor_b32 s4, s4, -1
	v_add_nc_u32_e32 v2, 0x200, v2
	v_add_nc_u32_e32 v34, 64, v34
	s_and_b32 s4, exec_lo, s4
	s_or_b32 s0, s4, s0
	s_delay_alu instid0(SALU_CYCLE_1)
	s_and_not1_b32 exec_lo, exec_lo, s0
	s_cbranch_execz .LBB189_156
.LBB189_154:                            ; =>This Inner Loop Header: Depth=1
	ds_load_b32 v3, v34
	s_mov_b32 s4, exec_lo
	s_waitcnt lgkmcnt(0)
	v_cmpx_gt_i32_e64 s2, v3
	s_cbranch_execz .LBB189_153
; %bb.155:                              ;   in Loop: Header=BB189_154 Depth=1
	ds_load_b128 v[4:7], v36
	ds_load_b128 v[8:11], v36 offset:16
	ds_load_b128 v[12:15], v36 offset:32
	;; [unrolled: 1-line block ×4, first 2 shown]
	s_waitcnt lgkmcnt(4)
	v_cmp_gt_i32_e32 vcc_lo, v3, v4
	v_cndmask_b32_e64 v4, 0, 1, vcc_lo
	v_cmp_gt_i32_e32 vcc_lo, v3, v5
	v_cndmask_b32_e64 v5, 0, 1, vcc_lo
	s_delay_alu instid0(VALU_DEP_3) | instskip(SKIP_3) | instid1(VALU_DEP_4)
	v_add_co_u32 v4, vcc_lo, v0, v4
	v_add_co_ci_u32_e32 v24, vcc_lo, 0, v1, vcc_lo
	v_cmp_gt_i32_e32 vcc_lo, v3, v6
	v_cndmask_b32_e64 v6, 0, 1, vcc_lo
	v_add_co_u32 v4, vcc_lo, v4, v5
	s_delay_alu instid0(VALU_DEP_4) | instskip(SKIP_2) | instid1(VALU_DEP_4)
	v_add_co_ci_u32_e32 v5, vcc_lo, 0, v24, vcc_lo
	v_cmp_gt_i32_e32 vcc_lo, v3, v7
	v_cndmask_b32_e64 v7, 0, 1, vcc_lo
	v_add_co_u32 v4, vcc_lo, v4, v6
	s_delay_alu instid0(VALU_DEP_4)
	v_add_co_ci_u32_e32 v5, vcc_lo, 0, v5, vcc_lo
	s_waitcnt lgkmcnt(3)
	v_cmp_gt_i32_e32 vcc_lo, v3, v8
	v_cndmask_b32_e64 v6, 0, 1, vcc_lo
	v_add_co_u32 v4, vcc_lo, v4, v7
	v_add_co_ci_u32_e32 v5, vcc_lo, 0, v5, vcc_lo
	v_cmp_gt_i32_e32 vcc_lo, v3, v9
	v_cndmask_b32_e64 v7, 0, 1, vcc_lo
	s_delay_alu instid0(VALU_DEP_4) | instskip(NEXT) | instid1(VALU_DEP_4)
	v_add_co_u32 v4, vcc_lo, v4, v6
	v_add_co_ci_u32_e32 v5, vcc_lo, 0, v5, vcc_lo
	v_cmp_gt_i32_e32 vcc_lo, v3, v10
	v_cndmask_b32_e64 v6, 0, 1, vcc_lo
	s_delay_alu instid0(VALU_DEP_4) | instskip(NEXT) | instid1(VALU_DEP_4)
	;; [unrolled: 5-line block ×3, first 2 shown]
	v_add_co_u32 v4, vcc_lo, v4, v6
	v_add_co_ci_u32_e32 v5, vcc_lo, 0, v5, vcc_lo
	s_waitcnt lgkmcnt(2)
	v_cmp_gt_i32_e32 vcc_lo, v3, v12
	v_cndmask_b32_e64 v6, 0, 1, vcc_lo
	v_add_co_u32 v4, vcc_lo, v4, v7
	v_add_co_ci_u32_e32 v5, vcc_lo, 0, v5, vcc_lo
	v_cmp_gt_i32_e32 vcc_lo, v3, v13
	v_cndmask_b32_e64 v7, 0, 1, vcc_lo
	s_delay_alu instid0(VALU_DEP_4) | instskip(NEXT) | instid1(VALU_DEP_4)
	v_add_co_u32 v4, vcc_lo, v4, v6
	v_add_co_ci_u32_e32 v5, vcc_lo, 0, v5, vcc_lo
	v_cmp_gt_i32_e32 vcc_lo, v3, v14
	v_cndmask_b32_e64 v6, 0, 1, vcc_lo
	s_delay_alu instid0(VALU_DEP_4) | instskip(NEXT) | instid1(VALU_DEP_4)
	;; [unrolled: 5-line block ×3, first 2 shown]
	v_add_co_u32 v4, vcc_lo, v4, v6
	v_add_co_ci_u32_e32 v5, vcc_lo, 0, v5, vcc_lo
	s_waitcnt lgkmcnt(1)
	v_cmp_gt_i32_e32 vcc_lo, v3, v16
	v_cndmask_b32_e64 v6, 0, 1, vcc_lo
	v_add_co_u32 v4, vcc_lo, v4, v7
	v_add_co_ci_u32_e32 v5, vcc_lo, 0, v5, vcc_lo
	v_cmp_gt_i32_e32 vcc_lo, v3, v17
	v_cndmask_b32_e64 v7, 0, 1, vcc_lo
	s_delay_alu instid0(VALU_DEP_4) | instskip(NEXT) | instid1(VALU_DEP_4)
	v_add_co_u32 v4, vcc_lo, v4, v6
	v_add_co_ci_u32_e32 v5, vcc_lo, 0, v5, vcc_lo
	v_cmp_gt_i32_e32 vcc_lo, v3, v18
	v_cndmask_b32_e64 v6, 0, 1, vcc_lo
	s_delay_alu instid0(VALU_DEP_4) | instskip(NEXT) | instid1(VALU_DEP_4)
	v_add_co_u32 v4, vcc_lo, v4, v7
	v_add_co_ci_u32_e32 v5, vcc_lo, 0, v5, vcc_lo
	s_delay_alu instid0(VALU_DEP_2) | instskip(NEXT) | instid1(VALU_DEP_2)
	v_add_co_u32 v8, vcc_lo, v4, v6
	v_add_co_ci_u32_e32 v9, vcc_lo, 0, v5, vcc_lo
	ds_load_b128 v[4:7], v36 offset:80
	v_cmp_gt_i32_e32 vcc_lo, v3, v19
	v_cndmask_b32_e64 v10, 0, 1, vcc_lo
	s_waitcnt lgkmcnt(1)
	v_cmp_gt_i32_e32 vcc_lo, v3, v20
	v_cndmask_b32_e64 v11, 0, 1, vcc_lo
	s_delay_alu instid0(VALU_DEP_3) | instskip(SKIP_3) | instid1(VALU_DEP_4)
	v_add_co_u32 v8, vcc_lo, v8, v10
	v_add_co_ci_u32_e32 v9, vcc_lo, 0, v9, vcc_lo
	v_cmp_gt_i32_e32 vcc_lo, v3, v21
	v_cndmask_b32_e64 v10, 0, 1, vcc_lo
	v_add_co_u32 v8, vcc_lo, v8, v11
	s_delay_alu instid0(VALU_DEP_4) | instskip(SKIP_2) | instid1(VALU_DEP_4)
	v_add_co_ci_u32_e32 v9, vcc_lo, 0, v9, vcc_lo
	v_cmp_gt_i32_e32 vcc_lo, v3, v22
	v_cndmask_b32_e64 v11, 0, 1, vcc_lo
	v_add_co_u32 v8, vcc_lo, v8, v10
	s_delay_alu instid0(VALU_DEP_4) | instskip(SKIP_2) | instid1(VALU_DEP_4)
	v_add_co_ci_u32_e32 v9, vcc_lo, 0, v9, vcc_lo
	v_cmp_gt_i32_e32 vcc_lo, v3, v23
	v_cndmask_b32_e64 v10, 0, 1, vcc_lo
	v_add_co_u32 v8, vcc_lo, v8, v11
	s_delay_alu instid0(VALU_DEP_4) | instskip(NEXT) | instid1(VALU_DEP_2)
	v_add_co_ci_u32_e32 v9, vcc_lo, 0, v9, vcc_lo
	v_add_co_u32 v12, vcc_lo, v8, v10
	s_delay_alu instid0(VALU_DEP_2)
	v_add_co_ci_u32_e32 v13, vcc_lo, 0, v9, vcc_lo
	s_waitcnt lgkmcnt(0)
	v_cmp_gt_i32_e32 vcc_lo, v3, v4
	ds_load_b128 v[8:11], v36 offset:96
	v_cndmask_b32_e64 v4, 0, 1, vcc_lo
	v_cmp_gt_i32_e32 vcc_lo, v3, v5
	v_cndmask_b32_e64 v5, 0, 1, vcc_lo
	s_delay_alu instid0(VALU_DEP_3) | instskip(SKIP_3) | instid1(VALU_DEP_4)
	v_add_co_u32 v4, vcc_lo, v12, v4
	v_add_co_ci_u32_e32 v12, vcc_lo, 0, v13, vcc_lo
	v_cmp_gt_i32_e32 vcc_lo, v3, v6
	v_cndmask_b32_e64 v6, 0, 1, vcc_lo
	v_add_co_u32 v4, vcc_lo, v4, v5
	s_delay_alu instid0(VALU_DEP_4) | instskip(NEXT) | instid1(VALU_DEP_2)
	v_add_co_ci_u32_e32 v5, vcc_lo, 0, v12, vcc_lo
	v_add_co_u32 v12, vcc_lo, v4, v6
	s_delay_alu instid0(VALU_DEP_2)
	v_add_co_ci_u32_e32 v13, vcc_lo, 0, v5, vcc_lo
	v_cmp_gt_i32_e32 vcc_lo, v3, v7
	ds_load_b128 v[4:7], v36 offset:112
	v_cndmask_b32_e64 v14, 0, 1, vcc_lo
	s_waitcnt lgkmcnt(1)
	v_cmp_gt_i32_e32 vcc_lo, v3, v8
	v_cndmask_b32_e64 v8, 0, 1, vcc_lo
	s_delay_alu instid0(VALU_DEP_3)
	v_add_co_u32 v12, vcc_lo, v12, v14
	v_add_co_ci_u32_e32 v13, vcc_lo, 0, v13, vcc_lo
	v_cmp_gt_i32_e32 vcc_lo, v3, v9
	v_add_nc_u32_e32 v14, s3, v2
	v_cndmask_b32_e64 v9, 0, 1, vcc_lo
	v_add_co_u32 v8, vcc_lo, v12, v8
	v_add_co_ci_u32_e32 v12, vcc_lo, 0, v13, vcc_lo
	v_cmp_gt_i32_e32 vcc_lo, v3, v10
	v_cndmask_b32_e64 v10, 0, 1, vcc_lo
	s_delay_alu instid0(VALU_DEP_4) | instskip(NEXT) | instid1(VALU_DEP_4)
	v_add_co_u32 v8, vcc_lo, v8, v9
	v_add_co_ci_u32_e32 v9, vcc_lo, 0, v12, vcc_lo
	v_cmp_gt_i32_e32 vcc_lo, v3, v11
	v_cndmask_b32_e64 v11, 0, 1, vcc_lo
	s_delay_alu instid0(VALU_DEP_4) | instskip(NEXT) | instid1(VALU_DEP_4)
	v_add_co_u32 v8, vcc_lo, v8, v10
	v_add_co_ci_u32_e32 v9, vcc_lo, 0, v9, vcc_lo
	s_delay_alu instid0(VALU_DEP_2) | instskip(NEXT) | instid1(VALU_DEP_2)
	v_add_co_u32 v12, vcc_lo, v8, v11
	v_add_co_ci_u32_e32 v13, vcc_lo, 0, v9, vcc_lo
	s_waitcnt lgkmcnt(0)
	v_cmp_gt_i32_e32 vcc_lo, v3, v4
	ds_load_2addr_b64 v[8:11], v2 offset1:3
	v_cndmask_b32_e64 v4, 0, 1, vcc_lo
	v_cmp_gt_i32_e32 vcc_lo, v3, v5
	v_cndmask_b32_e64 v5, 0, 1, vcc_lo
	s_delay_alu instid0(VALU_DEP_3) | instskip(SKIP_3) | instid1(VALU_DEP_4)
	v_add_co_u32 v4, vcc_lo, v12, v4
	v_add_co_ci_u32_e32 v12, vcc_lo, 0, v13, vcc_lo
	v_cmp_gt_i32_e32 vcc_lo, v3, v6
	v_cndmask_b32_e64 v6, 0, 1, vcc_lo
	v_add_co_u32 v4, vcc_lo, v4, v5
	s_delay_alu instid0(VALU_DEP_4)
	v_add_co_ci_u32_e32 v5, vcc_lo, 0, v12, vcc_lo
	v_cmp_gt_i32_e32 vcc_lo, v3, v7
	v_add_nc_u32_e32 v3, s26, v3
	v_cndmask_b32_e64 v7, 0, 1, vcc_lo
	v_add_co_u32 v4, vcc_lo, v4, v6
	v_add_co_ci_u32_e32 v5, vcc_lo, 0, v5, vcc_lo
	v_add_nc_u32_e32 v6, s1, v2
	s_delay_alu instid0(VALU_DEP_3) | instskip(NEXT) | instid1(VALU_DEP_3)
	v_add_co_u32 v12, vcc_lo, v4, v7
	v_add_co_ci_u32_e32 v13, vcc_lo, 0, v5, vcc_lo
	s_waitcnt lgkmcnt(0)
	v_dual_mov_b32 v5, v9 :: v_dual_mov_b32 v4, v8
	ds_load_b64 v[6:7], v6
	ds_load_b64 v[8:9], v14
	v_lshlrev_b64 v[14:15], 2, v[12:13]
	v_lshlrev_b64 v[12:13], 5, v[12:13]
	s_delay_alu instid0(VALU_DEP_2) | instskip(NEXT) | instid1(VALU_DEP_3)
	v_add_co_u32 v14, vcc_lo, s28, v14
	v_add_co_ci_u32_e32 v15, vcc_lo, s29, v15, vcc_lo
	s_delay_alu instid0(VALU_DEP_3) | instskip(NEXT) | instid1(VALU_DEP_4)
	v_add_co_u32 v12, vcc_lo, s30, v12
	v_add_co_ci_u32_e32 v13, vcc_lo, s31, v13, vcc_lo
	global_store_b32 v[14:15], v3, off
	s_waitcnt lgkmcnt(1)
	global_store_b128 v[12:13], v[4:7], off
	s_waitcnt lgkmcnt(0)
	global_store_b128 v[12:13], v[8:11], off offset:16
	s_branch .LBB189_153
.LBB189_156:
	s_nop 0
	s_sendmsg sendmsg(MSG_DEALLOC_VGPRS)
	s_endpgm
	.section	.rodata,"a",@progbits
	.p2align	6, 0x0
	.amdhsa_kernel _ZN9rocsparseL27bsrgemm_fill_wf_per_row_2x2ILj256ELj16ELj32ELj137ElidEEv20rocsparse_direction_T4_S2_PKS2_S4_NS_24const_host_device_scalarIT5_EEPKT3_S4_PKS6_SA_S4_SC_S7_SA_S4_SC_SA_PS2_PS6_21rocsparse_index_base_SF_SF_SF_bbb
		.amdhsa_group_segment_fixed_size 18432
		.amdhsa_private_segment_fixed_size 0
		.amdhsa_kernarg_size 164
		.amdhsa_user_sgpr_count 15
		.amdhsa_user_sgpr_dispatch_ptr 0
		.amdhsa_user_sgpr_queue_ptr 0
		.amdhsa_user_sgpr_kernarg_segment_ptr 1
		.amdhsa_user_sgpr_dispatch_id 0
		.amdhsa_user_sgpr_private_segment_size 0
		.amdhsa_wavefront_size32 1
		.amdhsa_uses_dynamic_stack 0
		.amdhsa_enable_private_segment 0
		.amdhsa_system_sgpr_workgroup_id_x 1
		.amdhsa_system_sgpr_workgroup_id_y 0
		.amdhsa_system_sgpr_workgroup_id_z 0
		.amdhsa_system_sgpr_workgroup_info 0
		.amdhsa_system_vgpr_workitem_id 0
		.amdhsa_next_free_vgpr 49
		.amdhsa_next_free_sgpr 44
		.amdhsa_reserve_vcc 1
		.amdhsa_float_round_mode_32 0
		.amdhsa_float_round_mode_16_64 0
		.amdhsa_float_denorm_mode_32 3
		.amdhsa_float_denorm_mode_16_64 3
		.amdhsa_dx10_clamp 1
		.amdhsa_ieee_mode 1
		.amdhsa_fp16_overflow 0
		.amdhsa_workgroup_processor_mode 1
		.amdhsa_memory_ordered 1
		.amdhsa_forward_progress 0
		.amdhsa_shared_vgpr_count 0
		.amdhsa_exception_fp_ieee_invalid_op 0
		.amdhsa_exception_fp_denorm_src 0
		.amdhsa_exception_fp_ieee_div_zero 0
		.amdhsa_exception_fp_ieee_overflow 0
		.amdhsa_exception_fp_ieee_underflow 0
		.amdhsa_exception_fp_ieee_inexact 0
		.amdhsa_exception_int_div_zero 0
	.end_amdhsa_kernel
	.section	.text._ZN9rocsparseL27bsrgemm_fill_wf_per_row_2x2ILj256ELj16ELj32ELj137ElidEEv20rocsparse_direction_T4_S2_PKS2_S4_NS_24const_host_device_scalarIT5_EEPKT3_S4_PKS6_SA_S4_SC_S7_SA_S4_SC_SA_PS2_PS6_21rocsparse_index_base_SF_SF_SF_bbb,"axG",@progbits,_ZN9rocsparseL27bsrgemm_fill_wf_per_row_2x2ILj256ELj16ELj32ELj137ElidEEv20rocsparse_direction_T4_S2_PKS2_S4_NS_24const_host_device_scalarIT5_EEPKT3_S4_PKS6_SA_S4_SC_S7_SA_S4_SC_SA_PS2_PS6_21rocsparse_index_base_SF_SF_SF_bbb,comdat
.Lfunc_end189:
	.size	_ZN9rocsparseL27bsrgemm_fill_wf_per_row_2x2ILj256ELj16ELj32ELj137ElidEEv20rocsparse_direction_T4_S2_PKS2_S4_NS_24const_host_device_scalarIT5_EEPKT3_S4_PKS6_SA_S4_SC_S7_SA_S4_SC_SA_PS2_PS6_21rocsparse_index_base_SF_SF_SF_bbb, .Lfunc_end189-_ZN9rocsparseL27bsrgemm_fill_wf_per_row_2x2ILj256ELj16ELj32ELj137ElidEEv20rocsparse_direction_T4_S2_PKS2_S4_NS_24const_host_device_scalarIT5_EEPKT3_S4_PKS6_SA_S4_SC_S7_SA_S4_SC_SA_PS2_PS6_21rocsparse_index_base_SF_SF_SF_bbb
                                        ; -- End function
	.section	.AMDGPU.csdata,"",@progbits
; Kernel info:
; codeLenInByte = 6068
; NumSgprs: 46
; NumVgprs: 49
; ScratchSize: 0
; MemoryBound: 0
; FloatMode: 240
; IeeeMode: 1
; LDSByteSize: 18432 bytes/workgroup (compile time only)
; SGPRBlocks: 5
; VGPRBlocks: 6
; NumSGPRsForWavesPerEU: 46
; NumVGPRsForWavesPerEU: 49
; Occupancy: 14
; WaveLimiterHint : 1
; COMPUTE_PGM_RSRC2:SCRATCH_EN: 0
; COMPUTE_PGM_RSRC2:USER_SGPR: 15
; COMPUTE_PGM_RSRC2:TRAP_HANDLER: 0
; COMPUTE_PGM_RSRC2:TGID_X_EN: 1
; COMPUTE_PGM_RSRC2:TGID_Y_EN: 0
; COMPUTE_PGM_RSRC2:TGID_Z_EN: 0
; COMPUTE_PGM_RSRC2:TIDIG_COMP_CNT: 0
	.section	.text._ZN9rocsparseL30bsrgemm_fill_block_per_row_2x2ILj256ELj16ELj64ELj137ElidEEv20rocsparse_direction_T4_S2_PKS2_S4_NS_24const_host_device_scalarIT5_EEPKT3_S4_PKS6_SA_S4_SC_S7_SA_S4_SC_SA_PS2_PS6_21rocsparse_index_base_SF_SF_SF_bbb,"axG",@progbits,_ZN9rocsparseL30bsrgemm_fill_block_per_row_2x2ILj256ELj16ELj64ELj137ElidEEv20rocsparse_direction_T4_S2_PKS2_S4_NS_24const_host_device_scalarIT5_EEPKT3_S4_PKS6_SA_S4_SC_S7_SA_S4_SC_SA_PS2_PS6_21rocsparse_index_base_SF_SF_SF_bbb,comdat
	.globl	_ZN9rocsparseL30bsrgemm_fill_block_per_row_2x2ILj256ELj16ELj64ELj137ElidEEv20rocsparse_direction_T4_S2_PKS2_S4_NS_24const_host_device_scalarIT5_EEPKT3_S4_PKS6_SA_S4_SC_S7_SA_S4_SC_SA_PS2_PS6_21rocsparse_index_base_SF_SF_SF_bbb ; -- Begin function _ZN9rocsparseL30bsrgemm_fill_block_per_row_2x2ILj256ELj16ELj64ELj137ElidEEv20rocsparse_direction_T4_S2_PKS2_S4_NS_24const_host_device_scalarIT5_EEPKT3_S4_PKS6_SA_S4_SC_S7_SA_S4_SC_SA_PS2_PS6_21rocsparse_index_base_SF_SF_SF_bbb
	.p2align	8
	.type	_ZN9rocsparseL30bsrgemm_fill_block_per_row_2x2ILj256ELj16ELj64ELj137ElidEEv20rocsparse_direction_T4_S2_PKS2_S4_NS_24const_host_device_scalarIT5_EEPKT3_S4_PKS6_SA_S4_SC_S7_SA_S4_SC_SA_PS2_PS6_21rocsparse_index_base_SF_SF_SF_bbb,@function
_ZN9rocsparseL30bsrgemm_fill_block_per_row_2x2ILj256ELj16ELj64ELj137ElidEEv20rocsparse_direction_T4_S2_PKS2_S4_NS_24const_host_device_scalarIT5_EEPKT3_S4_PKS6_SA_S4_SC_S7_SA_S4_SC_SA_PS2_PS6_21rocsparse_index_base_SF_SF_SF_bbb: ; @_ZN9rocsparseL30bsrgemm_fill_block_per_row_2x2ILj256ELj16ELj64ELj137ElidEEv20rocsparse_direction_T4_S2_PKS2_S4_NS_24const_host_device_scalarIT5_EEPKT3_S4_PKS6_SA_S4_SC_S7_SA_S4_SC_SA_PS2_PS6_21rocsparse_index_base_SF_SF_SF_bbb
; %bb.0:
	s_clause 0x2
	s_load_b32 s7, s[0:1], 0xa0
	s_load_b64 s[4:5], s[0:1], 0x20
	s_load_b64 s[2:3], s[0:1], 0x58
	s_mov_b32 s16, s15
	s_waitcnt lgkmcnt(0)
	s_and_b32 s6, 1, s7
	s_bitcmp1_b32 s7, 16
	s_cselect_b32 s8, -1, 0
	s_cmp_eq_u32 s6, 1
	s_cselect_b32 s6, -1, 0
	s_delay_alu instid0(SALU_CYCLE_1)
	s_and_b32 s9, s6, exec_lo
	s_cselect_b32 s11, s5, 0
	s_cselect_b32 s10, s4, 0
	s_xor_b32 s9, s6, -1
	v_dual_mov_b32 v3, s10 :: v_dual_mov_b32 v4, s11
	s_or_b32 s9, s9, s8
	s_delay_alu instid0(SALU_CYCLE_1)
	s_and_b32 vcc_lo, exec_lo, s9
	s_cbranch_vccnz .LBB190_2
; %bb.1:
	v_dual_mov_b32 v1, s4 :: v_dual_mov_b32 v2, s5
	flat_load_b64 v[3:4], v[1:2]
.LBB190_2:
	s_bitcmp1_b32 s7, 8
	s_cselect_b32 s23, -1, 0
	s_delay_alu instid0(SALU_CYCLE_1)
	s_and_b32 s4, s23, exec_lo
	s_cselect_b32 s5, s3, 0
	s_cselect_b32 s4, s2, 0
	s_xor_b32 s7, s23, -1
	v_dual_mov_b32 v1, s4 :: v_dual_mov_b32 v2, s5
	s_or_b32 s7, s7, s8
	s_delay_alu instid0(SALU_CYCLE_1)
	s_and_b32 vcc_lo, exec_lo, s7
	s_cbranch_vccnz .LBB190_4
; %bb.3:
	v_dual_mov_b32 v1, s2 :: v_dual_mov_b32 v2, s3
	flat_load_b64 v[1:2], v[1:2]
.LBB190_4:
	s_load_b32 s3, s[0:1], 0x8
	v_cmp_gt_u32_e64 s2, 64, v0
	v_lshl_add_u32 v31, v0, 2, 0
	s_delay_alu instid0(VALU_DEP_2)
	s_and_saveexec_b32 s4, s2
	s_cbranch_execz .LBB190_6
; %bb.5:
	s_waitcnt lgkmcnt(0)
	v_mov_b32_e32 v5, s3
	ds_store_b32 v31, v5
.LBB190_6:
	s_or_b32 exec_lo, exec_lo, s4
	s_clause 0x1
	s_load_b128 s[12:15], s[0:1], 0x90
	s_load_b64 s[4:5], s[0:1], 0x18
	s_mov_b32 s7, exec_lo
	v_cmpx_gt_u32_e32 0x100, v0
	s_cbranch_execz .LBB190_8
; %bb.7:
	v_mov_b32_e32 v5, 0
	v_lshl_add_u32 v7, v0, 3, 0
	s_delay_alu instid0(VALU_DEP_2)
	v_mov_b32_e32 v6, v5
	ds_store_b64 v7, v[5:6] offset:256
.LBB190_8:
	s_or_b32 exec_lo, exec_lo, s7
	s_waitcnt lgkmcnt(0)
	s_cmp_eq_u64 s[4:5], 0
	s_waitcnt vmcnt(0)
	s_barrier
	buffer_gl0_inv
	s_cbranch_scc1 .LBB190_10
; %bb.9:
	s_load_b64 s[8:9], s[0:1], 0x10
	s_waitcnt lgkmcnt(0)
	s_load_b32 s7, s[8:9], 0x0
	s_mov_b32 s9, 0
	s_waitcnt lgkmcnt(0)
	s_add_i32 s8, s7, s16
	s_delay_alu instid0(SALU_CYCLE_1) | instskip(NEXT) | instid1(SALU_CYCLE_1)
	s_lshl_b64 s[8:9], s[8:9], 2
	s_add_u32 s4, s4, s8
	s_addc_u32 s5, s5, s9
	s_load_b32 s16, s[4:5], 0x0
.LBB190_10:
	s_load_b32 s22, s[0:1], 0x0
	s_and_not1_b32 vcc_lo, exec_lo, s6
	s_waitcnt lgkmcnt(0)
	s_ashr_i32 s17, s16, 31
	s_cbranch_vccnz .LBB190_82
; %bb.11:
	s_load_b64 s[4:5], s[0:1], 0x28
	s_lshl_b64 s[6:7], s[16:17], 3
	v_lshrrev_b32_e32 v5, 4, v0
	s_mov_b32 s25, 0
	s_mov_b32 s24, exec_lo
	s_delay_alu instid0(VALU_DEP_1) | instskip(NEXT) | instid1(VALU_DEP_1)
	v_sub_co_u32 v5, s8, v5, s12
	v_sub_co_ci_u32_e64 v6, null, 0, 0, s8
	s_waitcnt lgkmcnt(0)
	s_add_u32 s4, s4, s6
	s_addc_u32 s5, s5, s7
	s_load_b128 s[4:7], s[4:5], 0x0
	s_waitcnt lgkmcnt(0)
	v_add_co_u32 v5, vcc_lo, s4, v5
	v_add_co_ci_u32_e32 v6, vcc_lo, s5, v6, vcc_lo
	s_sub_u32 s18, s6, s12
	s_subb_u32 s19, s7, 0
	s_delay_alu instid0(VALU_DEP_1) | instid1(SALU_CYCLE_1)
	v_cmpx_gt_i64_e64 s[18:19], v[5:6]
	s_cbranch_execz .LBB190_81
; %bb.12:
	s_clause 0x1
	s_load_b64 s[20:21], s[0:1], 0x50
	s_load_b256 s[4:11], s[0:1], 0x30
	v_and_b32_e32 v7, 15, v0
	s_cmp_eq_u32 s22, 0
	s_cselect_b32 s27, 1, 2
	s_cselect_b32 s28, 2, 1
	s_delay_alu instid0(VALU_DEP_1) | instskip(NEXT) | instid1(VALU_DEP_1)
	v_sub_co_u32 v32, s26, v7, s13
	v_sub_co_ci_u32_e64 v33, null, 0, 0, s26
	s_mov_b32 s26, s13
	s_branch .LBB190_14
.LBB190_13:                             ;   in Loop: Header=BB190_14 Depth=1
	s_or_b32 exec_lo, exec_lo, s29
	v_add_co_u32 v5, vcc_lo, v5, 16
	v_add_co_ci_u32_e32 v6, vcc_lo, 0, v6, vcc_lo
	s_delay_alu instid0(VALU_DEP_1) | instskip(SKIP_1) | instid1(SALU_CYCLE_1)
	v_cmp_le_i64_e32 vcc_lo, s[18:19], v[5:6]
	s_or_b32 s25, vcc_lo, s25
	s_and_not1_b32 exec_lo, exec_lo, s25
	s_cbranch_execz .LBB190_81
.LBB190_14:                             ; =>This Loop Header: Depth=1
                                        ;     Child Loop BB190_17 Depth 2
                                        ;       Child Loop BB190_19 Depth 3
                                        ;         Child Loop BB190_25 Depth 4
                                        ;         Child Loop BB190_31 Depth 4
                                        ;       Child Loop BB190_35 Depth 3
                                        ;         Child Loop BB190_41 Depth 4
                                        ;         Child Loop BB190_47 Depth 4
                                        ;       Child Loop BB190_51 Depth 3
                                        ;         Child Loop BB190_57 Depth 4
                                        ;         Child Loop BB190_63 Depth 4
                                        ;       Child Loop BB190_67 Depth 3
                                        ;         Child Loop BB190_73 Depth 4
                                        ;         Child Loop BB190_79 Depth 4
	v_lshlrev_b64 v[11:12], 2, v[5:6]
	s_mov_b32 s29, exec_lo
	s_waitcnt lgkmcnt(0)
	s_delay_alu instid0(VALU_DEP_1) | instskip(NEXT) | instid1(VALU_DEP_2)
	v_add_co_u32 v7, vcc_lo, s4, v11
	v_add_co_ci_u32_e32 v8, vcc_lo, s5, v12, vcc_lo
	global_load_b32 v7, v[7:8], off
	s_waitcnt vmcnt(0)
	v_subrev_nc_u32_e32 v7, s12, v7
	s_delay_alu instid0(VALU_DEP_1) | instskip(NEXT) | instid1(VALU_DEP_1)
	v_ashrrev_i32_e32 v8, 31, v7
	v_lshlrev_b64 v[7:8], 3, v[7:8]
	s_delay_alu instid0(VALU_DEP_1) | instskip(NEXT) | instid1(VALU_DEP_2)
	v_add_co_u32 v7, vcc_lo, s8, v7
	v_add_co_ci_u32_e32 v8, vcc_lo, s9, v8, vcc_lo
	global_load_b128 v[13:16], v[7:8], off
	s_waitcnt vmcnt(0)
	v_sub_co_u32 v7, vcc_lo, v15, s26
	v_subrev_co_ci_u32_e32 v8, vcc_lo, 0, v16, vcc_lo
	v_add_co_u32 v9, vcc_lo, v13, v32
	v_add_co_ci_u32_e32 v10, vcc_lo, v14, v33, vcc_lo
	s_delay_alu instid0(VALU_DEP_1)
	v_cmpx_lt_i64_e64 v[9:10], v[7:8]
	s_cbranch_execz .LBB190_13
; %bb.15:                               ;   in Loop: Header=BB190_14 Depth=1
	v_or_b32_e32 v14, 0, v12
	v_or_b32_e32 v13, s28, v11
	v_lshlrev_b64 v[15:16], 5, v[5:6]
	v_or_b32_e32 v12, 0, v12
	v_or_b32_e32 v11, s27, v11
	s_mov_b32 s30, 0
	v_lshlrev_b64 v[13:14], 3, v[13:14]
	s_delay_alu instid0(VALU_DEP_4) | instskip(NEXT) | instid1(VALU_DEP_3)
	v_add_co_u32 v15, vcc_lo, s6, v15
	v_lshlrev_b64 v[11:12], 3, v[11:12]
	v_add_co_ci_u32_e32 v16, vcc_lo, s7, v16, vcc_lo
	s_delay_alu instid0(VALU_DEP_4) | instskip(SKIP_1) | instid1(VALU_DEP_4)
	v_add_co_u32 v13, vcc_lo, s6, v13
	v_add_co_ci_u32_e32 v14, vcc_lo, s7, v14, vcc_lo
	v_add_co_u32 v11, vcc_lo, s6, v11
	v_add_co_ci_u32_e32 v12, vcc_lo, s7, v12, vcc_lo
	s_clause 0x3
	global_load_b64 v[17:18], v[15:16], off offset:24
	global_load_b64 v[13:14], v[13:14], off
	global_load_b64 v[19:20], v[11:12], off
	;; [unrolled: 1-line block ×3, first 2 shown]
	s_waitcnt vmcnt(3)
	v_mul_f64 v[11:12], v[3:4], v[17:18]
	s_waitcnt vmcnt(2)
	v_mul_f64 v[13:14], v[3:4], v[13:14]
	;; [unrolled: 2-line block ×4, first 2 shown]
	s_branch .LBB190_17
.LBB190_16:                             ;   in Loop: Header=BB190_17 Depth=2
	s_or_b32 exec_lo, exec_lo, s31
	v_add_co_u32 v9, vcc_lo, v9, 16
	v_add_co_ci_u32_e32 v10, vcc_lo, 0, v10, vcc_lo
	s_delay_alu instid0(VALU_DEP_1) | instskip(SKIP_1) | instid1(SALU_CYCLE_1)
	v_cmp_ge_i64_e32 vcc_lo, v[9:10], v[7:8]
	s_or_b32 s30, vcc_lo, s30
	s_and_not1_b32 exec_lo, exec_lo, s30
	s_cbranch_execz .LBB190_13
.LBB190_17:                             ;   Parent Loop BB190_14 Depth=1
                                        ; =>  This Loop Header: Depth=2
                                        ;       Child Loop BB190_19 Depth 3
                                        ;         Child Loop BB190_25 Depth 4
                                        ;         Child Loop BB190_31 Depth 4
                                        ;       Child Loop BB190_35 Depth 3
                                        ;         Child Loop BB190_41 Depth 4
                                        ;         Child Loop BB190_47 Depth 4
	;; [unrolled: 3-line block ×4, first 2 shown]
	v_lshlrev_b64 v[19:20], 2, v[9:10]
	s_mov_b32 s31, 0
	s_delay_alu instid0(VALU_DEP_1) | instskip(NEXT) | instid1(VALU_DEP_2)
	v_or_b32_e32 v22, 0, v20
	v_or_b32_e32 v21, s28, v19
	s_delay_alu instid0(VALU_DEP_1) | instskip(NEXT) | instid1(VALU_DEP_1)
	v_lshlrev_b64 v[21:22], 3, v[21:22]
	v_add_co_u32 v21, vcc_lo, s20, v21
	s_delay_alu instid0(VALU_DEP_2) | instskip(SKIP_2) | instid1(VALU_DEP_1)
	v_add_co_ci_u32_e32 v22, vcc_lo, s21, v22, vcc_lo
	global_load_b64 v[23:24], v[21:22], off
	v_lshlrev_b64 v[21:22], 5, v[9:10]
	v_add_co_u32 v21, vcc_lo, s20, v21
	s_delay_alu instid0(VALU_DEP_2)
	v_add_co_ci_u32_e32 v22, vcc_lo, s21, v22, vcc_lo
	v_add_co_u32 v27, vcc_lo, s10, v19
	v_add_co_ci_u32_e32 v28, vcc_lo, s11, v20, vcc_lo
	global_load_b64 v[25:26], v[21:22], off
	v_or_b32_e32 v20, 0, v20
	v_or_b32_e32 v19, s27, v19
	global_load_b32 v29, v[27:28], off
	v_lshlrev_b64 v[19:20], 3, v[19:20]
	s_delay_alu instid0(VALU_DEP_1) | instskip(NEXT) | instid1(VALU_DEP_2)
	v_add_co_u32 v19, vcc_lo, s20, v19
	v_add_co_ci_u32_e32 v20, vcc_lo, s21, v20, vcc_lo
	s_clause 0x1
	global_load_b64 v[19:20], v[19:20], off
	global_load_b64 v[21:22], v[21:22], off offset:24
	s_waitcnt vmcnt(4)
	v_mul_f64 v[27:28], v[15:16], v[23:24]
	s_waitcnt vmcnt(2)
	v_subrev_nc_u32_e32 v34, s13, v29
	s_delay_alu instid0(VALU_DEP_1) | instskip(NEXT) | instid1(VALU_DEP_1)
	v_lshl_add_u32 v29, v34, 3, v34
	v_and_b32_e32 v35, 63, v29
	s_delay_alu instid0(VALU_DEP_1)
	v_mov_b32_e32 v36, v35
	v_fma_f64 v[27:28], v[17:18], v[25:26], v[27:28]
	s_branch .LBB190_19
.LBB190_18:                             ;   in Loop: Header=BB190_19 Depth=3
	s_or_b32 exec_lo, exec_lo, s33
	s_xor_b32 s33, s34, -1
	s_delay_alu instid0(SALU_CYCLE_1) | instskip(NEXT) | instid1(SALU_CYCLE_1)
	s_and_b32 s33, exec_lo, s33
	s_or_b32 s31, s33, s31
	s_delay_alu instid0(SALU_CYCLE_1)
	s_and_not1_b32 exec_lo, exec_lo, s31
	s_cbranch_execz .LBB190_33
.LBB190_19:                             ;   Parent Loop BB190_14 Depth=1
                                        ;     Parent Loop BB190_17 Depth=2
                                        ; =>    This Loop Header: Depth=3
                                        ;         Child Loop BB190_25 Depth 4
                                        ;         Child Loop BB190_31 Depth 4
	s_delay_alu instid0(VALU_DEP_2)
	v_lshl_add_u32 v29, v36, 2, 0
	s_mov_b32 s33, exec_lo
                                        ; implicit-def: $sgpr34
	ds_load_b32 v30, v29
	s_waitcnt lgkmcnt(0)
	v_cmpx_ne_u32_e64 v30, v34
	s_xor_b32 s33, exec_lo, s33
	s_cbranch_execz .LBB190_29
; %bb.20:                               ;   in Loop: Header=BB190_19 Depth=3
	s_mov_b32 s35, exec_lo
                                        ; implicit-def: $sgpr34
	v_cmpx_ne_u32_e64 s3, v30
	s_xor_b32 s35, exec_lo, s35
; %bb.21:                               ;   in Loop: Header=BB190_19 Depth=3
	v_add_nc_u32_e32 v29, 1, v36
	s_mov_b32 s34, -1
	s_delay_alu instid0(VALU_DEP_1)
	v_and_b32_e32 v36, 63, v29
                                        ; implicit-def: $vgpr29
; %bb.22:                               ;   in Loop: Header=BB190_19 Depth=3
	s_and_not1_saveexec_b32 s35, s35
	s_cbranch_execz .LBB190_28
; %bb.23:                               ;   in Loop: Header=BB190_19 Depth=3
	v_mov_b32_e32 v30, s3
	s_mov_b32 s37, -1
	s_mov_b32 s36, exec_lo
	ds_cmpstore_rtn_b32 v30, v29, v34, v30
	s_waitcnt lgkmcnt(0)
	v_cmpx_eq_u32_e64 s3, v30
	s_cbranch_execz .LBB190_27
; %bb.24:                               ;   in Loop: Header=BB190_19 Depth=3
	v_mul_lo_u32 v30, v36, 28
	s_mov_b32 s37, 0
	s_delay_alu instid0(VALU_DEP_1)
	v_add_nc_u32_e32 v37, v29, v30
	ds_load_b64 v[29:30], v37 offset:256
.LBB190_25:                             ;   Parent Loop BB190_14 Depth=1
                                        ;     Parent Loop BB190_17 Depth=2
                                        ;       Parent Loop BB190_19 Depth=3
                                        ; =>      This Inner Loop Header: Depth=4
	s_waitcnt lgkmcnt(0)
	v_add_f64 v[38:39], v[29:30], v[27:28]
	ds_cmpstore_rtn_b64 v[38:39], v37, v[38:39], v[29:30] offset:256
	s_waitcnt lgkmcnt(0)
	v_cmp_eq_u64_e32 vcc_lo, v[38:39], v[29:30]
	v_dual_mov_b32 v29, v38 :: v_dual_mov_b32 v30, v39
	s_or_b32 s37, vcc_lo, s37
	s_delay_alu instid0(SALU_CYCLE_1)
	s_and_not1_b32 exec_lo, exec_lo, s37
	s_cbranch_execnz .LBB190_25
; %bb.26:                               ;   in Loop: Header=BB190_19 Depth=3
	s_or_b32 exec_lo, exec_lo, s37
	s_delay_alu instid0(SALU_CYCLE_1)
	s_xor_b32 s37, exec_lo, -1
.LBB190_27:                             ;   in Loop: Header=BB190_19 Depth=3
	s_or_b32 exec_lo, exec_lo, s36
	s_delay_alu instid0(SALU_CYCLE_1) | instskip(SKIP_1) | instid1(SALU_CYCLE_1)
	s_and_not1_b32 s34, s34, exec_lo
	s_and_b32 s36, s37, exec_lo
	s_or_b32 s34, s34, s36
.LBB190_28:                             ;   in Loop: Header=BB190_19 Depth=3
	s_or_b32 exec_lo, exec_lo, s35
	s_delay_alu instid0(SALU_CYCLE_1)
	s_and_b32 s34, s34, exec_lo
                                        ; implicit-def: $vgpr29
.LBB190_29:                             ;   in Loop: Header=BB190_19 Depth=3
	s_and_not1_saveexec_b32 s33, s33
	s_cbranch_execz .LBB190_18
; %bb.30:                               ;   in Loop: Header=BB190_19 Depth=3
	v_mul_lo_u32 v30, v36, 28
	s_mov_b32 s35, 0
	s_delay_alu instid0(VALU_DEP_1)
	v_add_nc_u32_e32 v37, v29, v30
	ds_load_b64 v[29:30], v37 offset:256
.LBB190_31:                             ;   Parent Loop BB190_14 Depth=1
                                        ;     Parent Loop BB190_17 Depth=2
                                        ;       Parent Loop BB190_19 Depth=3
                                        ; =>      This Inner Loop Header: Depth=4
	s_waitcnt lgkmcnt(0)
	v_add_f64 v[38:39], v[29:30], v[27:28]
	ds_cmpstore_rtn_b64 v[38:39], v37, v[38:39], v[29:30] offset:256
	s_waitcnt lgkmcnt(0)
	v_cmp_eq_u64_e32 vcc_lo, v[38:39], v[29:30]
	v_dual_mov_b32 v29, v38 :: v_dual_mov_b32 v30, v39
	s_or_b32 s35, vcc_lo, s35
	s_delay_alu instid0(SALU_CYCLE_1)
	s_and_not1_b32 exec_lo, exec_lo, s35
	s_cbranch_execnz .LBB190_31
; %bb.32:                               ;   in Loop: Header=BB190_19 Depth=3
	s_or_b32 exec_lo, exec_lo, s35
	s_delay_alu instid0(SALU_CYCLE_1)
	s_and_not1_b32 s34, s34, exec_lo
	s_branch .LBB190_18
.LBB190_33:                             ;   in Loop: Header=BB190_17 Depth=2
	s_or_b32 exec_lo, exec_lo, s31
	s_waitcnt vmcnt(0)
	v_mul_f64 v[27:28], v[15:16], v[21:22]
	v_mov_b32_e32 v36, v35
	s_mov_b32 s31, 0
	s_delay_alu instid0(VALU_DEP_2)
	v_fma_f64 v[27:28], v[17:18], v[19:20], v[27:28]
	s_branch .LBB190_35
.LBB190_34:                             ;   in Loop: Header=BB190_35 Depth=3
	s_or_b32 exec_lo, exec_lo, s33
	s_xor_b32 s33, s34, -1
	s_delay_alu instid0(SALU_CYCLE_1) | instskip(NEXT) | instid1(SALU_CYCLE_1)
	s_and_b32 s33, exec_lo, s33
	s_or_b32 s31, s33, s31
	s_delay_alu instid0(SALU_CYCLE_1)
	s_and_not1_b32 exec_lo, exec_lo, s31
	s_cbranch_execz .LBB190_49
.LBB190_35:                             ;   Parent Loop BB190_14 Depth=1
                                        ;     Parent Loop BB190_17 Depth=2
                                        ; =>    This Loop Header: Depth=3
                                        ;         Child Loop BB190_41 Depth 4
                                        ;         Child Loop BB190_47 Depth 4
	s_delay_alu instid0(VALU_DEP_2)
	v_lshl_add_u32 v29, v36, 2, 0
	s_mov_b32 s33, exec_lo
                                        ; implicit-def: $sgpr34
	ds_load_b32 v30, v29
	s_waitcnt lgkmcnt(0)
	v_cmpx_ne_u32_e64 v30, v34
	s_xor_b32 s33, exec_lo, s33
	s_cbranch_execz .LBB190_45
; %bb.36:                               ;   in Loop: Header=BB190_35 Depth=3
	s_mov_b32 s35, exec_lo
                                        ; implicit-def: $sgpr34
	v_cmpx_ne_u32_e64 s3, v30
	s_xor_b32 s35, exec_lo, s35
; %bb.37:                               ;   in Loop: Header=BB190_35 Depth=3
	v_add_nc_u32_e32 v29, 1, v36
	s_mov_b32 s34, -1
	s_delay_alu instid0(VALU_DEP_1)
	v_and_b32_e32 v36, 63, v29
                                        ; implicit-def: $vgpr29
; %bb.38:                               ;   in Loop: Header=BB190_35 Depth=3
	s_and_not1_saveexec_b32 s35, s35
	s_cbranch_execz .LBB190_44
; %bb.39:                               ;   in Loop: Header=BB190_35 Depth=3
	v_mov_b32_e32 v30, s3
	s_mov_b32 s37, -1
	s_mov_b32 s36, exec_lo
	ds_cmpstore_rtn_b32 v30, v29, v34, v30
	s_waitcnt lgkmcnt(0)
	v_cmpx_eq_u32_e64 s3, v30
	s_cbranch_execz .LBB190_43
; %bb.40:                               ;   in Loop: Header=BB190_35 Depth=3
	v_mul_lo_u32 v30, v36, 28
	s_mov_b32 s37, 0
	s_delay_alu instid0(VALU_DEP_1)
	v_add_nc_u32_e32 v37, v29, v30
	ds_load_b64 v[29:30], v37 offset:264
.LBB190_41:                             ;   Parent Loop BB190_14 Depth=1
                                        ;     Parent Loop BB190_17 Depth=2
                                        ;       Parent Loop BB190_35 Depth=3
                                        ; =>      This Inner Loop Header: Depth=4
	s_waitcnt lgkmcnt(0)
	v_add_f64 v[38:39], v[29:30], v[27:28]
	ds_cmpstore_rtn_b64 v[38:39], v37, v[38:39], v[29:30] offset:264
	s_waitcnt lgkmcnt(0)
	v_cmp_eq_u64_e32 vcc_lo, v[38:39], v[29:30]
	v_dual_mov_b32 v29, v38 :: v_dual_mov_b32 v30, v39
	s_or_b32 s37, vcc_lo, s37
	s_delay_alu instid0(SALU_CYCLE_1)
	s_and_not1_b32 exec_lo, exec_lo, s37
	s_cbranch_execnz .LBB190_41
; %bb.42:                               ;   in Loop: Header=BB190_35 Depth=3
	s_or_b32 exec_lo, exec_lo, s37
	s_delay_alu instid0(SALU_CYCLE_1)
	s_xor_b32 s37, exec_lo, -1
.LBB190_43:                             ;   in Loop: Header=BB190_35 Depth=3
	s_or_b32 exec_lo, exec_lo, s36
	s_delay_alu instid0(SALU_CYCLE_1) | instskip(SKIP_1) | instid1(SALU_CYCLE_1)
	s_and_not1_b32 s34, s34, exec_lo
	s_and_b32 s36, s37, exec_lo
	s_or_b32 s34, s34, s36
.LBB190_44:                             ;   in Loop: Header=BB190_35 Depth=3
	s_or_b32 exec_lo, exec_lo, s35
	s_delay_alu instid0(SALU_CYCLE_1)
	s_and_b32 s34, s34, exec_lo
                                        ; implicit-def: $vgpr29
.LBB190_45:                             ;   in Loop: Header=BB190_35 Depth=3
	s_and_not1_saveexec_b32 s33, s33
	s_cbranch_execz .LBB190_34
; %bb.46:                               ;   in Loop: Header=BB190_35 Depth=3
	v_mul_lo_u32 v30, v36, 28
	s_mov_b32 s35, 0
	s_delay_alu instid0(VALU_DEP_1)
	v_add_nc_u32_e32 v37, v29, v30
	ds_load_b64 v[29:30], v37 offset:264
.LBB190_47:                             ;   Parent Loop BB190_14 Depth=1
                                        ;     Parent Loop BB190_17 Depth=2
                                        ;       Parent Loop BB190_35 Depth=3
                                        ; =>      This Inner Loop Header: Depth=4
	s_waitcnt lgkmcnt(0)
	v_add_f64 v[38:39], v[29:30], v[27:28]
	ds_cmpstore_rtn_b64 v[38:39], v37, v[38:39], v[29:30] offset:264
	s_waitcnt lgkmcnt(0)
	v_cmp_eq_u64_e32 vcc_lo, v[38:39], v[29:30]
	v_dual_mov_b32 v29, v38 :: v_dual_mov_b32 v30, v39
	s_or_b32 s35, vcc_lo, s35
	s_delay_alu instid0(SALU_CYCLE_1)
	s_and_not1_b32 exec_lo, exec_lo, s35
	s_cbranch_execnz .LBB190_47
; %bb.48:                               ;   in Loop: Header=BB190_35 Depth=3
	s_or_b32 exec_lo, exec_lo, s35
	s_delay_alu instid0(SALU_CYCLE_1)
	s_and_not1_b32 s34, s34, exec_lo
	s_branch .LBB190_34
.LBB190_49:                             ;   in Loop: Header=BB190_17 Depth=2
	s_or_b32 exec_lo, exec_lo, s31
	v_mul_f64 v[23:24], v[11:12], v[23:24]
	v_mov_b32_e32 v27, v35
	s_mov_b32 s31, 0
	s_delay_alu instid0(VALU_DEP_2)
	v_fma_f64 v[23:24], v[13:14], v[25:26], v[23:24]
	s_branch .LBB190_51
.LBB190_50:                             ;   in Loop: Header=BB190_51 Depth=3
	s_or_b32 exec_lo, exec_lo, s33
	s_xor_b32 s33, s34, -1
	s_delay_alu instid0(SALU_CYCLE_1) | instskip(NEXT) | instid1(SALU_CYCLE_1)
	s_and_b32 s33, exec_lo, s33
	s_or_b32 s31, s33, s31
	s_delay_alu instid0(SALU_CYCLE_1)
	s_and_not1_b32 exec_lo, exec_lo, s31
	s_cbranch_execz .LBB190_65
.LBB190_51:                             ;   Parent Loop BB190_14 Depth=1
                                        ;     Parent Loop BB190_17 Depth=2
                                        ; =>    This Loop Header: Depth=3
                                        ;         Child Loop BB190_57 Depth 4
                                        ;         Child Loop BB190_63 Depth 4
	s_delay_alu instid0(VALU_DEP_2)
	v_lshl_add_u32 v25, v27, 2, 0
	s_mov_b32 s33, exec_lo
                                        ; implicit-def: $sgpr34
	ds_load_b32 v26, v25
	s_waitcnt lgkmcnt(0)
	v_cmpx_ne_u32_e64 v26, v34
	s_xor_b32 s33, exec_lo, s33
	s_cbranch_execz .LBB190_61
; %bb.52:                               ;   in Loop: Header=BB190_51 Depth=3
	s_mov_b32 s35, exec_lo
                                        ; implicit-def: $sgpr34
	v_cmpx_ne_u32_e64 s3, v26
	s_xor_b32 s35, exec_lo, s35
; %bb.53:                               ;   in Loop: Header=BB190_51 Depth=3
	v_add_nc_u32_e32 v25, 1, v27
	s_mov_b32 s34, -1
	s_delay_alu instid0(VALU_DEP_1)
	v_and_b32_e32 v27, 63, v25
                                        ; implicit-def: $vgpr25
; %bb.54:                               ;   in Loop: Header=BB190_51 Depth=3
	s_and_not1_saveexec_b32 s35, s35
	s_cbranch_execz .LBB190_60
; %bb.55:                               ;   in Loop: Header=BB190_51 Depth=3
	v_mov_b32_e32 v26, s3
	s_mov_b32 s37, -1
	s_mov_b32 s36, exec_lo
	ds_cmpstore_rtn_b32 v26, v25, v34, v26
	s_waitcnt lgkmcnt(0)
	v_cmpx_eq_u32_e64 s3, v26
	s_cbranch_execz .LBB190_59
; %bb.56:                               ;   in Loop: Header=BB190_51 Depth=3
	v_mul_lo_u32 v26, v27, 28
	s_mov_b32 s37, 0
	s_delay_alu instid0(VALU_DEP_1)
	v_add_nc_u32_e32 v28, v25, v26
	ds_load_b64 v[25:26], v28 offset:272
.LBB190_57:                             ;   Parent Loop BB190_14 Depth=1
                                        ;     Parent Loop BB190_17 Depth=2
                                        ;       Parent Loop BB190_51 Depth=3
                                        ; =>      This Inner Loop Header: Depth=4
	s_waitcnt lgkmcnt(0)
	v_add_f64 v[29:30], v[25:26], v[23:24]
	ds_cmpstore_rtn_b64 v[29:30], v28, v[29:30], v[25:26] offset:272
	s_waitcnt lgkmcnt(0)
	v_cmp_eq_u64_e32 vcc_lo, v[29:30], v[25:26]
	v_dual_mov_b32 v25, v29 :: v_dual_mov_b32 v26, v30
	s_or_b32 s37, vcc_lo, s37
	s_delay_alu instid0(SALU_CYCLE_1)
	s_and_not1_b32 exec_lo, exec_lo, s37
	s_cbranch_execnz .LBB190_57
; %bb.58:                               ;   in Loop: Header=BB190_51 Depth=3
	s_or_b32 exec_lo, exec_lo, s37
	s_delay_alu instid0(SALU_CYCLE_1)
	s_xor_b32 s37, exec_lo, -1
.LBB190_59:                             ;   in Loop: Header=BB190_51 Depth=3
	s_or_b32 exec_lo, exec_lo, s36
	s_delay_alu instid0(SALU_CYCLE_1) | instskip(SKIP_1) | instid1(SALU_CYCLE_1)
	s_and_not1_b32 s34, s34, exec_lo
	s_and_b32 s36, s37, exec_lo
	s_or_b32 s34, s34, s36
.LBB190_60:                             ;   in Loop: Header=BB190_51 Depth=3
	s_or_b32 exec_lo, exec_lo, s35
	s_delay_alu instid0(SALU_CYCLE_1)
	s_and_b32 s34, s34, exec_lo
                                        ; implicit-def: $vgpr25
.LBB190_61:                             ;   in Loop: Header=BB190_51 Depth=3
	s_and_not1_saveexec_b32 s33, s33
	s_cbranch_execz .LBB190_50
; %bb.62:                               ;   in Loop: Header=BB190_51 Depth=3
	v_mul_lo_u32 v26, v27, 28
	s_mov_b32 s35, 0
	s_delay_alu instid0(VALU_DEP_1)
	v_add_nc_u32_e32 v28, v25, v26
	ds_load_b64 v[25:26], v28 offset:272
.LBB190_63:                             ;   Parent Loop BB190_14 Depth=1
                                        ;     Parent Loop BB190_17 Depth=2
                                        ;       Parent Loop BB190_51 Depth=3
                                        ; =>      This Inner Loop Header: Depth=4
	s_waitcnt lgkmcnt(0)
	v_add_f64 v[29:30], v[25:26], v[23:24]
	ds_cmpstore_rtn_b64 v[29:30], v28, v[29:30], v[25:26] offset:272
	s_waitcnt lgkmcnt(0)
	v_cmp_eq_u64_e32 vcc_lo, v[29:30], v[25:26]
	v_dual_mov_b32 v25, v29 :: v_dual_mov_b32 v26, v30
	s_or_b32 s35, vcc_lo, s35
	s_delay_alu instid0(SALU_CYCLE_1)
	s_and_not1_b32 exec_lo, exec_lo, s35
	s_cbranch_execnz .LBB190_63
; %bb.64:                               ;   in Loop: Header=BB190_51 Depth=3
	s_or_b32 exec_lo, exec_lo, s35
	s_delay_alu instid0(SALU_CYCLE_1)
	s_and_not1_b32 s34, s34, exec_lo
	s_branch .LBB190_50
.LBB190_65:                             ;   in Loop: Header=BB190_17 Depth=2
	s_or_b32 exec_lo, exec_lo, s31
	v_mul_f64 v[21:22], v[11:12], v[21:22]
	s_mov_b32 s31, 0
	s_delay_alu instid0(VALU_DEP_1)
	v_fma_f64 v[19:20], v[13:14], v[19:20], v[21:22]
	s_branch .LBB190_67
.LBB190_66:                             ;   in Loop: Header=BB190_67 Depth=3
	s_or_b32 exec_lo, exec_lo, s33
	s_xor_b32 s33, s34, -1
	s_delay_alu instid0(SALU_CYCLE_1) | instskip(NEXT) | instid1(SALU_CYCLE_1)
	s_and_b32 s33, exec_lo, s33
	s_or_b32 s31, s33, s31
	s_delay_alu instid0(SALU_CYCLE_1)
	s_and_not1_b32 exec_lo, exec_lo, s31
	s_cbranch_execz .LBB190_16
.LBB190_67:                             ;   Parent Loop BB190_14 Depth=1
                                        ;     Parent Loop BB190_17 Depth=2
                                        ; =>    This Loop Header: Depth=3
                                        ;         Child Loop BB190_73 Depth 4
                                        ;         Child Loop BB190_79 Depth 4
	v_lshl_add_u32 v21, v35, 2, 0
	s_mov_b32 s33, exec_lo
                                        ; implicit-def: $sgpr34
	ds_load_b32 v22, v21
	s_waitcnt lgkmcnt(0)
	v_cmpx_ne_u32_e64 v22, v34
	s_xor_b32 s33, exec_lo, s33
	s_cbranch_execz .LBB190_77
; %bb.68:                               ;   in Loop: Header=BB190_67 Depth=3
	s_mov_b32 s35, exec_lo
                                        ; implicit-def: $sgpr34
	v_cmpx_ne_u32_e64 s3, v22
	s_xor_b32 s35, exec_lo, s35
; %bb.69:                               ;   in Loop: Header=BB190_67 Depth=3
	v_add_nc_u32_e32 v21, 1, v35
	s_mov_b32 s34, -1
	s_delay_alu instid0(VALU_DEP_1)
	v_and_b32_e32 v35, 63, v21
                                        ; implicit-def: $vgpr21
; %bb.70:                               ;   in Loop: Header=BB190_67 Depth=3
	s_and_not1_saveexec_b32 s35, s35
	s_cbranch_execz .LBB190_76
; %bb.71:                               ;   in Loop: Header=BB190_67 Depth=3
	v_mov_b32_e32 v22, s3
	s_mov_b32 s37, -1
	s_mov_b32 s36, exec_lo
	ds_cmpstore_rtn_b32 v22, v21, v34, v22
	s_waitcnt lgkmcnt(0)
	v_cmpx_eq_u32_e64 s3, v22
	s_cbranch_execz .LBB190_75
; %bb.72:                               ;   in Loop: Header=BB190_67 Depth=3
	v_mul_lo_u32 v22, v35, 28
	s_mov_b32 s37, 0
	s_delay_alu instid0(VALU_DEP_1)
	v_add_nc_u32_e32 v23, v21, v22
	ds_load_b64 v[21:22], v23 offset:280
.LBB190_73:                             ;   Parent Loop BB190_14 Depth=1
                                        ;     Parent Loop BB190_17 Depth=2
                                        ;       Parent Loop BB190_67 Depth=3
                                        ; =>      This Inner Loop Header: Depth=4
	s_waitcnt lgkmcnt(0)
	v_add_f64 v[24:25], v[21:22], v[19:20]
	ds_cmpstore_rtn_b64 v[24:25], v23, v[24:25], v[21:22] offset:280
	s_waitcnt lgkmcnt(0)
	v_cmp_eq_u64_e32 vcc_lo, v[24:25], v[21:22]
	v_dual_mov_b32 v21, v24 :: v_dual_mov_b32 v22, v25
	s_or_b32 s37, vcc_lo, s37
	s_delay_alu instid0(SALU_CYCLE_1)
	s_and_not1_b32 exec_lo, exec_lo, s37
	s_cbranch_execnz .LBB190_73
; %bb.74:                               ;   in Loop: Header=BB190_67 Depth=3
	s_or_b32 exec_lo, exec_lo, s37
	s_delay_alu instid0(SALU_CYCLE_1)
	s_xor_b32 s37, exec_lo, -1
.LBB190_75:                             ;   in Loop: Header=BB190_67 Depth=3
	s_or_b32 exec_lo, exec_lo, s36
	s_delay_alu instid0(SALU_CYCLE_1) | instskip(SKIP_1) | instid1(SALU_CYCLE_1)
	s_and_not1_b32 s34, s34, exec_lo
	s_and_b32 s36, s37, exec_lo
	s_or_b32 s34, s34, s36
.LBB190_76:                             ;   in Loop: Header=BB190_67 Depth=3
	s_or_b32 exec_lo, exec_lo, s35
	s_delay_alu instid0(SALU_CYCLE_1)
	s_and_b32 s34, s34, exec_lo
                                        ; implicit-def: $vgpr21
.LBB190_77:                             ;   in Loop: Header=BB190_67 Depth=3
	s_and_not1_saveexec_b32 s33, s33
	s_cbranch_execz .LBB190_66
; %bb.78:                               ;   in Loop: Header=BB190_67 Depth=3
	v_mul_lo_u32 v22, v35, 28
	s_mov_b32 s35, 0
	s_delay_alu instid0(VALU_DEP_1)
	v_add_nc_u32_e32 v23, v21, v22
	ds_load_b64 v[21:22], v23 offset:280
.LBB190_79:                             ;   Parent Loop BB190_14 Depth=1
                                        ;     Parent Loop BB190_17 Depth=2
                                        ;       Parent Loop BB190_67 Depth=3
                                        ; =>      This Inner Loop Header: Depth=4
	s_waitcnt lgkmcnt(0)
	v_add_f64 v[24:25], v[21:22], v[19:20]
	ds_cmpstore_rtn_b64 v[24:25], v23, v[24:25], v[21:22] offset:280
	s_waitcnt lgkmcnt(0)
	v_cmp_eq_u64_e32 vcc_lo, v[24:25], v[21:22]
	v_dual_mov_b32 v21, v24 :: v_dual_mov_b32 v22, v25
	s_or_b32 s35, vcc_lo, s35
	s_delay_alu instid0(SALU_CYCLE_1)
	s_and_not1_b32 exec_lo, exec_lo, s35
	s_cbranch_execnz .LBB190_79
; %bb.80:                               ;   in Loop: Header=BB190_67 Depth=3
	s_or_b32 exec_lo, exec_lo, s35
	s_delay_alu instid0(SALU_CYCLE_1)
	s_and_not1_b32 s34, s34, exec_lo
	s_branch .LBB190_66
.LBB190_81:
	s_or_b32 exec_lo, exec_lo, s24
.LBB190_82:
	s_delay_alu instid0(SALU_CYCLE_1)
	s_and_not1_b32 vcc_lo, exec_lo, s23
	s_barrier
	buffer_gl0_inv
	s_cbranch_vccnz .LBB190_151
; %bb.83:
	s_load_b64 s[4:5], s[0:1], 0x60
	s_lshl_b64 s[6:7], s[16:17], 3
	v_sub_co_u32 v3, s8, v0, s15
	s_delay_alu instid0(VALU_DEP_1)
	v_sub_co_ci_u32_e64 v4, null, 0, 0, s8
	s_mov_b32 s11, 0
	s_mov_b32 s10, exec_lo
	s_waitcnt lgkmcnt(0)
	s_add_u32 s4, s4, s6
	s_addc_u32 s5, s5, s7
	s_load_b128 s[4:7], s[4:5], 0x0
	s_waitcnt lgkmcnt(0)
	v_add_co_u32 v3, vcc_lo, s4, v3
	v_add_co_ci_u32_e32 v4, vcc_lo, s5, v4, vcc_lo
	s_sub_u32 s8, s6, s15
	s_subb_u32 s9, s7, 0
	s_delay_alu instid0(VALU_DEP_1) | instid1(SALU_CYCLE_1)
	v_cmpx_gt_i64_e64 s[8:9], v[3:4]
	s_cbranch_execz .LBB190_150
; %bb.84:
	s_load_b128 s[4:7], s[0:1], 0x68
	s_cmp_eq_u32 s22, 0
	s_cselect_b32 s12, 1, 2
	s_cselect_b32 s13, 2, 1
	s_branch .LBB190_86
.LBB190_85:                             ;   in Loop: Header=BB190_86 Depth=1
	s_or_b32 exec_lo, exec_lo, s18
	v_add_co_u32 v3, vcc_lo, 0x100, v3
	v_add_co_ci_u32_e32 v4, vcc_lo, 0, v4, vcc_lo
	s_delay_alu instid0(VALU_DEP_1) | instskip(SKIP_1) | instid1(SALU_CYCLE_1)
	v_cmp_le_i64_e32 vcc_lo, s[8:9], v[3:4]
	s_or_b32 s11, vcc_lo, s11
	s_and_not1_b32 exec_lo, exec_lo, s11
	s_cbranch_execz .LBB190_150
.LBB190_86:                             ; =>This Loop Header: Depth=1
                                        ;     Child Loop BB190_88 Depth 2
                                        ;       Child Loop BB190_94 Depth 3
                                        ;       Child Loop BB190_100 Depth 3
                                        ;     Child Loop BB190_104 Depth 2
                                        ;       Child Loop BB190_110 Depth 3
                                        ;       Child Loop BB190_116 Depth 3
	;; [unrolled: 3-line block ×4, first 2 shown]
	v_lshlrev_b64 v[5:6], 5, v[3:4]
	v_lshlrev_b64 v[7:8], 2, v[3:4]
	s_mov_b32 s18, 0
	s_waitcnt lgkmcnt(0)
	s_delay_alu instid0(VALU_DEP_2) | instskip(NEXT) | instid1(VALU_DEP_3)
	v_add_co_u32 v5, vcc_lo, s6, v5
	v_add_co_ci_u32_e32 v6, vcc_lo, s7, v6, vcc_lo
	s_delay_alu instid0(VALU_DEP_3)
	v_add_co_u32 v9, vcc_lo, s4, v7
	v_add_co_ci_u32_e32 v10, vcc_lo, s5, v8, vcc_lo
	global_load_b64 v[11:12], v[5:6], off
	v_or_b32_e32 v14, 0, v8
	v_or_b32_e32 v13, s13, v7
	global_load_b32 v15, v[9:10], off
	v_or_b32_e32 v8, 0, v8
	v_or_b32_e32 v7, s12, v7
	v_lshlrev_b64 v[9:10], 3, v[13:14]
	s_delay_alu instid0(VALU_DEP_2) | instskip(NEXT) | instid1(VALU_DEP_2)
	v_lshlrev_b64 v[7:8], 3, v[7:8]
	v_add_co_u32 v9, vcc_lo, s6, v9
	s_delay_alu instid0(VALU_DEP_3) | instskip(NEXT) | instid1(VALU_DEP_3)
	v_add_co_ci_u32_e32 v10, vcc_lo, s7, v10, vcc_lo
	v_add_co_u32 v13, vcc_lo, s6, v7
	s_delay_alu instid0(VALU_DEP_4)
	v_add_co_ci_u32_e32 v14, vcc_lo, s7, v8, vcc_lo
	s_clause 0x2
	global_load_b64 v[7:8], v[9:10], off
	global_load_b64 v[9:10], v[13:14], off
	global_load_b64 v[5:6], v[5:6], off offset:24
	s_waitcnt vmcnt(4)
	v_mul_f64 v[11:12], v[1:2], v[11:12]
	s_waitcnt vmcnt(3)
	v_subrev_nc_u32_e32 v15, s15, v15
	s_delay_alu instid0(VALU_DEP_1) | instskip(NEXT) | instid1(VALU_DEP_1)
	v_lshl_add_u32 v13, v15, 3, v15
	v_and_b32_e32 v16, 63, v13
	s_delay_alu instid0(VALU_DEP_1)
	v_mov_b32_e32 v17, v16
	s_branch .LBB190_88
.LBB190_87:                             ;   in Loop: Header=BB190_88 Depth=2
	s_or_b32 exec_lo, exec_lo, s19
	s_xor_b32 s19, s20, -1
	s_delay_alu instid0(SALU_CYCLE_1) | instskip(NEXT) | instid1(SALU_CYCLE_1)
	s_and_b32 s19, exec_lo, s19
	s_or_b32 s18, s19, s18
	s_delay_alu instid0(SALU_CYCLE_1)
	s_and_not1_b32 exec_lo, exec_lo, s18
	s_cbranch_execz .LBB190_102
.LBB190_88:                             ;   Parent Loop BB190_86 Depth=1
                                        ; =>  This Loop Header: Depth=2
                                        ;       Child Loop BB190_94 Depth 3
                                        ;       Child Loop BB190_100 Depth 3
	s_delay_alu instid0(VALU_DEP_1)
	v_lshl_add_u32 v13, v17, 2, 0
	s_mov_b32 s19, exec_lo
                                        ; implicit-def: $sgpr20
	ds_load_b32 v14, v13
	s_waitcnt lgkmcnt(0)
	v_cmpx_ne_u32_e64 v14, v15
	s_xor_b32 s19, exec_lo, s19
	s_cbranch_execz .LBB190_98
; %bb.89:                               ;   in Loop: Header=BB190_88 Depth=2
	s_mov_b32 s21, exec_lo
                                        ; implicit-def: $sgpr20
	v_cmpx_ne_u32_e64 s3, v14
	s_xor_b32 s21, exec_lo, s21
; %bb.90:                               ;   in Loop: Header=BB190_88 Depth=2
	v_add_nc_u32_e32 v13, 1, v17
	s_mov_b32 s20, -1
	s_delay_alu instid0(VALU_DEP_1)
	v_and_b32_e32 v17, 63, v13
                                        ; implicit-def: $vgpr13
; %bb.91:                               ;   in Loop: Header=BB190_88 Depth=2
	s_and_not1_saveexec_b32 s21, s21
	s_cbranch_execz .LBB190_97
; %bb.92:                               ;   in Loop: Header=BB190_88 Depth=2
	v_mov_b32_e32 v14, s3
	s_mov_b32 s24, -1
	s_mov_b32 s23, exec_lo
	ds_cmpstore_rtn_b32 v14, v13, v15, v14
	s_waitcnt lgkmcnt(0)
	v_cmpx_eq_u32_e64 s3, v14
	s_cbranch_execz .LBB190_96
; %bb.93:                               ;   in Loop: Header=BB190_88 Depth=2
	v_mul_lo_u32 v14, v17, 28
	s_mov_b32 s24, 0
	s_delay_alu instid0(VALU_DEP_1)
	v_add_nc_u32_e32 v18, v13, v14
	ds_load_b64 v[13:14], v18 offset:256
.LBB190_94:                             ;   Parent Loop BB190_86 Depth=1
                                        ;     Parent Loop BB190_88 Depth=2
                                        ; =>    This Inner Loop Header: Depth=3
	s_waitcnt lgkmcnt(0)
	v_add_f64 v[19:20], v[13:14], v[11:12]
	ds_cmpstore_rtn_b64 v[19:20], v18, v[19:20], v[13:14] offset:256
	s_waitcnt lgkmcnt(0)
	v_cmp_eq_u64_e32 vcc_lo, v[19:20], v[13:14]
	v_dual_mov_b32 v13, v19 :: v_dual_mov_b32 v14, v20
	s_or_b32 s24, vcc_lo, s24
	s_delay_alu instid0(SALU_CYCLE_1)
	s_and_not1_b32 exec_lo, exec_lo, s24
	s_cbranch_execnz .LBB190_94
; %bb.95:                               ;   in Loop: Header=BB190_88 Depth=2
	s_or_b32 exec_lo, exec_lo, s24
	s_delay_alu instid0(SALU_CYCLE_1)
	s_xor_b32 s24, exec_lo, -1
.LBB190_96:                             ;   in Loop: Header=BB190_88 Depth=2
	s_or_b32 exec_lo, exec_lo, s23
	s_delay_alu instid0(SALU_CYCLE_1) | instskip(SKIP_1) | instid1(SALU_CYCLE_1)
	s_and_not1_b32 s20, s20, exec_lo
	s_and_b32 s23, s24, exec_lo
	s_or_b32 s20, s20, s23
.LBB190_97:                             ;   in Loop: Header=BB190_88 Depth=2
	s_or_b32 exec_lo, exec_lo, s21
	s_delay_alu instid0(SALU_CYCLE_1)
	s_and_b32 s20, s20, exec_lo
                                        ; implicit-def: $vgpr13
.LBB190_98:                             ;   in Loop: Header=BB190_88 Depth=2
	s_and_not1_saveexec_b32 s19, s19
	s_cbranch_execz .LBB190_87
; %bb.99:                               ;   in Loop: Header=BB190_88 Depth=2
	v_mul_lo_u32 v14, v17, 28
	s_mov_b32 s21, 0
	s_delay_alu instid0(VALU_DEP_1)
	v_add_nc_u32_e32 v18, v13, v14
	ds_load_b64 v[13:14], v18 offset:256
.LBB190_100:                            ;   Parent Loop BB190_86 Depth=1
                                        ;     Parent Loop BB190_88 Depth=2
                                        ; =>    This Inner Loop Header: Depth=3
	s_waitcnt lgkmcnt(0)
	v_add_f64 v[19:20], v[13:14], v[11:12]
	ds_cmpstore_rtn_b64 v[19:20], v18, v[19:20], v[13:14] offset:256
	s_waitcnt lgkmcnt(0)
	v_cmp_eq_u64_e32 vcc_lo, v[19:20], v[13:14]
	v_dual_mov_b32 v13, v19 :: v_dual_mov_b32 v14, v20
	s_or_b32 s21, vcc_lo, s21
	s_delay_alu instid0(SALU_CYCLE_1)
	s_and_not1_b32 exec_lo, exec_lo, s21
	s_cbranch_execnz .LBB190_100
; %bb.101:                              ;   in Loop: Header=BB190_88 Depth=2
	s_or_b32 exec_lo, exec_lo, s21
	s_delay_alu instid0(SALU_CYCLE_1)
	s_and_not1_b32 s20, s20, exec_lo
	s_branch .LBB190_87
.LBB190_102:                            ;   in Loop: Header=BB190_86 Depth=1
	s_or_b32 exec_lo, exec_lo, s18
	s_waitcnt vmcnt(1)
	v_mul_f64 v[9:10], v[1:2], v[9:10]
	v_mov_b32_e32 v13, v16
	s_mov_b32 s18, 0
	s_branch .LBB190_104
.LBB190_103:                            ;   in Loop: Header=BB190_104 Depth=2
	s_or_b32 exec_lo, exec_lo, s19
	s_xor_b32 s19, s20, -1
	s_delay_alu instid0(SALU_CYCLE_1) | instskip(NEXT) | instid1(SALU_CYCLE_1)
	s_and_b32 s19, exec_lo, s19
	s_or_b32 s18, s19, s18
	s_delay_alu instid0(SALU_CYCLE_1)
	s_and_not1_b32 exec_lo, exec_lo, s18
	s_cbranch_execz .LBB190_118
.LBB190_104:                            ;   Parent Loop BB190_86 Depth=1
                                        ; =>  This Loop Header: Depth=2
                                        ;       Child Loop BB190_110 Depth 3
                                        ;       Child Loop BB190_116 Depth 3
	s_delay_alu instid0(VALU_DEP_1)
	v_lshl_add_u32 v11, v13, 2, 0
	s_mov_b32 s19, exec_lo
                                        ; implicit-def: $sgpr20
	ds_load_b32 v12, v11
	s_waitcnt lgkmcnt(0)
	v_cmpx_ne_u32_e64 v12, v15
	s_xor_b32 s19, exec_lo, s19
	s_cbranch_execz .LBB190_114
; %bb.105:                              ;   in Loop: Header=BB190_104 Depth=2
	s_mov_b32 s21, exec_lo
                                        ; implicit-def: $sgpr20
	v_cmpx_ne_u32_e64 s3, v12
	s_xor_b32 s21, exec_lo, s21
; %bb.106:                              ;   in Loop: Header=BB190_104 Depth=2
	v_add_nc_u32_e32 v11, 1, v13
	s_mov_b32 s20, -1
	s_delay_alu instid0(VALU_DEP_1)
	v_and_b32_e32 v13, 63, v11
                                        ; implicit-def: $vgpr11
; %bb.107:                              ;   in Loop: Header=BB190_104 Depth=2
	s_and_not1_saveexec_b32 s21, s21
	s_cbranch_execz .LBB190_113
; %bb.108:                              ;   in Loop: Header=BB190_104 Depth=2
	v_mov_b32_e32 v12, s3
	s_mov_b32 s24, -1
	s_mov_b32 s23, exec_lo
	ds_cmpstore_rtn_b32 v12, v11, v15, v12
	s_waitcnt lgkmcnt(0)
	v_cmpx_eq_u32_e64 s3, v12
	s_cbranch_execz .LBB190_112
; %bb.109:                              ;   in Loop: Header=BB190_104 Depth=2
	v_mul_lo_u32 v12, v13, 28
	s_mov_b32 s24, 0
	s_delay_alu instid0(VALU_DEP_1)
	v_add_nc_u32_e32 v14, v11, v12
	ds_load_b64 v[11:12], v14 offset:264
.LBB190_110:                            ;   Parent Loop BB190_86 Depth=1
                                        ;     Parent Loop BB190_104 Depth=2
                                        ; =>    This Inner Loop Header: Depth=3
	s_waitcnt lgkmcnt(0)
	v_add_f64 v[17:18], v[11:12], v[9:10]
	ds_cmpstore_rtn_b64 v[17:18], v14, v[17:18], v[11:12] offset:264
	s_waitcnt lgkmcnt(0)
	v_cmp_eq_u64_e32 vcc_lo, v[17:18], v[11:12]
	v_dual_mov_b32 v11, v17 :: v_dual_mov_b32 v12, v18
	s_or_b32 s24, vcc_lo, s24
	s_delay_alu instid0(SALU_CYCLE_1)
	s_and_not1_b32 exec_lo, exec_lo, s24
	s_cbranch_execnz .LBB190_110
; %bb.111:                              ;   in Loop: Header=BB190_104 Depth=2
	s_or_b32 exec_lo, exec_lo, s24
	s_delay_alu instid0(SALU_CYCLE_1)
	s_xor_b32 s24, exec_lo, -1
.LBB190_112:                            ;   in Loop: Header=BB190_104 Depth=2
	s_or_b32 exec_lo, exec_lo, s23
	s_delay_alu instid0(SALU_CYCLE_1) | instskip(SKIP_1) | instid1(SALU_CYCLE_1)
	s_and_not1_b32 s20, s20, exec_lo
	s_and_b32 s23, s24, exec_lo
	s_or_b32 s20, s20, s23
.LBB190_113:                            ;   in Loop: Header=BB190_104 Depth=2
	s_or_b32 exec_lo, exec_lo, s21
	s_delay_alu instid0(SALU_CYCLE_1)
	s_and_b32 s20, s20, exec_lo
                                        ; implicit-def: $vgpr11
.LBB190_114:                            ;   in Loop: Header=BB190_104 Depth=2
	s_and_not1_saveexec_b32 s19, s19
	s_cbranch_execz .LBB190_103
; %bb.115:                              ;   in Loop: Header=BB190_104 Depth=2
	v_mul_lo_u32 v12, v13, 28
	s_mov_b32 s21, 0
	s_delay_alu instid0(VALU_DEP_1)
	v_add_nc_u32_e32 v14, v11, v12
	ds_load_b64 v[11:12], v14 offset:264
.LBB190_116:                            ;   Parent Loop BB190_86 Depth=1
                                        ;     Parent Loop BB190_104 Depth=2
                                        ; =>    This Inner Loop Header: Depth=3
	s_waitcnt lgkmcnt(0)
	v_add_f64 v[17:18], v[11:12], v[9:10]
	ds_cmpstore_rtn_b64 v[17:18], v14, v[17:18], v[11:12] offset:264
	s_waitcnt lgkmcnt(0)
	v_cmp_eq_u64_e32 vcc_lo, v[17:18], v[11:12]
	v_dual_mov_b32 v11, v17 :: v_dual_mov_b32 v12, v18
	s_or_b32 s21, vcc_lo, s21
	s_delay_alu instid0(SALU_CYCLE_1)
	s_and_not1_b32 exec_lo, exec_lo, s21
	s_cbranch_execnz .LBB190_116
; %bb.117:                              ;   in Loop: Header=BB190_104 Depth=2
	s_or_b32 exec_lo, exec_lo, s21
	s_delay_alu instid0(SALU_CYCLE_1)
	s_and_not1_b32 s20, s20, exec_lo
	s_branch .LBB190_103
.LBB190_118:                            ;   in Loop: Header=BB190_86 Depth=1
	s_or_b32 exec_lo, exec_lo, s18
	v_mul_f64 v[7:8], v[1:2], v[7:8]
	v_mov_b32_e32 v11, v16
	s_mov_b32 s18, 0
	s_branch .LBB190_120
.LBB190_119:                            ;   in Loop: Header=BB190_120 Depth=2
	s_or_b32 exec_lo, exec_lo, s19
	s_xor_b32 s19, s20, -1
	s_delay_alu instid0(SALU_CYCLE_1) | instskip(NEXT) | instid1(SALU_CYCLE_1)
	s_and_b32 s19, exec_lo, s19
	s_or_b32 s18, s19, s18
	s_delay_alu instid0(SALU_CYCLE_1)
	s_and_not1_b32 exec_lo, exec_lo, s18
	s_cbranch_execz .LBB190_134
.LBB190_120:                            ;   Parent Loop BB190_86 Depth=1
                                        ; =>  This Loop Header: Depth=2
                                        ;       Child Loop BB190_126 Depth 3
                                        ;       Child Loop BB190_132 Depth 3
	s_delay_alu instid0(VALU_DEP_1)
	v_lshl_add_u32 v9, v11, 2, 0
	s_mov_b32 s19, exec_lo
                                        ; implicit-def: $sgpr20
	ds_load_b32 v10, v9
	s_waitcnt lgkmcnt(0)
	v_cmpx_ne_u32_e64 v10, v15
	s_xor_b32 s19, exec_lo, s19
	s_cbranch_execz .LBB190_130
; %bb.121:                              ;   in Loop: Header=BB190_120 Depth=2
	s_mov_b32 s21, exec_lo
                                        ; implicit-def: $sgpr20
	v_cmpx_ne_u32_e64 s3, v10
	s_xor_b32 s21, exec_lo, s21
; %bb.122:                              ;   in Loop: Header=BB190_120 Depth=2
	v_add_nc_u32_e32 v9, 1, v11
	s_mov_b32 s20, -1
	s_delay_alu instid0(VALU_DEP_1)
	v_and_b32_e32 v11, 63, v9
                                        ; implicit-def: $vgpr9
; %bb.123:                              ;   in Loop: Header=BB190_120 Depth=2
	s_and_not1_saveexec_b32 s21, s21
	s_cbranch_execz .LBB190_129
; %bb.124:                              ;   in Loop: Header=BB190_120 Depth=2
	v_mov_b32_e32 v10, s3
	s_mov_b32 s24, -1
	s_mov_b32 s23, exec_lo
	ds_cmpstore_rtn_b32 v10, v9, v15, v10
	s_waitcnt lgkmcnt(0)
	v_cmpx_eq_u32_e64 s3, v10
	s_cbranch_execz .LBB190_128
; %bb.125:                              ;   in Loop: Header=BB190_120 Depth=2
	v_mul_lo_u32 v10, v11, 28
	s_mov_b32 s24, 0
	s_delay_alu instid0(VALU_DEP_1)
	v_add_nc_u32_e32 v12, v9, v10
	ds_load_b64 v[9:10], v12 offset:272
.LBB190_126:                            ;   Parent Loop BB190_86 Depth=1
                                        ;     Parent Loop BB190_120 Depth=2
                                        ; =>    This Inner Loop Header: Depth=3
	s_waitcnt lgkmcnt(0)
	v_add_f64 v[13:14], v[9:10], v[7:8]
	ds_cmpstore_rtn_b64 v[13:14], v12, v[13:14], v[9:10] offset:272
	s_waitcnt lgkmcnt(0)
	v_cmp_eq_u64_e32 vcc_lo, v[13:14], v[9:10]
	v_dual_mov_b32 v9, v13 :: v_dual_mov_b32 v10, v14
	s_or_b32 s24, vcc_lo, s24
	s_delay_alu instid0(SALU_CYCLE_1)
	s_and_not1_b32 exec_lo, exec_lo, s24
	s_cbranch_execnz .LBB190_126
; %bb.127:                              ;   in Loop: Header=BB190_120 Depth=2
	s_or_b32 exec_lo, exec_lo, s24
	s_delay_alu instid0(SALU_CYCLE_1)
	s_xor_b32 s24, exec_lo, -1
.LBB190_128:                            ;   in Loop: Header=BB190_120 Depth=2
	s_or_b32 exec_lo, exec_lo, s23
	s_delay_alu instid0(SALU_CYCLE_1) | instskip(SKIP_1) | instid1(SALU_CYCLE_1)
	s_and_not1_b32 s20, s20, exec_lo
	s_and_b32 s23, s24, exec_lo
	s_or_b32 s20, s20, s23
.LBB190_129:                            ;   in Loop: Header=BB190_120 Depth=2
	s_or_b32 exec_lo, exec_lo, s21
	s_delay_alu instid0(SALU_CYCLE_1)
	s_and_b32 s20, s20, exec_lo
                                        ; implicit-def: $vgpr9
.LBB190_130:                            ;   in Loop: Header=BB190_120 Depth=2
	s_and_not1_saveexec_b32 s19, s19
	s_cbranch_execz .LBB190_119
; %bb.131:                              ;   in Loop: Header=BB190_120 Depth=2
	v_mul_lo_u32 v10, v11, 28
	s_mov_b32 s21, 0
	s_delay_alu instid0(VALU_DEP_1)
	v_add_nc_u32_e32 v12, v9, v10
	ds_load_b64 v[9:10], v12 offset:272
.LBB190_132:                            ;   Parent Loop BB190_86 Depth=1
                                        ;     Parent Loop BB190_120 Depth=2
                                        ; =>    This Inner Loop Header: Depth=3
	s_waitcnt lgkmcnt(0)
	v_add_f64 v[13:14], v[9:10], v[7:8]
	ds_cmpstore_rtn_b64 v[13:14], v12, v[13:14], v[9:10] offset:272
	s_waitcnt lgkmcnt(0)
	v_cmp_eq_u64_e32 vcc_lo, v[13:14], v[9:10]
	v_dual_mov_b32 v9, v13 :: v_dual_mov_b32 v10, v14
	s_or_b32 s21, vcc_lo, s21
	s_delay_alu instid0(SALU_CYCLE_1)
	s_and_not1_b32 exec_lo, exec_lo, s21
	s_cbranch_execnz .LBB190_132
; %bb.133:                              ;   in Loop: Header=BB190_120 Depth=2
	s_or_b32 exec_lo, exec_lo, s21
	s_delay_alu instid0(SALU_CYCLE_1)
	s_and_not1_b32 s20, s20, exec_lo
	s_branch .LBB190_119
.LBB190_134:                            ;   in Loop: Header=BB190_86 Depth=1
	s_or_b32 exec_lo, exec_lo, s18
	s_waitcnt vmcnt(0)
	v_mul_f64 v[5:6], v[1:2], v[5:6]
	s_mov_b32 s18, 0
	s_branch .LBB190_136
.LBB190_135:                            ;   in Loop: Header=BB190_136 Depth=2
	s_or_b32 exec_lo, exec_lo, s19
	s_xor_b32 s19, s20, -1
	s_delay_alu instid0(SALU_CYCLE_1) | instskip(NEXT) | instid1(SALU_CYCLE_1)
	s_and_b32 s19, exec_lo, s19
	s_or_b32 s18, s19, s18
	s_delay_alu instid0(SALU_CYCLE_1)
	s_and_not1_b32 exec_lo, exec_lo, s18
	s_cbranch_execz .LBB190_85
.LBB190_136:                            ;   Parent Loop BB190_86 Depth=1
                                        ; =>  This Loop Header: Depth=2
                                        ;       Child Loop BB190_142 Depth 3
                                        ;       Child Loop BB190_148 Depth 3
	v_lshl_add_u32 v7, v16, 2, 0
	s_mov_b32 s19, exec_lo
                                        ; implicit-def: $sgpr20
	ds_load_b32 v8, v7
	s_waitcnt lgkmcnt(0)
	v_cmpx_ne_u32_e64 v8, v15
	s_xor_b32 s19, exec_lo, s19
	s_cbranch_execz .LBB190_146
; %bb.137:                              ;   in Loop: Header=BB190_136 Depth=2
	s_mov_b32 s21, exec_lo
                                        ; implicit-def: $sgpr20
	v_cmpx_ne_u32_e64 s3, v8
	s_xor_b32 s21, exec_lo, s21
; %bb.138:                              ;   in Loop: Header=BB190_136 Depth=2
	v_add_nc_u32_e32 v7, 1, v16
	s_mov_b32 s20, -1
	s_delay_alu instid0(VALU_DEP_1)
	v_and_b32_e32 v16, 63, v7
                                        ; implicit-def: $vgpr7
; %bb.139:                              ;   in Loop: Header=BB190_136 Depth=2
	s_and_not1_saveexec_b32 s21, s21
	s_cbranch_execz .LBB190_145
; %bb.140:                              ;   in Loop: Header=BB190_136 Depth=2
	v_mov_b32_e32 v8, s3
	s_mov_b32 s24, -1
	s_mov_b32 s23, exec_lo
	ds_cmpstore_rtn_b32 v8, v7, v15, v8
	s_waitcnt lgkmcnt(0)
	v_cmpx_eq_u32_e64 s3, v8
	s_cbranch_execz .LBB190_144
; %bb.141:                              ;   in Loop: Header=BB190_136 Depth=2
	v_mul_lo_u32 v8, v16, 28
	s_mov_b32 s24, 0
	s_delay_alu instid0(VALU_DEP_1)
	v_add_nc_u32_e32 v9, v7, v8
	ds_load_b64 v[7:8], v9 offset:280
.LBB190_142:                            ;   Parent Loop BB190_86 Depth=1
                                        ;     Parent Loop BB190_136 Depth=2
                                        ; =>    This Inner Loop Header: Depth=3
	s_waitcnt lgkmcnt(0)
	v_add_f64 v[10:11], v[7:8], v[5:6]
	ds_cmpstore_rtn_b64 v[10:11], v9, v[10:11], v[7:8] offset:280
	s_waitcnt lgkmcnt(0)
	v_cmp_eq_u64_e32 vcc_lo, v[10:11], v[7:8]
	v_dual_mov_b32 v7, v10 :: v_dual_mov_b32 v8, v11
	s_or_b32 s24, vcc_lo, s24
	s_delay_alu instid0(SALU_CYCLE_1)
	s_and_not1_b32 exec_lo, exec_lo, s24
	s_cbranch_execnz .LBB190_142
; %bb.143:                              ;   in Loop: Header=BB190_136 Depth=2
	s_or_b32 exec_lo, exec_lo, s24
	s_delay_alu instid0(SALU_CYCLE_1)
	s_xor_b32 s24, exec_lo, -1
.LBB190_144:                            ;   in Loop: Header=BB190_136 Depth=2
	s_or_b32 exec_lo, exec_lo, s23
	s_delay_alu instid0(SALU_CYCLE_1) | instskip(SKIP_1) | instid1(SALU_CYCLE_1)
	s_and_not1_b32 s20, s20, exec_lo
	s_and_b32 s23, s24, exec_lo
	s_or_b32 s20, s20, s23
.LBB190_145:                            ;   in Loop: Header=BB190_136 Depth=2
	s_or_b32 exec_lo, exec_lo, s21
	s_delay_alu instid0(SALU_CYCLE_1)
	s_and_b32 s20, s20, exec_lo
                                        ; implicit-def: $vgpr7
.LBB190_146:                            ;   in Loop: Header=BB190_136 Depth=2
	s_and_not1_saveexec_b32 s19, s19
	s_cbranch_execz .LBB190_135
; %bb.147:                              ;   in Loop: Header=BB190_136 Depth=2
	v_mul_lo_u32 v8, v16, 28
	s_mov_b32 s21, 0
	s_delay_alu instid0(VALU_DEP_1)
	v_add_nc_u32_e32 v9, v7, v8
	ds_load_b64 v[7:8], v9 offset:280
.LBB190_148:                            ;   Parent Loop BB190_86 Depth=1
                                        ;     Parent Loop BB190_136 Depth=2
                                        ; =>    This Inner Loop Header: Depth=3
	s_waitcnt lgkmcnt(0)
	v_add_f64 v[10:11], v[7:8], v[5:6]
	ds_cmpstore_rtn_b64 v[10:11], v9, v[10:11], v[7:8] offset:280
	s_waitcnt lgkmcnt(0)
	v_cmp_eq_u64_e32 vcc_lo, v[10:11], v[7:8]
	v_dual_mov_b32 v7, v10 :: v_dual_mov_b32 v8, v11
	s_or_b32 s21, vcc_lo, s21
	s_delay_alu instid0(SALU_CYCLE_1)
	s_and_not1_b32 exec_lo, exec_lo, s21
	s_cbranch_execnz .LBB190_148
; %bb.149:                              ;   in Loop: Header=BB190_136 Depth=2
	s_or_b32 exec_lo, exec_lo, s21
	s_delay_alu instid0(SALU_CYCLE_1)
	s_and_not1_b32 s20, s20, exec_lo
	s_branch .LBB190_135
.LBB190_150:
	s_or_b32 exec_lo, exec_lo, s10
.LBB190_151:
	s_barrier
	buffer_gl0_inv
	s_and_saveexec_b32 s4, s2
	s_cbranch_execz .LBB190_154
; %bb.152:
	ds_load_b32 v1, v31
	s_waitcnt lgkmcnt(0)
	v_cmp_gt_i32_e32 vcc_lo, s3, v1
	s_and_b32 exec_lo, exec_lo, vcc_lo
	s_cbranch_execz .LBB190_154
; %bb.153:
	s_load_b128 s[4:7], s[0:1], 0x78
	v_mov_b32_e32 v26, 0
	s_lshl_b64 s[2:3], s[16:17], 3
	s_load_b64 s[0:1], s[0:1], 0x88
	ds_load_2addr_b32 v[2:3], v26 offset1:1
	s_waitcnt lgkmcnt(0)
	s_add_u32 s2, s4, s2
	s_addc_u32 s3, s5, s3
	s_load_b64 s[2:3], s[2:3], 0x0
	ds_load_2addr_b32 v[4:5], v26 offset0:2 offset1:3
	ds_load_2addr_b32 v[6:7], v26 offset0:4 offset1:5
	;; [unrolled: 1-line block ×11, first 2 shown]
	v_cmp_gt_i32_e32 vcc_lo, v1, v2
	v_cndmask_b32_e64 v2, 0, 1, vcc_lo
	v_cmp_gt_i32_e32 vcc_lo, v1, v3
	v_cndmask_b32_e64 v3, 0, 1, vcc_lo
	s_waitcnt lgkmcnt(0)
	v_cmp_gt_i32_e32 vcc_lo, v1, v4
	v_cndmask_b32_e64 v4, 0, 1, vcc_lo
	s_sub_u32 s2, s2, s14
	s_subb_u32 s3, s3, 0
	v_add_co_u32 v2, s2, s2, v2
	s_delay_alu instid0(VALU_DEP_1) | instskip(SKIP_1) | instid1(VALU_DEP_2)
	v_add_co_ci_u32_e64 v27, null, s3, 0, s2
	s_cmp_eq_u32 s22, 0
	v_add_co_u32 v2, vcc_lo, v2, v3
	s_delay_alu instid0(VALU_DEP_2)
	v_add_co_ci_u32_e32 v3, vcc_lo, 0, v27, vcc_lo
	v_cmp_gt_i32_e32 vcc_lo, v1, v5
	s_cselect_b32 s2, 1, 2
	s_cselect_b32 s3, 2, 1
	v_cndmask_b32_e64 v5, 0, 1, vcc_lo
	v_add_co_u32 v2, vcc_lo, v2, v4
	v_add_co_ci_u32_e32 v3, vcc_lo, 0, v3, vcc_lo
	v_cmp_gt_i32_e32 vcc_lo, v1, v6
	v_cndmask_b32_e64 v4, 0, 1, vcc_lo
	s_delay_alu instid0(VALU_DEP_4) | instskip(NEXT) | instid1(VALU_DEP_4)
	v_add_co_u32 v2, vcc_lo, v2, v5
	v_add_co_ci_u32_e32 v3, vcc_lo, 0, v3, vcc_lo
	v_cmp_gt_i32_e32 vcc_lo, v1, v7
	v_cndmask_b32_e64 v5, 0, 1, vcc_lo
	s_delay_alu instid0(VALU_DEP_4) | instskip(NEXT) | instid1(VALU_DEP_4)
	v_add_co_u32 v2, vcc_lo, v2, v4
	v_add_co_ci_u32_e32 v3, vcc_lo, 0, v3, vcc_lo
	v_cmp_gt_i32_e32 vcc_lo, v1, v8
	v_cndmask_b32_e64 v4, 0, 1, vcc_lo
	s_delay_alu instid0(VALU_DEP_4) | instskip(NEXT) | instid1(VALU_DEP_4)
	v_add_co_u32 v2, vcc_lo, v2, v5
	v_add_co_ci_u32_e32 v3, vcc_lo, 0, v3, vcc_lo
	v_cmp_gt_i32_e32 vcc_lo, v1, v9
	v_cndmask_b32_e64 v5, 0, 1, vcc_lo
	s_delay_alu instid0(VALU_DEP_4) | instskip(NEXT) | instid1(VALU_DEP_4)
	v_add_co_u32 v2, vcc_lo, v2, v4
	v_add_co_ci_u32_e32 v3, vcc_lo, 0, v3, vcc_lo
	v_cmp_gt_i32_e32 vcc_lo, v1, v10
	v_cndmask_b32_e64 v4, 0, 1, vcc_lo
	s_delay_alu instid0(VALU_DEP_4) | instskip(NEXT) | instid1(VALU_DEP_4)
	v_add_co_u32 v2, vcc_lo, v2, v5
	v_add_co_ci_u32_e32 v3, vcc_lo, 0, v3, vcc_lo
	v_cmp_gt_i32_e32 vcc_lo, v1, v11
	v_cndmask_b32_e64 v5, 0, 1, vcc_lo
	s_delay_alu instid0(VALU_DEP_4) | instskip(NEXT) | instid1(VALU_DEP_4)
	v_add_co_u32 v2, vcc_lo, v2, v4
	v_add_co_ci_u32_e32 v3, vcc_lo, 0, v3, vcc_lo
	v_cmp_gt_i32_e32 vcc_lo, v1, v12
	v_cndmask_b32_e64 v4, 0, 1, vcc_lo
	s_delay_alu instid0(VALU_DEP_4) | instskip(NEXT) | instid1(VALU_DEP_4)
	v_add_co_u32 v2, vcc_lo, v2, v5
	v_add_co_ci_u32_e32 v3, vcc_lo, 0, v3, vcc_lo
	v_cmp_gt_i32_e32 vcc_lo, v1, v13
	v_cndmask_b32_e64 v5, 0, 1, vcc_lo
	s_delay_alu instid0(VALU_DEP_4) | instskip(NEXT) | instid1(VALU_DEP_4)
	v_add_co_u32 v2, vcc_lo, v2, v4
	v_add_co_ci_u32_e32 v3, vcc_lo, 0, v3, vcc_lo
	v_cmp_gt_i32_e32 vcc_lo, v1, v14
	v_add_nc_u32_e32 v14, s14, v1
	v_cndmask_b32_e64 v4, 0, 1, vcc_lo
	v_add_co_u32 v2, vcc_lo, v2, v5
	v_add_co_ci_u32_e32 v3, vcc_lo, 0, v3, vcc_lo
	v_cmp_gt_i32_e32 vcc_lo, v1, v15
	v_cndmask_b32_e64 v5, 0, 1, vcc_lo
	s_delay_alu instid0(VALU_DEP_4) | instskip(NEXT) | instid1(VALU_DEP_4)
	v_add_co_u32 v2, vcc_lo, v2, v4
	v_add_co_ci_u32_e32 v3, vcc_lo, 0, v3, vcc_lo
	v_cmp_gt_i32_e32 vcc_lo, v1, v16
	v_cndmask_b32_e64 v4, 0, 1, vcc_lo
	s_delay_alu instid0(VALU_DEP_4) | instskip(NEXT) | instid1(VALU_DEP_4)
	;; [unrolled: 5-line block ×8, first 2 shown]
	v_add_co_u32 v5, vcc_lo, v2, v5
	v_add_co_ci_u32_e32 v6, vcc_lo, 0, v3, vcc_lo
	v_cmp_gt_i32_e32 vcc_lo, v1, v23
	ds_load_2addr_b32 v[2:3], v26 offset0:24 offset1:25
	v_cndmask_b32_e64 v7, 0, 1, vcc_lo
	v_add_co_u32 v4, vcc_lo, v5, v4
	v_add_co_ci_u32_e32 v5, vcc_lo, 0, v6, vcc_lo
	v_cmp_gt_i32_e32 vcc_lo, v1, v24
	v_cndmask_b32_e64 v6, 0, 1, vcc_lo
	s_delay_alu instid0(VALU_DEP_4) | instskip(NEXT) | instid1(VALU_DEP_4)
	v_add_co_u32 v7, vcc_lo, v4, v7
	v_add_co_ci_u32_e32 v8, vcc_lo, 0, v5, vcc_lo
	ds_load_2addr_b32 v[4:5], v26 offset0:26 offset1:27
	v_add_co_u32 v10, vcc_lo, v7, v6
	v_add_co_ci_u32_e32 v11, vcc_lo, 0, v8, vcc_lo
	v_cmp_gt_i32_e32 vcc_lo, v1, v25
	ds_load_2addr_b32 v[6:7], v26 offset0:28 offset1:29
	ds_load_2addr_b32 v[8:9], v26 offset0:30 offset1:31
	v_cndmask_b32_e64 v12, 0, 1, vcc_lo
	s_waitcnt lgkmcnt(3)
	v_cmp_gt_i32_e32 vcc_lo, v1, v2
	v_cndmask_b32_e64 v2, 0, 1, vcc_lo
	s_delay_alu instid0(VALU_DEP_3) | instskip(SKIP_3) | instid1(VALU_DEP_4)
	v_add_co_u32 v10, vcc_lo, v10, v12
	v_add_co_ci_u32_e32 v11, vcc_lo, 0, v11, vcc_lo
	v_cmp_gt_i32_e32 vcc_lo, v1, v3
	v_cndmask_b32_e64 v3, 0, 1, vcc_lo
	v_add_co_u32 v2, vcc_lo, v10, v2
	s_delay_alu instid0(VALU_DEP_4)
	v_add_co_ci_u32_e32 v10, vcc_lo, 0, v11, vcc_lo
	s_waitcnt lgkmcnt(2)
	v_cmp_gt_i32_e32 vcc_lo, v1, v4
	v_cndmask_b32_e64 v4, 0, 1, vcc_lo
	v_add_co_u32 v2, vcc_lo, v2, v3
	v_add_co_ci_u32_e32 v3, vcc_lo, 0, v10, vcc_lo
	v_cmp_gt_i32_e32 vcc_lo, v1, v5
	v_cndmask_b32_e64 v5, 0, 1, vcc_lo
	s_delay_alu instid0(VALU_DEP_4) | instskip(NEXT) | instid1(VALU_DEP_4)
	v_add_co_u32 v2, vcc_lo, v2, v4
	v_add_co_ci_u32_e32 v3, vcc_lo, 0, v3, vcc_lo
	s_delay_alu instid0(VALU_DEP_2) | instskip(NEXT) | instid1(VALU_DEP_2)
	v_add_co_u32 v4, vcc_lo, v2, v5
	v_add_co_ci_u32_e32 v5, vcc_lo, 0, v3, vcc_lo
	s_waitcnt lgkmcnt(1)
	v_cmp_gt_i32_e32 vcc_lo, v1, v6
	ds_load_2addr_b32 v[2:3], v26 offset0:32 offset1:33
	v_cndmask_b32_e64 v6, 0, 1, vcc_lo
	v_cmp_gt_i32_e32 vcc_lo, v1, v7
	v_cndmask_b32_e64 v7, 0, 1, vcc_lo
	s_delay_alu instid0(VALU_DEP_3)
	v_add_co_u32 v4, vcc_lo, v4, v6
	v_add_co_ci_u32_e32 v5, vcc_lo, 0, v5, vcc_lo
	s_waitcnt lgkmcnt(1)
	v_cmp_gt_i32_e32 vcc_lo, v1, v8
	v_cndmask_b32_e64 v6, 0, 1, vcc_lo
	v_add_co_u32 v7, vcc_lo, v4, v7
	v_add_co_ci_u32_e32 v8, vcc_lo, 0, v5, vcc_lo
	ds_load_2addr_b32 v[4:5], v26 offset0:34 offset1:35
	v_add_co_u32 v10, vcc_lo, v7, v6
	v_add_co_ci_u32_e32 v11, vcc_lo, 0, v8, vcc_lo
	v_cmp_gt_i32_e32 vcc_lo, v1, v9
	ds_load_2addr_b32 v[6:7], v26 offset0:36 offset1:37
	ds_load_2addr_b32 v[8:9], v26 offset0:38 offset1:39
	v_cndmask_b32_e64 v12, 0, 1, vcc_lo
	s_waitcnt lgkmcnt(3)
	v_cmp_gt_i32_e32 vcc_lo, v1, v2
	v_cndmask_b32_e64 v2, 0, 1, vcc_lo
	s_delay_alu instid0(VALU_DEP_3) | instskip(SKIP_3) | instid1(VALU_DEP_4)
	v_add_co_u32 v10, vcc_lo, v10, v12
	v_add_co_ci_u32_e32 v11, vcc_lo, 0, v11, vcc_lo
	v_cmp_gt_i32_e32 vcc_lo, v1, v3
	v_cndmask_b32_e64 v3, 0, 1, vcc_lo
	v_add_co_u32 v2, vcc_lo, v10, v2
	s_delay_alu instid0(VALU_DEP_4)
	v_add_co_ci_u32_e32 v10, vcc_lo, 0, v11, vcc_lo
	s_waitcnt lgkmcnt(2)
	v_cmp_gt_i32_e32 vcc_lo, v1, v4
	v_cndmask_b32_e64 v4, 0, 1, vcc_lo
	v_add_co_u32 v2, vcc_lo, v2, v3
	v_add_co_ci_u32_e32 v3, vcc_lo, 0, v10, vcc_lo
	v_cmp_gt_i32_e32 vcc_lo, v1, v5
	v_cndmask_b32_e64 v5, 0, 1, vcc_lo
	s_delay_alu instid0(VALU_DEP_4) | instskip(NEXT) | instid1(VALU_DEP_4)
	v_add_co_u32 v2, vcc_lo, v2, v4
	v_add_co_ci_u32_e32 v3, vcc_lo, 0, v3, vcc_lo
	s_delay_alu instid0(VALU_DEP_2) | instskip(NEXT) | instid1(VALU_DEP_2)
	v_add_co_u32 v4, vcc_lo, v2, v5
	v_add_co_ci_u32_e32 v5, vcc_lo, 0, v3, vcc_lo
	s_waitcnt lgkmcnt(1)
	v_cmp_gt_i32_e32 vcc_lo, v1, v6
	ds_load_2addr_b32 v[2:3], v26 offset0:40 offset1:41
	v_cndmask_b32_e64 v6, 0, 1, vcc_lo
	v_cmp_gt_i32_e32 vcc_lo, v1, v7
	v_cndmask_b32_e64 v7, 0, 1, vcc_lo
	s_delay_alu instid0(VALU_DEP_3)
	v_add_co_u32 v4, vcc_lo, v4, v6
	v_add_co_ci_u32_e32 v5, vcc_lo, 0, v5, vcc_lo
	s_waitcnt lgkmcnt(1)
	v_cmp_gt_i32_e32 vcc_lo, v1, v8
	v_cndmask_b32_e64 v6, 0, 1, vcc_lo
	;; [unrolled: 45-line block ×4, first 2 shown]
	v_add_co_u32 v7, vcc_lo, v4, v7
	v_add_co_ci_u32_e32 v8, vcc_lo, 0, v5, vcc_lo
	ds_load_2addr_b32 v[4:5], v26 offset0:58 offset1:59
	v_add_co_u32 v10, vcc_lo, v7, v6
	v_add_co_ci_u32_e32 v11, vcc_lo, 0, v8, vcc_lo
	v_cmp_gt_i32_e32 vcc_lo, v1, v9
	ds_load_2addr_b32 v[6:7], v26 offset0:60 offset1:61
	ds_load_2addr_b32 v[8:9], v26 offset0:62 offset1:63
	v_cndmask_b32_e64 v12, 0, 1, vcc_lo
	s_waitcnt lgkmcnt(3)
	v_cmp_gt_i32_e32 vcc_lo, v1, v2
	v_cndmask_b32_e64 v2, 0, 1, vcc_lo
	s_delay_alu instid0(VALU_DEP_3) | instskip(SKIP_3) | instid1(VALU_DEP_4)
	v_add_co_u32 v10, vcc_lo, v10, v12
	v_add_co_ci_u32_e32 v11, vcc_lo, 0, v11, vcc_lo
	v_cmp_gt_i32_e32 vcc_lo, v1, v3
	v_cndmask_b32_e64 v3, 0, 1, vcc_lo
	v_add_co_u32 v2, vcc_lo, v10, v2
	s_delay_alu instid0(VALU_DEP_4)
	v_add_co_ci_u32_e32 v10, vcc_lo, 0, v11, vcc_lo
	s_waitcnt lgkmcnt(2)
	v_cmp_gt_i32_e32 vcc_lo, v1, v4
	v_cndmask_b32_e64 v4, 0, 1, vcc_lo
	v_add_co_u32 v2, vcc_lo, v2, v3
	v_add_co_ci_u32_e32 v3, vcc_lo, 0, v10, vcc_lo
	v_cmp_gt_i32_e32 vcc_lo, v1, v5
	v_cndmask_b32_e64 v5, 0, 1, vcc_lo
	s_delay_alu instid0(VALU_DEP_4) | instskip(NEXT) | instid1(VALU_DEP_4)
	v_add_co_u32 v2, vcc_lo, v2, v4
	v_add_co_ci_u32_e32 v3, vcc_lo, 0, v3, vcc_lo
	s_waitcnt lgkmcnt(1)
	v_cmp_gt_i32_e32 vcc_lo, v1, v6
	v_cndmask_b32_e64 v4, 0, 1, vcc_lo
	v_add_co_u32 v2, vcc_lo, v2, v5
	v_add_co_ci_u32_e32 v3, vcc_lo, 0, v3, vcc_lo
	v_cmp_gt_i32_e32 vcc_lo, v1, v7
	v_cndmask_b32_e64 v5, 0, 1, vcc_lo
	s_delay_alu instid0(VALU_DEP_4) | instskip(NEXT) | instid1(VALU_DEP_4)
	v_add_co_u32 v2, vcc_lo, v2, v4
	v_add_co_ci_u32_e32 v3, vcc_lo, 0, v3, vcc_lo
	s_waitcnt lgkmcnt(0)
	v_cmp_gt_i32_e32 vcc_lo, v1, v8
	v_cndmask_b32_e64 v4, 0, 1, vcc_lo
	v_add_co_u32 v2, vcc_lo, v2, v5
	v_add_co_ci_u32_e32 v3, vcc_lo, 0, v3, vcc_lo
	v_lshlrev_b32_e32 v5, 2, v0
	s_delay_alu instid0(VALU_DEP_3) | instskip(NEXT) | instid1(VALU_DEP_3)
	v_add_co_u32 v2, vcc_lo, v2, v4
	v_add_co_ci_u32_e32 v3, vcc_lo, 0, v3, vcc_lo
	v_cmp_gt_i32_e32 vcc_lo, v1, v9
	v_lshlrev_b32_e32 v0, 5, v0
	v_or_b32_e32 v4, s2, v5
	v_or_b32_e32 v5, s3, v5
	v_cndmask_b32_e64 v6, 0, 1, vcc_lo
	s_delay_alu instid0(VALU_DEP_4) | instskip(NEXT) | instid1(VALU_DEP_4)
	v_add_nc_u32_e32 v7, 0, v0
	v_lshl_add_u32 v4, v4, 3, 0
	s_delay_alu instid0(VALU_DEP_4)
	v_lshl_add_u32 v5, v5, 3, 0
	v_add3_u32 v0, 0, 0x100, v0
	v_add_co_u32 v10, vcc_lo, v2, v6
	v_add_co_ci_u32_e32 v11, vcc_lo, 0, v3, vcc_lo
	ds_load_b64 v[2:3], v7 offset:256
	ds_load_b64 v[6:7], v5 offset:256
	;; [unrolled: 1-line block ×4, first 2 shown]
	v_lshlrev_b64 v[12:13], 2, v[10:11]
	v_lshlrev_b64 v[0:1], 5, v[10:11]
	s_delay_alu instid0(VALU_DEP_2) | instskip(NEXT) | instid1(VALU_DEP_3)
	v_add_co_u32 v10, vcc_lo, s6, v12
	v_add_co_ci_u32_e32 v11, vcc_lo, s7, v13, vcc_lo
	s_delay_alu instid0(VALU_DEP_3) | instskip(NEXT) | instid1(VALU_DEP_4)
	v_add_co_u32 v0, vcc_lo, s0, v0
	v_add_co_ci_u32_e32 v1, vcc_lo, s1, v1, vcc_lo
	global_store_b32 v[10:11], v14, off
	s_waitcnt lgkmcnt(1)
	global_store_b128 v[0:1], v[2:5], off
	s_waitcnt lgkmcnt(0)
	global_store_b128 v[0:1], v[6:9], off offset:16
.LBB190_154:
	s_nop 0
	s_sendmsg sendmsg(MSG_DEALLOC_VGPRS)
	s_endpgm
	.section	.rodata,"a",@progbits
	.p2align	6, 0x0
	.amdhsa_kernel _ZN9rocsparseL30bsrgemm_fill_block_per_row_2x2ILj256ELj16ELj64ELj137ElidEEv20rocsparse_direction_T4_S2_PKS2_S4_NS_24const_host_device_scalarIT5_EEPKT3_S4_PKS6_SA_S4_SC_S7_SA_S4_SC_SA_PS2_PS6_21rocsparse_index_base_SF_SF_SF_bbb
		.amdhsa_group_segment_fixed_size 0
		.amdhsa_private_segment_fixed_size 0
		.amdhsa_kernarg_size 164
		.amdhsa_user_sgpr_count 15
		.amdhsa_user_sgpr_dispatch_ptr 0
		.amdhsa_user_sgpr_queue_ptr 0
		.amdhsa_user_sgpr_kernarg_segment_ptr 1
		.amdhsa_user_sgpr_dispatch_id 0
		.amdhsa_user_sgpr_private_segment_size 0
		.amdhsa_wavefront_size32 1
		.amdhsa_uses_dynamic_stack 0
		.amdhsa_enable_private_segment 0
		.amdhsa_system_sgpr_workgroup_id_x 1
		.amdhsa_system_sgpr_workgroup_id_y 0
		.amdhsa_system_sgpr_workgroup_id_z 0
		.amdhsa_system_sgpr_workgroup_info 0
		.amdhsa_system_vgpr_workitem_id 0
		.amdhsa_next_free_vgpr 40
		.amdhsa_next_free_sgpr 38
		.amdhsa_reserve_vcc 1
		.amdhsa_float_round_mode_32 0
		.amdhsa_float_round_mode_16_64 0
		.amdhsa_float_denorm_mode_32 3
		.amdhsa_float_denorm_mode_16_64 3
		.amdhsa_dx10_clamp 1
		.amdhsa_ieee_mode 1
		.amdhsa_fp16_overflow 0
		.amdhsa_workgroup_processor_mode 1
		.amdhsa_memory_ordered 1
		.amdhsa_forward_progress 0
		.amdhsa_shared_vgpr_count 0
		.amdhsa_exception_fp_ieee_invalid_op 0
		.amdhsa_exception_fp_denorm_src 0
		.amdhsa_exception_fp_ieee_div_zero 0
		.amdhsa_exception_fp_ieee_overflow 0
		.amdhsa_exception_fp_ieee_underflow 0
		.amdhsa_exception_fp_ieee_inexact 0
		.amdhsa_exception_int_div_zero 0
	.end_amdhsa_kernel
	.section	.text._ZN9rocsparseL30bsrgemm_fill_block_per_row_2x2ILj256ELj16ELj64ELj137ElidEEv20rocsparse_direction_T4_S2_PKS2_S4_NS_24const_host_device_scalarIT5_EEPKT3_S4_PKS6_SA_S4_SC_S7_SA_S4_SC_SA_PS2_PS6_21rocsparse_index_base_SF_SF_SF_bbb,"axG",@progbits,_ZN9rocsparseL30bsrgemm_fill_block_per_row_2x2ILj256ELj16ELj64ELj137ElidEEv20rocsparse_direction_T4_S2_PKS2_S4_NS_24const_host_device_scalarIT5_EEPKT3_S4_PKS6_SA_S4_SC_S7_SA_S4_SC_SA_PS2_PS6_21rocsparse_index_base_SF_SF_SF_bbb,comdat
.Lfunc_end190:
	.size	_ZN9rocsparseL30bsrgemm_fill_block_per_row_2x2ILj256ELj16ELj64ELj137ElidEEv20rocsparse_direction_T4_S2_PKS2_S4_NS_24const_host_device_scalarIT5_EEPKT3_S4_PKS6_SA_S4_SC_S7_SA_S4_SC_SA_PS2_PS6_21rocsparse_index_base_SF_SF_SF_bbb, .Lfunc_end190-_ZN9rocsparseL30bsrgemm_fill_block_per_row_2x2ILj256ELj16ELj64ELj137ElidEEv20rocsparse_direction_T4_S2_PKS2_S4_NS_24const_host_device_scalarIT5_EEPKT3_S4_PKS6_SA_S4_SC_S7_SA_S4_SC_SA_PS2_PS6_21rocsparse_index_base_SF_SF_SF_bbb
                                        ; -- End function
	.section	.AMDGPU.csdata,"",@progbits
; Kernel info:
; codeLenInByte = 7160
; NumSgprs: 40
; NumVgprs: 40
; ScratchSize: 0
; MemoryBound: 0
; FloatMode: 240
; IeeeMode: 1
; LDSByteSize: 0 bytes/workgroup (compile time only)
; SGPRBlocks: 4
; VGPRBlocks: 4
; NumSGPRsForWavesPerEU: 40
; NumVGPRsForWavesPerEU: 40
; Occupancy: 16
; WaveLimiterHint : 1
; COMPUTE_PGM_RSRC2:SCRATCH_EN: 0
; COMPUTE_PGM_RSRC2:USER_SGPR: 15
; COMPUTE_PGM_RSRC2:TRAP_HANDLER: 0
; COMPUTE_PGM_RSRC2:TGID_X_EN: 1
; COMPUTE_PGM_RSRC2:TGID_Y_EN: 0
; COMPUTE_PGM_RSRC2:TGID_Z_EN: 0
; COMPUTE_PGM_RSRC2:TIDIG_COMP_CNT: 0
	.section	.text._ZN9rocsparseL30bsrgemm_fill_block_per_row_2x2ILj256ELj16ELj128ELj137ElidEEv20rocsparse_direction_T4_S2_PKS2_S4_NS_24const_host_device_scalarIT5_EEPKT3_S4_PKS6_SA_S4_SC_S7_SA_S4_SC_SA_PS2_PS6_21rocsparse_index_base_SF_SF_SF_bbb,"axG",@progbits,_ZN9rocsparseL30bsrgemm_fill_block_per_row_2x2ILj256ELj16ELj128ELj137ElidEEv20rocsparse_direction_T4_S2_PKS2_S4_NS_24const_host_device_scalarIT5_EEPKT3_S4_PKS6_SA_S4_SC_S7_SA_S4_SC_SA_PS2_PS6_21rocsparse_index_base_SF_SF_SF_bbb,comdat
	.globl	_ZN9rocsparseL30bsrgemm_fill_block_per_row_2x2ILj256ELj16ELj128ELj137ElidEEv20rocsparse_direction_T4_S2_PKS2_S4_NS_24const_host_device_scalarIT5_EEPKT3_S4_PKS6_SA_S4_SC_S7_SA_S4_SC_SA_PS2_PS6_21rocsparse_index_base_SF_SF_SF_bbb ; -- Begin function _ZN9rocsparseL30bsrgemm_fill_block_per_row_2x2ILj256ELj16ELj128ELj137ElidEEv20rocsparse_direction_T4_S2_PKS2_S4_NS_24const_host_device_scalarIT5_EEPKT3_S4_PKS6_SA_S4_SC_S7_SA_S4_SC_SA_PS2_PS6_21rocsparse_index_base_SF_SF_SF_bbb
	.p2align	8
	.type	_ZN9rocsparseL30bsrgemm_fill_block_per_row_2x2ILj256ELj16ELj128ELj137ElidEEv20rocsparse_direction_T4_S2_PKS2_S4_NS_24const_host_device_scalarIT5_EEPKT3_S4_PKS6_SA_S4_SC_S7_SA_S4_SC_SA_PS2_PS6_21rocsparse_index_base_SF_SF_SF_bbb,@function
_ZN9rocsparseL30bsrgemm_fill_block_per_row_2x2ILj256ELj16ELj128ELj137ElidEEv20rocsparse_direction_T4_S2_PKS2_S4_NS_24const_host_device_scalarIT5_EEPKT3_S4_PKS6_SA_S4_SC_S7_SA_S4_SC_SA_PS2_PS6_21rocsparse_index_base_SF_SF_SF_bbb: ; @_ZN9rocsparseL30bsrgemm_fill_block_per_row_2x2ILj256ELj16ELj128ELj137ElidEEv20rocsparse_direction_T4_S2_PKS2_S4_NS_24const_host_device_scalarIT5_EEPKT3_S4_PKS6_SA_S4_SC_S7_SA_S4_SC_SA_PS2_PS6_21rocsparse_index_base_SF_SF_SF_bbb
; %bb.0:
	s_clause 0x2
	s_load_b32 s6, s[0:1], 0xa0
	s_load_b64 s[4:5], s[0:1], 0x20
	s_load_b64 s[2:3], s[0:1], 0x58
	s_mov_b32 s34, s15
	s_waitcnt lgkmcnt(0)
	s_and_b32 s8, 1, s6
	s_bitcmp1_b32 s6, 16
	s_cselect_b32 s7, -1, 0
	s_cmp_eq_u32 s8, 1
	s_cselect_b32 s35, -1, 0
	s_delay_alu instid0(SALU_CYCLE_1)
	s_and_b32 s8, s35, exec_lo
	s_cselect_b32 s9, s5, 0
	s_cselect_b32 s8, s4, 0
	s_xor_b32 s10, s35, -1
	v_dual_mov_b32 v3, s8 :: v_dual_mov_b32 v4, s9
	s_or_b32 s10, s10, s7
	s_delay_alu instid0(SALU_CYCLE_1)
	s_and_b32 vcc_lo, exec_lo, s10
	s_cbranch_vccnz .LBB191_2
; %bb.1:
	v_dual_mov_b32 v1, s4 :: v_dual_mov_b32 v2, s5
	flat_load_b64 v[3:4], v[1:2]
.LBB191_2:
	s_bitcmp1_b32 s6, 8
	s_cselect_b32 s40, -1, 0
	s_delay_alu instid0(SALU_CYCLE_1)
	s_and_b32 s4, s40, exec_lo
	s_cselect_b32 s5, s3, 0
	s_cselect_b32 s4, s2, 0
	s_xor_b32 s6, s40, -1
	v_dual_mov_b32 v1, s4 :: v_dual_mov_b32 v2, s5
	s_or_b32 s6, s6, s7
	s_delay_alu instid0(SALU_CYCLE_1)
	s_and_b32 vcc_lo, exec_lo, s6
	s_cbranch_vccnz .LBB191_4
; %bb.3:
	v_dual_mov_b32 v1, s2 :: v_dual_mov_b32 v2, s3
	flat_load_b64 v[1:2], v[1:2]
.LBB191_4:
	s_clause 0x1
	s_load_b128 s[20:23], s[0:1], 0x90
	s_load_b32 s33, s[0:1], 0x8
	v_cmp_gt_u32_e64 s2, 0x80, v0
	v_lshl_add_u32 v31, v0, 2, 0
	s_delay_alu instid0(VALU_DEP_2)
	s_and_saveexec_b32 s3, s2
	s_cbranch_execz .LBB191_6
; %bb.5:
	s_waitcnt lgkmcnt(0)
	v_mov_b32_e32 v5, s33
	ds_store_b32 v31, v5
.LBB191_6:
	s_or_b32 exec_lo, exec_lo, s3
	s_clause 0x4
	s_load_b128 s[24:27], s[0:1], 0x80
	s_load_b256 s[4:11], s[0:1], 0x60
	s_load_b128 s[28:31], s[0:1], 0x48
	s_load_b128 s[36:39], s[0:1], 0x10
	s_load_b256 s[12:19], s[0:1], 0x28
	s_mov_b32 s3, exec_lo
	v_cmpx_gt_u32_e32 0x200, v0
	s_cbranch_execz .LBB191_9
; %bb.7:
	v_dual_mov_b32 v5, 0 :: v_dual_lshlrev_b32 v6, 3, v0
	v_or_b32_e32 v7, 0xffffff00, v0
	s_mov_b32 s41, 0
	s_delay_alu instid0(VALU_DEP_2) | instskip(NEXT) | instid1(VALU_DEP_3)
	v_add3_u32 v8, v6, 0, 0x200
	v_mov_b32_e32 v6, v5
.LBB191_8:                              ; =>This Inner Loop Header: Depth=1
	s_delay_alu instid0(VALU_DEP_3) | instskip(NEXT) | instid1(VALU_DEP_1)
	v_add_co_u32 v7, s42, 0x100, v7
	s_xor_b32 s42, s42, -1
	ds_store_b64 v8, v[5:6]
	v_add_nc_u32_e32 v8, 0x800, v8
	s_and_b32 s42, exec_lo, s42
	s_delay_alu instid0(SALU_CYCLE_1) | instskip(NEXT) | instid1(SALU_CYCLE_1)
	s_or_b32 s41, s42, s41
	s_and_not1_b32 exec_lo, exec_lo, s41
	s_cbranch_execnz .LBB191_8
.LBB191_9:
	s_or_b32 exec_lo, exec_lo, s3
	s_waitcnt lgkmcnt(0)
	s_cmp_lg_u64 s[38:39], 0
	s_waitcnt vmcnt(0)
	s_barrier
	buffer_gl0_inv
	s_cbranch_scc0 .LBB191_11
; %bb.10:
	s_load_b32 s3, s[36:37], 0x0
	s_mov_b32 s37, 0
	s_waitcnt lgkmcnt(0)
	s_add_i32 s36, s3, s34
	s_delay_alu instid0(SALU_CYCLE_1) | instskip(NEXT) | instid1(SALU_CYCLE_1)
	s_lshl_b64 s[36:37], s[36:37], 2
	s_add_u32 s36, s38, s36
	s_addc_u32 s37, s39, s37
	s_load_b32 s34, s[36:37], 0x0
.LBB191_11:
	s_load_b32 s3, s[0:1], 0x0
	s_and_not1_b32 vcc_lo, exec_lo, s35
	s_waitcnt lgkmcnt(0)
	s_ashr_i32 s35, s34, 31
	s_cbranch_vccnz .LBB191_83
; %bb.12:
	s_lshl_b64 s[0:1], s[34:35], 3
	v_lshrrev_b32_e32 v5, 4, v0
	s_add_u32 s0, s12, s0
	s_addc_u32 s1, s13, s1
	s_mov_b32 s13, 0
	s_load_b128 s[36:39], s[0:1], 0x0
	v_sub_co_u32 v5, s0, v5, s20
	s_delay_alu instid0(VALU_DEP_1) | instskip(SKIP_2) | instid1(VALU_DEP_2)
	v_sub_co_ci_u32_e64 v6, null, 0, 0, s0
	s_mov_b32 s12, exec_lo
	s_waitcnt lgkmcnt(0)
	v_add_co_u32 v5, vcc_lo, s36, v5
	s_delay_alu instid0(VALU_DEP_2)
	v_add_co_ci_u32_e32 v6, vcc_lo, s37, v6, vcc_lo
	s_sub_u32 s0, s38, s20
	s_subb_u32 s1, s39, 0
	s_delay_alu instid0(VALU_DEP_1) | instid1(SALU_CYCLE_1)
	v_cmpx_gt_i64_e64 s[0:1], v[5:6]
	s_cbranch_execz .LBB191_82
; %bb.13:
	v_and_b32_e32 v7, 15, v0
	s_cmp_eq_u32 s3, 0
	s_cselect_b32 s37, 1, 2
	s_cselect_b32 s38, 2, 1
	s_delay_alu instid0(VALU_DEP_1) | instskip(NEXT) | instid1(VALU_DEP_1)
	v_sub_co_u32 v32, s36, v7, s21
	v_sub_co_ci_u32_e64 v33, null, 0, 0, s36
	s_mov_b32 s36, s21
	s_branch .LBB191_15
.LBB191_14:                             ;   in Loop: Header=BB191_15 Depth=1
	s_or_b32 exec_lo, exec_lo, s39
	v_add_co_u32 v5, vcc_lo, v5, 16
	v_add_co_ci_u32_e32 v6, vcc_lo, 0, v6, vcc_lo
	s_delay_alu instid0(VALU_DEP_1) | instskip(SKIP_1) | instid1(SALU_CYCLE_1)
	v_cmp_le_i64_e32 vcc_lo, s[0:1], v[5:6]
	s_or_b32 s13, vcc_lo, s13
	s_and_not1_b32 exec_lo, exec_lo, s13
	s_cbranch_execz .LBB191_82
.LBB191_15:                             ; =>This Loop Header: Depth=1
                                        ;     Child Loop BB191_18 Depth 2
                                        ;       Child Loop BB191_20 Depth 3
                                        ;         Child Loop BB191_26 Depth 4
                                        ;         Child Loop BB191_32 Depth 4
                                        ;       Child Loop BB191_36 Depth 3
                                        ;         Child Loop BB191_42 Depth 4
                                        ;         Child Loop BB191_48 Depth 4
	;; [unrolled: 3-line block ×4, first 2 shown]
	v_lshlrev_b64 v[11:12], 2, v[5:6]
	s_mov_b32 s39, exec_lo
	s_delay_alu instid0(VALU_DEP_1) | instskip(NEXT) | instid1(VALU_DEP_2)
	v_add_co_u32 v7, vcc_lo, s14, v11
	v_add_co_ci_u32_e32 v8, vcc_lo, s15, v12, vcc_lo
	global_load_b32 v7, v[7:8], off
	s_waitcnt vmcnt(0)
	v_subrev_nc_u32_e32 v7, s20, v7
	s_delay_alu instid0(VALU_DEP_1) | instskip(NEXT) | instid1(VALU_DEP_1)
	v_ashrrev_i32_e32 v8, 31, v7
	v_lshlrev_b64 v[7:8], 3, v[7:8]
	s_delay_alu instid0(VALU_DEP_1) | instskip(NEXT) | instid1(VALU_DEP_2)
	v_add_co_u32 v7, vcc_lo, s18, v7
	v_add_co_ci_u32_e32 v8, vcc_lo, s19, v8, vcc_lo
	global_load_b128 v[13:16], v[7:8], off
	s_waitcnt vmcnt(0)
	v_sub_co_u32 v7, vcc_lo, v15, s36
	v_subrev_co_ci_u32_e32 v8, vcc_lo, 0, v16, vcc_lo
	v_add_co_u32 v9, vcc_lo, v13, v32
	v_add_co_ci_u32_e32 v10, vcc_lo, v14, v33, vcc_lo
	s_delay_alu instid0(VALU_DEP_1)
	v_cmpx_lt_i64_e64 v[9:10], v[7:8]
	s_cbranch_execz .LBB191_14
; %bb.16:                               ;   in Loop: Header=BB191_15 Depth=1
	v_or_b32_e32 v14, 0, v12
	v_or_b32_e32 v13, s38, v11
	v_lshlrev_b64 v[15:16], 5, v[5:6]
	v_or_b32_e32 v12, 0, v12
	v_or_b32_e32 v11, s37, v11
	s_mov_b32 s41, 0
	v_lshlrev_b64 v[13:14], 3, v[13:14]
	s_delay_alu instid0(VALU_DEP_4) | instskip(NEXT) | instid1(VALU_DEP_3)
	v_add_co_u32 v15, vcc_lo, s16, v15
	v_lshlrev_b64 v[11:12], 3, v[11:12]
	v_add_co_ci_u32_e32 v16, vcc_lo, s17, v16, vcc_lo
	s_delay_alu instid0(VALU_DEP_4) | instskip(SKIP_1) | instid1(VALU_DEP_4)
	v_add_co_u32 v13, vcc_lo, s16, v13
	v_add_co_ci_u32_e32 v14, vcc_lo, s17, v14, vcc_lo
	v_add_co_u32 v11, vcc_lo, s16, v11
	v_add_co_ci_u32_e32 v12, vcc_lo, s17, v12, vcc_lo
	s_clause 0x3
	global_load_b64 v[17:18], v[15:16], off offset:24
	global_load_b64 v[13:14], v[13:14], off
	global_load_b64 v[19:20], v[11:12], off
	;; [unrolled: 1-line block ×3, first 2 shown]
	s_waitcnt vmcnt(3)
	v_mul_f64 v[11:12], v[3:4], v[17:18]
	s_waitcnt vmcnt(2)
	v_mul_f64 v[13:14], v[3:4], v[13:14]
	;; [unrolled: 2-line block ×4, first 2 shown]
	s_branch .LBB191_18
.LBB191_17:                             ;   in Loop: Header=BB191_18 Depth=2
	s_or_b32 exec_lo, exec_lo, s42
	v_add_co_u32 v9, vcc_lo, v9, 16
	v_add_co_ci_u32_e32 v10, vcc_lo, 0, v10, vcc_lo
	s_delay_alu instid0(VALU_DEP_1) | instskip(SKIP_1) | instid1(SALU_CYCLE_1)
	v_cmp_ge_i64_e32 vcc_lo, v[9:10], v[7:8]
	s_or_b32 s41, vcc_lo, s41
	s_and_not1_b32 exec_lo, exec_lo, s41
	s_cbranch_execz .LBB191_14
.LBB191_18:                             ;   Parent Loop BB191_15 Depth=1
                                        ; =>  This Loop Header: Depth=2
                                        ;       Child Loop BB191_20 Depth 3
                                        ;         Child Loop BB191_26 Depth 4
                                        ;         Child Loop BB191_32 Depth 4
                                        ;       Child Loop BB191_36 Depth 3
                                        ;         Child Loop BB191_42 Depth 4
                                        ;         Child Loop BB191_48 Depth 4
	;; [unrolled: 3-line block ×4, first 2 shown]
	v_lshlrev_b64 v[19:20], 2, v[9:10]
	s_mov_b32 s42, 0
	s_delay_alu instid0(VALU_DEP_1) | instskip(NEXT) | instid1(VALU_DEP_2)
	v_or_b32_e32 v22, 0, v20
	v_or_b32_e32 v21, s38, v19
	s_delay_alu instid0(VALU_DEP_1) | instskip(NEXT) | instid1(VALU_DEP_1)
	v_lshlrev_b64 v[21:22], 3, v[21:22]
	v_add_co_u32 v21, vcc_lo, s30, v21
	s_delay_alu instid0(VALU_DEP_2) | instskip(SKIP_2) | instid1(VALU_DEP_1)
	v_add_co_ci_u32_e32 v22, vcc_lo, s31, v22, vcc_lo
	global_load_b64 v[23:24], v[21:22], off
	v_lshlrev_b64 v[21:22], 5, v[9:10]
	v_add_co_u32 v21, vcc_lo, s30, v21
	s_delay_alu instid0(VALU_DEP_2)
	v_add_co_ci_u32_e32 v22, vcc_lo, s31, v22, vcc_lo
	v_add_co_u32 v27, vcc_lo, s28, v19
	v_add_co_ci_u32_e32 v28, vcc_lo, s29, v20, vcc_lo
	global_load_b64 v[25:26], v[21:22], off
	v_or_b32_e32 v20, 0, v20
	v_or_b32_e32 v19, s37, v19
	global_load_b32 v29, v[27:28], off
	v_lshlrev_b64 v[19:20], 3, v[19:20]
	s_delay_alu instid0(VALU_DEP_1) | instskip(NEXT) | instid1(VALU_DEP_2)
	v_add_co_u32 v19, vcc_lo, s30, v19
	v_add_co_ci_u32_e32 v20, vcc_lo, s31, v20, vcc_lo
	s_clause 0x1
	global_load_b64 v[19:20], v[19:20], off
	global_load_b64 v[21:22], v[21:22], off offset:24
	s_waitcnt vmcnt(4)
	v_mul_f64 v[27:28], v[15:16], v[23:24]
	s_waitcnt vmcnt(2)
	v_subrev_nc_u32_e32 v34, s21, v29
	s_delay_alu instid0(VALU_DEP_1) | instskip(NEXT) | instid1(VALU_DEP_1)
	v_lshl_add_u32 v29, v34, 3, v34
	v_and_b32_e32 v35, 0x7f, v29
	s_delay_alu instid0(VALU_DEP_1)
	v_mov_b32_e32 v36, v35
	v_fma_f64 v[27:28], v[17:18], v[25:26], v[27:28]
	s_branch .LBB191_20
.LBB191_19:                             ;   in Loop: Header=BB191_20 Depth=3
	s_or_b32 exec_lo, exec_lo, s43
	s_xor_b32 s43, s44, -1
	s_delay_alu instid0(SALU_CYCLE_1) | instskip(NEXT) | instid1(SALU_CYCLE_1)
	s_and_b32 s43, exec_lo, s43
	s_or_b32 s42, s43, s42
	s_delay_alu instid0(SALU_CYCLE_1)
	s_and_not1_b32 exec_lo, exec_lo, s42
	s_cbranch_execz .LBB191_34
.LBB191_20:                             ;   Parent Loop BB191_15 Depth=1
                                        ;     Parent Loop BB191_18 Depth=2
                                        ; =>    This Loop Header: Depth=3
                                        ;         Child Loop BB191_26 Depth 4
                                        ;         Child Loop BB191_32 Depth 4
	s_delay_alu instid0(VALU_DEP_2)
	v_lshl_add_u32 v29, v36, 2, 0
	s_mov_b32 s43, exec_lo
                                        ; implicit-def: $sgpr44
	ds_load_b32 v30, v29
	s_waitcnt lgkmcnt(0)
	v_cmpx_ne_u32_e64 v30, v34
	s_xor_b32 s43, exec_lo, s43
	s_cbranch_execz .LBB191_30
; %bb.21:                               ;   in Loop: Header=BB191_20 Depth=3
	s_mov_b32 s45, exec_lo
                                        ; implicit-def: $sgpr44
	v_cmpx_ne_u32_e64 s33, v30
	s_xor_b32 s45, exec_lo, s45
; %bb.22:                               ;   in Loop: Header=BB191_20 Depth=3
	v_add_nc_u32_e32 v29, 1, v36
	s_mov_b32 s44, -1
	s_delay_alu instid0(VALU_DEP_1)
	v_and_b32_e32 v36, 0x7f, v29
                                        ; implicit-def: $vgpr29
; %bb.23:                               ;   in Loop: Header=BB191_20 Depth=3
	s_and_not1_saveexec_b32 s45, s45
	s_cbranch_execz .LBB191_29
; %bb.24:                               ;   in Loop: Header=BB191_20 Depth=3
	v_mov_b32_e32 v30, s33
	s_mov_b32 s47, -1
	s_mov_b32 s46, exec_lo
	ds_cmpstore_rtn_b32 v30, v29, v34, v30
	s_waitcnt lgkmcnt(0)
	v_cmpx_eq_u32_e64 s33, v30
	s_cbranch_execz .LBB191_28
; %bb.25:                               ;   in Loop: Header=BB191_20 Depth=3
	v_mul_lo_u32 v30, v36, 28
	s_mov_b32 s47, 0
	s_delay_alu instid0(VALU_DEP_1)
	v_add_nc_u32_e32 v37, v29, v30
	ds_load_b64 v[29:30], v37 offset:512
.LBB191_26:                             ;   Parent Loop BB191_15 Depth=1
                                        ;     Parent Loop BB191_18 Depth=2
                                        ;       Parent Loop BB191_20 Depth=3
                                        ; =>      This Inner Loop Header: Depth=4
	s_waitcnt lgkmcnt(0)
	v_add_f64 v[38:39], v[29:30], v[27:28]
	ds_cmpstore_rtn_b64 v[38:39], v37, v[38:39], v[29:30] offset:512
	s_waitcnt lgkmcnt(0)
	v_cmp_eq_u64_e32 vcc_lo, v[38:39], v[29:30]
	v_dual_mov_b32 v29, v38 :: v_dual_mov_b32 v30, v39
	s_or_b32 s47, vcc_lo, s47
	s_delay_alu instid0(SALU_CYCLE_1)
	s_and_not1_b32 exec_lo, exec_lo, s47
	s_cbranch_execnz .LBB191_26
; %bb.27:                               ;   in Loop: Header=BB191_20 Depth=3
	s_or_b32 exec_lo, exec_lo, s47
	s_delay_alu instid0(SALU_CYCLE_1)
	s_xor_b32 s47, exec_lo, -1
.LBB191_28:                             ;   in Loop: Header=BB191_20 Depth=3
	s_or_b32 exec_lo, exec_lo, s46
	s_delay_alu instid0(SALU_CYCLE_1) | instskip(SKIP_1) | instid1(SALU_CYCLE_1)
	s_and_not1_b32 s44, s44, exec_lo
	s_and_b32 s46, s47, exec_lo
	s_or_b32 s44, s44, s46
.LBB191_29:                             ;   in Loop: Header=BB191_20 Depth=3
	s_or_b32 exec_lo, exec_lo, s45
	s_delay_alu instid0(SALU_CYCLE_1)
	s_and_b32 s44, s44, exec_lo
                                        ; implicit-def: $vgpr29
.LBB191_30:                             ;   in Loop: Header=BB191_20 Depth=3
	s_and_not1_saveexec_b32 s43, s43
	s_cbranch_execz .LBB191_19
; %bb.31:                               ;   in Loop: Header=BB191_20 Depth=3
	v_mul_lo_u32 v30, v36, 28
	s_mov_b32 s45, 0
	s_delay_alu instid0(VALU_DEP_1)
	v_add_nc_u32_e32 v37, v29, v30
	ds_load_b64 v[29:30], v37 offset:512
.LBB191_32:                             ;   Parent Loop BB191_15 Depth=1
                                        ;     Parent Loop BB191_18 Depth=2
                                        ;       Parent Loop BB191_20 Depth=3
                                        ; =>      This Inner Loop Header: Depth=4
	s_waitcnt lgkmcnt(0)
	v_add_f64 v[38:39], v[29:30], v[27:28]
	ds_cmpstore_rtn_b64 v[38:39], v37, v[38:39], v[29:30] offset:512
	s_waitcnt lgkmcnt(0)
	v_cmp_eq_u64_e32 vcc_lo, v[38:39], v[29:30]
	v_dual_mov_b32 v29, v38 :: v_dual_mov_b32 v30, v39
	s_or_b32 s45, vcc_lo, s45
	s_delay_alu instid0(SALU_CYCLE_1)
	s_and_not1_b32 exec_lo, exec_lo, s45
	s_cbranch_execnz .LBB191_32
; %bb.33:                               ;   in Loop: Header=BB191_20 Depth=3
	s_or_b32 exec_lo, exec_lo, s45
	s_delay_alu instid0(SALU_CYCLE_1)
	s_and_not1_b32 s44, s44, exec_lo
	s_branch .LBB191_19
.LBB191_34:                             ;   in Loop: Header=BB191_18 Depth=2
	s_or_b32 exec_lo, exec_lo, s42
	s_waitcnt vmcnt(0)
	v_mul_f64 v[27:28], v[15:16], v[21:22]
	v_mov_b32_e32 v36, v35
	s_mov_b32 s42, 0
	s_delay_alu instid0(VALU_DEP_2)
	v_fma_f64 v[27:28], v[17:18], v[19:20], v[27:28]
	s_branch .LBB191_36
.LBB191_35:                             ;   in Loop: Header=BB191_36 Depth=3
	s_or_b32 exec_lo, exec_lo, s43
	s_xor_b32 s43, s44, -1
	s_delay_alu instid0(SALU_CYCLE_1) | instskip(NEXT) | instid1(SALU_CYCLE_1)
	s_and_b32 s43, exec_lo, s43
	s_or_b32 s42, s43, s42
	s_delay_alu instid0(SALU_CYCLE_1)
	s_and_not1_b32 exec_lo, exec_lo, s42
	s_cbranch_execz .LBB191_50
.LBB191_36:                             ;   Parent Loop BB191_15 Depth=1
                                        ;     Parent Loop BB191_18 Depth=2
                                        ; =>    This Loop Header: Depth=3
                                        ;         Child Loop BB191_42 Depth 4
                                        ;         Child Loop BB191_48 Depth 4
	s_delay_alu instid0(VALU_DEP_2)
	v_lshl_add_u32 v29, v36, 2, 0
	s_mov_b32 s43, exec_lo
                                        ; implicit-def: $sgpr44
	ds_load_b32 v30, v29
	s_waitcnt lgkmcnt(0)
	v_cmpx_ne_u32_e64 v30, v34
	s_xor_b32 s43, exec_lo, s43
	s_cbranch_execz .LBB191_46
; %bb.37:                               ;   in Loop: Header=BB191_36 Depth=3
	s_mov_b32 s45, exec_lo
                                        ; implicit-def: $sgpr44
	v_cmpx_ne_u32_e64 s33, v30
	s_xor_b32 s45, exec_lo, s45
; %bb.38:                               ;   in Loop: Header=BB191_36 Depth=3
	v_add_nc_u32_e32 v29, 1, v36
	s_mov_b32 s44, -1
	s_delay_alu instid0(VALU_DEP_1)
	v_and_b32_e32 v36, 0x7f, v29
                                        ; implicit-def: $vgpr29
; %bb.39:                               ;   in Loop: Header=BB191_36 Depth=3
	s_and_not1_saveexec_b32 s45, s45
	s_cbranch_execz .LBB191_45
; %bb.40:                               ;   in Loop: Header=BB191_36 Depth=3
	v_mov_b32_e32 v30, s33
	s_mov_b32 s47, -1
	s_mov_b32 s46, exec_lo
	ds_cmpstore_rtn_b32 v30, v29, v34, v30
	s_waitcnt lgkmcnt(0)
	v_cmpx_eq_u32_e64 s33, v30
	s_cbranch_execz .LBB191_44
; %bb.41:                               ;   in Loop: Header=BB191_36 Depth=3
	v_mul_lo_u32 v30, v36, 28
	s_mov_b32 s47, 0
	s_delay_alu instid0(VALU_DEP_1)
	v_add_nc_u32_e32 v37, v29, v30
	ds_load_b64 v[29:30], v37 offset:520
.LBB191_42:                             ;   Parent Loop BB191_15 Depth=1
                                        ;     Parent Loop BB191_18 Depth=2
                                        ;       Parent Loop BB191_36 Depth=3
                                        ; =>      This Inner Loop Header: Depth=4
	s_waitcnt lgkmcnt(0)
	v_add_f64 v[38:39], v[29:30], v[27:28]
	ds_cmpstore_rtn_b64 v[38:39], v37, v[38:39], v[29:30] offset:520
	s_waitcnt lgkmcnt(0)
	v_cmp_eq_u64_e32 vcc_lo, v[38:39], v[29:30]
	v_dual_mov_b32 v29, v38 :: v_dual_mov_b32 v30, v39
	s_or_b32 s47, vcc_lo, s47
	s_delay_alu instid0(SALU_CYCLE_1)
	s_and_not1_b32 exec_lo, exec_lo, s47
	s_cbranch_execnz .LBB191_42
; %bb.43:                               ;   in Loop: Header=BB191_36 Depth=3
	s_or_b32 exec_lo, exec_lo, s47
	s_delay_alu instid0(SALU_CYCLE_1)
	s_xor_b32 s47, exec_lo, -1
.LBB191_44:                             ;   in Loop: Header=BB191_36 Depth=3
	s_or_b32 exec_lo, exec_lo, s46
	s_delay_alu instid0(SALU_CYCLE_1) | instskip(SKIP_1) | instid1(SALU_CYCLE_1)
	s_and_not1_b32 s44, s44, exec_lo
	s_and_b32 s46, s47, exec_lo
	s_or_b32 s44, s44, s46
.LBB191_45:                             ;   in Loop: Header=BB191_36 Depth=3
	s_or_b32 exec_lo, exec_lo, s45
	s_delay_alu instid0(SALU_CYCLE_1)
	s_and_b32 s44, s44, exec_lo
                                        ; implicit-def: $vgpr29
.LBB191_46:                             ;   in Loop: Header=BB191_36 Depth=3
	s_and_not1_saveexec_b32 s43, s43
	s_cbranch_execz .LBB191_35
; %bb.47:                               ;   in Loop: Header=BB191_36 Depth=3
	v_mul_lo_u32 v30, v36, 28
	s_mov_b32 s45, 0
	s_delay_alu instid0(VALU_DEP_1)
	v_add_nc_u32_e32 v37, v29, v30
	ds_load_b64 v[29:30], v37 offset:520
.LBB191_48:                             ;   Parent Loop BB191_15 Depth=1
                                        ;     Parent Loop BB191_18 Depth=2
                                        ;       Parent Loop BB191_36 Depth=3
                                        ; =>      This Inner Loop Header: Depth=4
	s_waitcnt lgkmcnt(0)
	v_add_f64 v[38:39], v[29:30], v[27:28]
	ds_cmpstore_rtn_b64 v[38:39], v37, v[38:39], v[29:30] offset:520
	s_waitcnt lgkmcnt(0)
	v_cmp_eq_u64_e32 vcc_lo, v[38:39], v[29:30]
	v_dual_mov_b32 v29, v38 :: v_dual_mov_b32 v30, v39
	s_or_b32 s45, vcc_lo, s45
	s_delay_alu instid0(SALU_CYCLE_1)
	s_and_not1_b32 exec_lo, exec_lo, s45
	s_cbranch_execnz .LBB191_48
; %bb.49:                               ;   in Loop: Header=BB191_36 Depth=3
	s_or_b32 exec_lo, exec_lo, s45
	s_delay_alu instid0(SALU_CYCLE_1)
	s_and_not1_b32 s44, s44, exec_lo
	s_branch .LBB191_35
.LBB191_50:                             ;   in Loop: Header=BB191_18 Depth=2
	s_or_b32 exec_lo, exec_lo, s42
	v_mul_f64 v[23:24], v[11:12], v[23:24]
	v_mov_b32_e32 v27, v35
	s_mov_b32 s42, 0
	s_delay_alu instid0(VALU_DEP_2)
	v_fma_f64 v[23:24], v[13:14], v[25:26], v[23:24]
	s_branch .LBB191_52
.LBB191_51:                             ;   in Loop: Header=BB191_52 Depth=3
	s_or_b32 exec_lo, exec_lo, s43
	s_xor_b32 s43, s44, -1
	s_delay_alu instid0(SALU_CYCLE_1) | instskip(NEXT) | instid1(SALU_CYCLE_1)
	s_and_b32 s43, exec_lo, s43
	s_or_b32 s42, s43, s42
	s_delay_alu instid0(SALU_CYCLE_1)
	s_and_not1_b32 exec_lo, exec_lo, s42
	s_cbranch_execz .LBB191_66
.LBB191_52:                             ;   Parent Loop BB191_15 Depth=1
                                        ;     Parent Loop BB191_18 Depth=2
                                        ; =>    This Loop Header: Depth=3
                                        ;         Child Loop BB191_58 Depth 4
                                        ;         Child Loop BB191_64 Depth 4
	s_delay_alu instid0(VALU_DEP_2)
	v_lshl_add_u32 v25, v27, 2, 0
	s_mov_b32 s43, exec_lo
                                        ; implicit-def: $sgpr44
	ds_load_b32 v26, v25
	s_waitcnt lgkmcnt(0)
	v_cmpx_ne_u32_e64 v26, v34
	s_xor_b32 s43, exec_lo, s43
	s_cbranch_execz .LBB191_62
; %bb.53:                               ;   in Loop: Header=BB191_52 Depth=3
	s_mov_b32 s45, exec_lo
                                        ; implicit-def: $sgpr44
	v_cmpx_ne_u32_e64 s33, v26
	s_xor_b32 s45, exec_lo, s45
; %bb.54:                               ;   in Loop: Header=BB191_52 Depth=3
	v_add_nc_u32_e32 v25, 1, v27
	s_mov_b32 s44, -1
	s_delay_alu instid0(VALU_DEP_1)
	v_and_b32_e32 v27, 0x7f, v25
                                        ; implicit-def: $vgpr25
; %bb.55:                               ;   in Loop: Header=BB191_52 Depth=3
	s_and_not1_saveexec_b32 s45, s45
	s_cbranch_execz .LBB191_61
; %bb.56:                               ;   in Loop: Header=BB191_52 Depth=3
	v_mov_b32_e32 v26, s33
	s_mov_b32 s47, -1
	s_mov_b32 s46, exec_lo
	ds_cmpstore_rtn_b32 v26, v25, v34, v26
	s_waitcnt lgkmcnt(0)
	v_cmpx_eq_u32_e64 s33, v26
	s_cbranch_execz .LBB191_60
; %bb.57:                               ;   in Loop: Header=BB191_52 Depth=3
	v_mul_lo_u32 v26, v27, 28
	s_mov_b32 s47, 0
	s_delay_alu instid0(VALU_DEP_1)
	v_add_nc_u32_e32 v28, v25, v26
	ds_load_b64 v[25:26], v28 offset:528
.LBB191_58:                             ;   Parent Loop BB191_15 Depth=1
                                        ;     Parent Loop BB191_18 Depth=2
                                        ;       Parent Loop BB191_52 Depth=3
                                        ; =>      This Inner Loop Header: Depth=4
	s_waitcnt lgkmcnt(0)
	v_add_f64 v[29:30], v[25:26], v[23:24]
	ds_cmpstore_rtn_b64 v[29:30], v28, v[29:30], v[25:26] offset:528
	s_waitcnt lgkmcnt(0)
	v_cmp_eq_u64_e32 vcc_lo, v[29:30], v[25:26]
	v_dual_mov_b32 v25, v29 :: v_dual_mov_b32 v26, v30
	s_or_b32 s47, vcc_lo, s47
	s_delay_alu instid0(SALU_CYCLE_1)
	s_and_not1_b32 exec_lo, exec_lo, s47
	s_cbranch_execnz .LBB191_58
; %bb.59:                               ;   in Loop: Header=BB191_52 Depth=3
	s_or_b32 exec_lo, exec_lo, s47
	s_delay_alu instid0(SALU_CYCLE_1)
	s_xor_b32 s47, exec_lo, -1
.LBB191_60:                             ;   in Loop: Header=BB191_52 Depth=3
	s_or_b32 exec_lo, exec_lo, s46
	s_delay_alu instid0(SALU_CYCLE_1) | instskip(SKIP_1) | instid1(SALU_CYCLE_1)
	s_and_not1_b32 s44, s44, exec_lo
	s_and_b32 s46, s47, exec_lo
	s_or_b32 s44, s44, s46
.LBB191_61:                             ;   in Loop: Header=BB191_52 Depth=3
	s_or_b32 exec_lo, exec_lo, s45
	s_delay_alu instid0(SALU_CYCLE_1)
	s_and_b32 s44, s44, exec_lo
                                        ; implicit-def: $vgpr25
.LBB191_62:                             ;   in Loop: Header=BB191_52 Depth=3
	s_and_not1_saveexec_b32 s43, s43
	s_cbranch_execz .LBB191_51
; %bb.63:                               ;   in Loop: Header=BB191_52 Depth=3
	v_mul_lo_u32 v26, v27, 28
	s_mov_b32 s45, 0
	s_delay_alu instid0(VALU_DEP_1)
	v_add_nc_u32_e32 v28, v25, v26
	ds_load_b64 v[25:26], v28 offset:528
.LBB191_64:                             ;   Parent Loop BB191_15 Depth=1
                                        ;     Parent Loop BB191_18 Depth=2
                                        ;       Parent Loop BB191_52 Depth=3
                                        ; =>      This Inner Loop Header: Depth=4
	s_waitcnt lgkmcnt(0)
	v_add_f64 v[29:30], v[25:26], v[23:24]
	ds_cmpstore_rtn_b64 v[29:30], v28, v[29:30], v[25:26] offset:528
	s_waitcnt lgkmcnt(0)
	v_cmp_eq_u64_e32 vcc_lo, v[29:30], v[25:26]
	v_dual_mov_b32 v25, v29 :: v_dual_mov_b32 v26, v30
	s_or_b32 s45, vcc_lo, s45
	s_delay_alu instid0(SALU_CYCLE_1)
	s_and_not1_b32 exec_lo, exec_lo, s45
	s_cbranch_execnz .LBB191_64
; %bb.65:                               ;   in Loop: Header=BB191_52 Depth=3
	s_or_b32 exec_lo, exec_lo, s45
	s_delay_alu instid0(SALU_CYCLE_1)
	s_and_not1_b32 s44, s44, exec_lo
	s_branch .LBB191_51
.LBB191_66:                             ;   in Loop: Header=BB191_18 Depth=2
	s_or_b32 exec_lo, exec_lo, s42
	v_mul_f64 v[21:22], v[11:12], v[21:22]
	s_mov_b32 s42, 0
	s_delay_alu instid0(VALU_DEP_1)
	v_fma_f64 v[19:20], v[13:14], v[19:20], v[21:22]
	s_branch .LBB191_68
.LBB191_67:                             ;   in Loop: Header=BB191_68 Depth=3
	s_or_b32 exec_lo, exec_lo, s43
	s_xor_b32 s43, s44, -1
	s_delay_alu instid0(SALU_CYCLE_1) | instskip(NEXT) | instid1(SALU_CYCLE_1)
	s_and_b32 s43, exec_lo, s43
	s_or_b32 s42, s43, s42
	s_delay_alu instid0(SALU_CYCLE_1)
	s_and_not1_b32 exec_lo, exec_lo, s42
	s_cbranch_execz .LBB191_17
.LBB191_68:                             ;   Parent Loop BB191_15 Depth=1
                                        ;     Parent Loop BB191_18 Depth=2
                                        ; =>    This Loop Header: Depth=3
                                        ;         Child Loop BB191_74 Depth 4
                                        ;         Child Loop BB191_80 Depth 4
	v_lshl_add_u32 v21, v35, 2, 0
	s_mov_b32 s43, exec_lo
                                        ; implicit-def: $sgpr44
	ds_load_b32 v22, v21
	s_waitcnt lgkmcnt(0)
	v_cmpx_ne_u32_e64 v22, v34
	s_xor_b32 s43, exec_lo, s43
	s_cbranch_execz .LBB191_78
; %bb.69:                               ;   in Loop: Header=BB191_68 Depth=3
	s_mov_b32 s45, exec_lo
                                        ; implicit-def: $sgpr44
	v_cmpx_ne_u32_e64 s33, v22
	s_xor_b32 s45, exec_lo, s45
; %bb.70:                               ;   in Loop: Header=BB191_68 Depth=3
	v_add_nc_u32_e32 v21, 1, v35
	s_mov_b32 s44, -1
	s_delay_alu instid0(VALU_DEP_1)
	v_and_b32_e32 v35, 0x7f, v21
                                        ; implicit-def: $vgpr21
; %bb.71:                               ;   in Loop: Header=BB191_68 Depth=3
	s_and_not1_saveexec_b32 s45, s45
	s_cbranch_execz .LBB191_77
; %bb.72:                               ;   in Loop: Header=BB191_68 Depth=3
	v_mov_b32_e32 v22, s33
	s_mov_b32 s47, -1
	s_mov_b32 s46, exec_lo
	ds_cmpstore_rtn_b32 v22, v21, v34, v22
	s_waitcnt lgkmcnt(0)
	v_cmpx_eq_u32_e64 s33, v22
	s_cbranch_execz .LBB191_76
; %bb.73:                               ;   in Loop: Header=BB191_68 Depth=3
	v_mul_lo_u32 v22, v35, 28
	s_mov_b32 s47, 0
	s_delay_alu instid0(VALU_DEP_1)
	v_add_nc_u32_e32 v23, v21, v22
	ds_load_b64 v[21:22], v23 offset:536
.LBB191_74:                             ;   Parent Loop BB191_15 Depth=1
                                        ;     Parent Loop BB191_18 Depth=2
                                        ;       Parent Loop BB191_68 Depth=3
                                        ; =>      This Inner Loop Header: Depth=4
	s_waitcnt lgkmcnt(0)
	v_add_f64 v[24:25], v[21:22], v[19:20]
	ds_cmpstore_rtn_b64 v[24:25], v23, v[24:25], v[21:22] offset:536
	s_waitcnt lgkmcnt(0)
	v_cmp_eq_u64_e32 vcc_lo, v[24:25], v[21:22]
	v_dual_mov_b32 v21, v24 :: v_dual_mov_b32 v22, v25
	s_or_b32 s47, vcc_lo, s47
	s_delay_alu instid0(SALU_CYCLE_1)
	s_and_not1_b32 exec_lo, exec_lo, s47
	s_cbranch_execnz .LBB191_74
; %bb.75:                               ;   in Loop: Header=BB191_68 Depth=3
	s_or_b32 exec_lo, exec_lo, s47
	s_delay_alu instid0(SALU_CYCLE_1)
	s_xor_b32 s47, exec_lo, -1
.LBB191_76:                             ;   in Loop: Header=BB191_68 Depth=3
	s_or_b32 exec_lo, exec_lo, s46
	s_delay_alu instid0(SALU_CYCLE_1) | instskip(SKIP_1) | instid1(SALU_CYCLE_1)
	s_and_not1_b32 s44, s44, exec_lo
	s_and_b32 s46, s47, exec_lo
	s_or_b32 s44, s44, s46
.LBB191_77:                             ;   in Loop: Header=BB191_68 Depth=3
	s_or_b32 exec_lo, exec_lo, s45
	s_delay_alu instid0(SALU_CYCLE_1)
	s_and_b32 s44, s44, exec_lo
                                        ; implicit-def: $vgpr21
.LBB191_78:                             ;   in Loop: Header=BB191_68 Depth=3
	s_and_not1_saveexec_b32 s43, s43
	s_cbranch_execz .LBB191_67
; %bb.79:                               ;   in Loop: Header=BB191_68 Depth=3
	v_mul_lo_u32 v22, v35, 28
	s_mov_b32 s45, 0
	s_delay_alu instid0(VALU_DEP_1)
	v_add_nc_u32_e32 v23, v21, v22
	ds_load_b64 v[21:22], v23 offset:536
.LBB191_80:                             ;   Parent Loop BB191_15 Depth=1
                                        ;     Parent Loop BB191_18 Depth=2
                                        ;       Parent Loop BB191_68 Depth=3
                                        ; =>      This Inner Loop Header: Depth=4
	s_waitcnt lgkmcnt(0)
	v_add_f64 v[24:25], v[21:22], v[19:20]
	ds_cmpstore_rtn_b64 v[24:25], v23, v[24:25], v[21:22] offset:536
	s_waitcnt lgkmcnt(0)
	v_cmp_eq_u64_e32 vcc_lo, v[24:25], v[21:22]
	v_dual_mov_b32 v21, v24 :: v_dual_mov_b32 v22, v25
	s_or_b32 s45, vcc_lo, s45
	s_delay_alu instid0(SALU_CYCLE_1)
	s_and_not1_b32 exec_lo, exec_lo, s45
	s_cbranch_execnz .LBB191_80
; %bb.81:                               ;   in Loop: Header=BB191_68 Depth=3
	s_or_b32 exec_lo, exec_lo, s45
	s_delay_alu instid0(SALU_CYCLE_1)
	s_and_not1_b32 s44, s44, exec_lo
	s_branch .LBB191_67
.LBB191_82:
	s_or_b32 exec_lo, exec_lo, s12
.LBB191_83:
	s_delay_alu instid0(SALU_CYCLE_1)
	s_and_not1_b32 vcc_lo, exec_lo, s40
	s_barrier
	buffer_gl0_inv
	s_cbranch_vccnz .LBB191_152
; %bb.84:
	s_lshl_b64 s[0:1], s[34:35], 3
	s_delay_alu instid0(SALU_CYCLE_1) | instskip(SKIP_4) | instid1(VALU_DEP_1)
	s_add_u32 s0, s4, s0
	s_addc_u32 s1, s5, s1
	s_mov_b32 s5, 0
	s_load_b128 s[12:15], s[0:1], 0x0
	v_sub_co_u32 v3, s0, v0, s23
	v_sub_co_ci_u32_e64 v4, null, 0, 0, s0
	s_mov_b32 s4, exec_lo
	s_waitcnt lgkmcnt(0)
	s_delay_alu instid0(VALU_DEP_2) | instskip(NEXT) | instid1(VALU_DEP_2)
	v_add_co_u32 v3, vcc_lo, s12, v3
	v_add_co_ci_u32_e32 v4, vcc_lo, s13, v4, vcc_lo
	s_sub_u32 s0, s14, s23
	s_subb_u32 s1, s15, 0
	s_delay_alu instid0(VALU_DEP_1) | instid1(SALU_CYCLE_1)
	v_cmpx_gt_i64_e64 s[0:1], v[3:4]
	s_cbranch_execz .LBB191_151
; %bb.85:
	s_cmp_eq_u32 s3, 0
	s_cselect_b32 s12, 1, 2
	s_cselect_b32 s13, 2, 1
	s_branch .LBB191_87
.LBB191_86:                             ;   in Loop: Header=BB191_87 Depth=1
	s_or_b32 exec_lo, exec_lo, s14
	v_add_co_u32 v3, vcc_lo, 0x100, v3
	v_add_co_ci_u32_e32 v4, vcc_lo, 0, v4, vcc_lo
	s_delay_alu instid0(VALU_DEP_1) | instskip(SKIP_1) | instid1(SALU_CYCLE_1)
	v_cmp_le_i64_e32 vcc_lo, s[0:1], v[3:4]
	s_or_b32 s5, vcc_lo, s5
	s_and_not1_b32 exec_lo, exec_lo, s5
	s_cbranch_execz .LBB191_151
.LBB191_87:                             ; =>This Loop Header: Depth=1
                                        ;     Child Loop BB191_89 Depth 2
                                        ;       Child Loop BB191_95 Depth 3
                                        ;       Child Loop BB191_101 Depth 3
                                        ;     Child Loop BB191_105 Depth 2
                                        ;       Child Loop BB191_111 Depth 3
                                        ;       Child Loop BB191_117 Depth 3
	;; [unrolled: 3-line block ×4, first 2 shown]
	v_lshlrev_b64 v[5:6], 5, v[3:4]
	v_lshlrev_b64 v[7:8], 2, v[3:4]
	s_mov_b32 s14, 0
	s_delay_alu instid0(VALU_DEP_2) | instskip(NEXT) | instid1(VALU_DEP_3)
	v_add_co_u32 v5, vcc_lo, s8, v5
	v_add_co_ci_u32_e32 v6, vcc_lo, s9, v6, vcc_lo
	s_delay_alu instid0(VALU_DEP_3) | instskip(NEXT) | instid1(VALU_DEP_4)
	v_add_co_u32 v9, vcc_lo, s6, v7
	v_add_co_ci_u32_e32 v10, vcc_lo, s7, v8, vcc_lo
	global_load_b64 v[11:12], v[5:6], off
	v_or_b32_e32 v14, 0, v8
	v_or_b32_e32 v13, s13, v7
	global_load_b32 v15, v[9:10], off
	v_or_b32_e32 v8, 0, v8
	v_or_b32_e32 v7, s12, v7
	v_lshlrev_b64 v[9:10], 3, v[13:14]
	s_delay_alu instid0(VALU_DEP_2) | instskip(NEXT) | instid1(VALU_DEP_2)
	v_lshlrev_b64 v[7:8], 3, v[7:8]
	v_add_co_u32 v9, vcc_lo, s8, v9
	s_delay_alu instid0(VALU_DEP_3) | instskip(NEXT) | instid1(VALU_DEP_3)
	v_add_co_ci_u32_e32 v10, vcc_lo, s9, v10, vcc_lo
	v_add_co_u32 v13, vcc_lo, s8, v7
	s_delay_alu instid0(VALU_DEP_4)
	v_add_co_ci_u32_e32 v14, vcc_lo, s9, v8, vcc_lo
	s_clause 0x2
	global_load_b64 v[7:8], v[9:10], off
	global_load_b64 v[9:10], v[13:14], off
	global_load_b64 v[5:6], v[5:6], off offset:24
	s_waitcnt vmcnt(4)
	v_mul_f64 v[11:12], v[1:2], v[11:12]
	s_waitcnt vmcnt(3)
	v_subrev_nc_u32_e32 v15, s23, v15
	s_delay_alu instid0(VALU_DEP_1) | instskip(NEXT) | instid1(VALU_DEP_1)
	v_lshl_add_u32 v13, v15, 3, v15
	v_and_b32_e32 v16, 0x7f, v13
	s_delay_alu instid0(VALU_DEP_1)
	v_mov_b32_e32 v17, v16
	s_branch .LBB191_89
.LBB191_88:                             ;   in Loop: Header=BB191_89 Depth=2
	s_or_b32 exec_lo, exec_lo, s15
	s_xor_b32 s15, s16, -1
	s_delay_alu instid0(SALU_CYCLE_1) | instskip(NEXT) | instid1(SALU_CYCLE_1)
	s_and_b32 s15, exec_lo, s15
	s_or_b32 s14, s15, s14
	s_delay_alu instid0(SALU_CYCLE_1)
	s_and_not1_b32 exec_lo, exec_lo, s14
	s_cbranch_execz .LBB191_103
.LBB191_89:                             ;   Parent Loop BB191_87 Depth=1
                                        ; =>  This Loop Header: Depth=2
                                        ;       Child Loop BB191_95 Depth 3
                                        ;       Child Loop BB191_101 Depth 3
	s_delay_alu instid0(VALU_DEP_1)
	v_lshl_add_u32 v13, v17, 2, 0
	s_mov_b32 s15, exec_lo
                                        ; implicit-def: $sgpr16
	ds_load_b32 v14, v13
	s_waitcnt lgkmcnt(0)
	v_cmpx_ne_u32_e64 v14, v15
	s_xor_b32 s15, exec_lo, s15
	s_cbranch_execz .LBB191_99
; %bb.90:                               ;   in Loop: Header=BB191_89 Depth=2
	s_mov_b32 s17, exec_lo
                                        ; implicit-def: $sgpr16
	v_cmpx_ne_u32_e64 s33, v14
	s_xor_b32 s17, exec_lo, s17
; %bb.91:                               ;   in Loop: Header=BB191_89 Depth=2
	v_add_nc_u32_e32 v13, 1, v17
	s_mov_b32 s16, -1
	s_delay_alu instid0(VALU_DEP_1)
	v_and_b32_e32 v17, 0x7f, v13
                                        ; implicit-def: $vgpr13
; %bb.92:                               ;   in Loop: Header=BB191_89 Depth=2
	s_and_not1_saveexec_b32 s17, s17
	s_cbranch_execz .LBB191_98
; %bb.93:                               ;   in Loop: Header=BB191_89 Depth=2
	v_mov_b32_e32 v14, s33
	s_mov_b32 s19, -1
	s_mov_b32 s18, exec_lo
	ds_cmpstore_rtn_b32 v14, v13, v15, v14
	s_waitcnt lgkmcnt(0)
	v_cmpx_eq_u32_e64 s33, v14
	s_cbranch_execz .LBB191_97
; %bb.94:                               ;   in Loop: Header=BB191_89 Depth=2
	v_mul_lo_u32 v14, v17, 28
	s_mov_b32 s19, 0
	s_delay_alu instid0(VALU_DEP_1)
	v_add_nc_u32_e32 v18, v13, v14
	ds_load_b64 v[13:14], v18 offset:512
.LBB191_95:                             ;   Parent Loop BB191_87 Depth=1
                                        ;     Parent Loop BB191_89 Depth=2
                                        ; =>    This Inner Loop Header: Depth=3
	s_waitcnt lgkmcnt(0)
	v_add_f64 v[19:20], v[13:14], v[11:12]
	ds_cmpstore_rtn_b64 v[19:20], v18, v[19:20], v[13:14] offset:512
	s_waitcnt lgkmcnt(0)
	v_cmp_eq_u64_e32 vcc_lo, v[19:20], v[13:14]
	v_dual_mov_b32 v13, v19 :: v_dual_mov_b32 v14, v20
	s_or_b32 s19, vcc_lo, s19
	s_delay_alu instid0(SALU_CYCLE_1)
	s_and_not1_b32 exec_lo, exec_lo, s19
	s_cbranch_execnz .LBB191_95
; %bb.96:                               ;   in Loop: Header=BB191_89 Depth=2
	s_or_b32 exec_lo, exec_lo, s19
	s_delay_alu instid0(SALU_CYCLE_1)
	s_xor_b32 s19, exec_lo, -1
.LBB191_97:                             ;   in Loop: Header=BB191_89 Depth=2
	s_or_b32 exec_lo, exec_lo, s18
	s_delay_alu instid0(SALU_CYCLE_1) | instskip(SKIP_1) | instid1(SALU_CYCLE_1)
	s_and_not1_b32 s16, s16, exec_lo
	s_and_b32 s18, s19, exec_lo
	s_or_b32 s16, s16, s18
.LBB191_98:                             ;   in Loop: Header=BB191_89 Depth=2
	s_or_b32 exec_lo, exec_lo, s17
	s_delay_alu instid0(SALU_CYCLE_1)
	s_and_b32 s16, s16, exec_lo
                                        ; implicit-def: $vgpr13
.LBB191_99:                             ;   in Loop: Header=BB191_89 Depth=2
	s_and_not1_saveexec_b32 s15, s15
	s_cbranch_execz .LBB191_88
; %bb.100:                              ;   in Loop: Header=BB191_89 Depth=2
	v_mul_lo_u32 v14, v17, 28
	s_mov_b32 s17, 0
	s_delay_alu instid0(VALU_DEP_1)
	v_add_nc_u32_e32 v18, v13, v14
	ds_load_b64 v[13:14], v18 offset:512
.LBB191_101:                            ;   Parent Loop BB191_87 Depth=1
                                        ;     Parent Loop BB191_89 Depth=2
                                        ; =>    This Inner Loop Header: Depth=3
	s_waitcnt lgkmcnt(0)
	v_add_f64 v[19:20], v[13:14], v[11:12]
	ds_cmpstore_rtn_b64 v[19:20], v18, v[19:20], v[13:14] offset:512
	s_waitcnt lgkmcnt(0)
	v_cmp_eq_u64_e32 vcc_lo, v[19:20], v[13:14]
	v_dual_mov_b32 v13, v19 :: v_dual_mov_b32 v14, v20
	s_or_b32 s17, vcc_lo, s17
	s_delay_alu instid0(SALU_CYCLE_1)
	s_and_not1_b32 exec_lo, exec_lo, s17
	s_cbranch_execnz .LBB191_101
; %bb.102:                              ;   in Loop: Header=BB191_89 Depth=2
	s_or_b32 exec_lo, exec_lo, s17
	s_delay_alu instid0(SALU_CYCLE_1)
	s_and_not1_b32 s16, s16, exec_lo
	s_branch .LBB191_88
.LBB191_103:                            ;   in Loop: Header=BB191_87 Depth=1
	s_or_b32 exec_lo, exec_lo, s14
	s_waitcnt vmcnt(1)
	v_mul_f64 v[9:10], v[1:2], v[9:10]
	v_mov_b32_e32 v13, v16
	s_mov_b32 s14, 0
	s_branch .LBB191_105
.LBB191_104:                            ;   in Loop: Header=BB191_105 Depth=2
	s_or_b32 exec_lo, exec_lo, s15
	s_xor_b32 s15, s16, -1
	s_delay_alu instid0(SALU_CYCLE_1) | instskip(NEXT) | instid1(SALU_CYCLE_1)
	s_and_b32 s15, exec_lo, s15
	s_or_b32 s14, s15, s14
	s_delay_alu instid0(SALU_CYCLE_1)
	s_and_not1_b32 exec_lo, exec_lo, s14
	s_cbranch_execz .LBB191_119
.LBB191_105:                            ;   Parent Loop BB191_87 Depth=1
                                        ; =>  This Loop Header: Depth=2
                                        ;       Child Loop BB191_111 Depth 3
                                        ;       Child Loop BB191_117 Depth 3
	s_delay_alu instid0(VALU_DEP_1)
	v_lshl_add_u32 v11, v13, 2, 0
	s_mov_b32 s15, exec_lo
                                        ; implicit-def: $sgpr16
	ds_load_b32 v12, v11
	s_waitcnt lgkmcnt(0)
	v_cmpx_ne_u32_e64 v12, v15
	s_xor_b32 s15, exec_lo, s15
	s_cbranch_execz .LBB191_115
; %bb.106:                              ;   in Loop: Header=BB191_105 Depth=2
	s_mov_b32 s17, exec_lo
                                        ; implicit-def: $sgpr16
	v_cmpx_ne_u32_e64 s33, v12
	s_xor_b32 s17, exec_lo, s17
; %bb.107:                              ;   in Loop: Header=BB191_105 Depth=2
	v_add_nc_u32_e32 v11, 1, v13
	s_mov_b32 s16, -1
	s_delay_alu instid0(VALU_DEP_1)
	v_and_b32_e32 v13, 0x7f, v11
                                        ; implicit-def: $vgpr11
; %bb.108:                              ;   in Loop: Header=BB191_105 Depth=2
	s_and_not1_saveexec_b32 s17, s17
	s_cbranch_execz .LBB191_114
; %bb.109:                              ;   in Loop: Header=BB191_105 Depth=2
	v_mov_b32_e32 v12, s33
	s_mov_b32 s19, -1
	s_mov_b32 s18, exec_lo
	ds_cmpstore_rtn_b32 v12, v11, v15, v12
	s_waitcnt lgkmcnt(0)
	v_cmpx_eq_u32_e64 s33, v12
	s_cbranch_execz .LBB191_113
; %bb.110:                              ;   in Loop: Header=BB191_105 Depth=2
	v_mul_lo_u32 v12, v13, 28
	s_mov_b32 s19, 0
	s_delay_alu instid0(VALU_DEP_1)
	v_add_nc_u32_e32 v14, v11, v12
	ds_load_b64 v[11:12], v14 offset:520
.LBB191_111:                            ;   Parent Loop BB191_87 Depth=1
                                        ;     Parent Loop BB191_105 Depth=2
                                        ; =>    This Inner Loop Header: Depth=3
	s_waitcnt lgkmcnt(0)
	v_add_f64 v[17:18], v[11:12], v[9:10]
	ds_cmpstore_rtn_b64 v[17:18], v14, v[17:18], v[11:12] offset:520
	s_waitcnt lgkmcnt(0)
	v_cmp_eq_u64_e32 vcc_lo, v[17:18], v[11:12]
	v_dual_mov_b32 v11, v17 :: v_dual_mov_b32 v12, v18
	s_or_b32 s19, vcc_lo, s19
	s_delay_alu instid0(SALU_CYCLE_1)
	s_and_not1_b32 exec_lo, exec_lo, s19
	s_cbranch_execnz .LBB191_111
; %bb.112:                              ;   in Loop: Header=BB191_105 Depth=2
	s_or_b32 exec_lo, exec_lo, s19
	s_delay_alu instid0(SALU_CYCLE_1)
	s_xor_b32 s19, exec_lo, -1
.LBB191_113:                            ;   in Loop: Header=BB191_105 Depth=2
	s_or_b32 exec_lo, exec_lo, s18
	s_delay_alu instid0(SALU_CYCLE_1) | instskip(SKIP_1) | instid1(SALU_CYCLE_1)
	s_and_not1_b32 s16, s16, exec_lo
	s_and_b32 s18, s19, exec_lo
	s_or_b32 s16, s16, s18
.LBB191_114:                            ;   in Loop: Header=BB191_105 Depth=2
	s_or_b32 exec_lo, exec_lo, s17
	s_delay_alu instid0(SALU_CYCLE_1)
	s_and_b32 s16, s16, exec_lo
                                        ; implicit-def: $vgpr11
.LBB191_115:                            ;   in Loop: Header=BB191_105 Depth=2
	s_and_not1_saveexec_b32 s15, s15
	s_cbranch_execz .LBB191_104
; %bb.116:                              ;   in Loop: Header=BB191_105 Depth=2
	v_mul_lo_u32 v12, v13, 28
	s_mov_b32 s17, 0
	s_delay_alu instid0(VALU_DEP_1)
	v_add_nc_u32_e32 v14, v11, v12
	ds_load_b64 v[11:12], v14 offset:520
.LBB191_117:                            ;   Parent Loop BB191_87 Depth=1
                                        ;     Parent Loop BB191_105 Depth=2
                                        ; =>    This Inner Loop Header: Depth=3
	s_waitcnt lgkmcnt(0)
	v_add_f64 v[17:18], v[11:12], v[9:10]
	ds_cmpstore_rtn_b64 v[17:18], v14, v[17:18], v[11:12] offset:520
	s_waitcnt lgkmcnt(0)
	v_cmp_eq_u64_e32 vcc_lo, v[17:18], v[11:12]
	v_dual_mov_b32 v11, v17 :: v_dual_mov_b32 v12, v18
	s_or_b32 s17, vcc_lo, s17
	s_delay_alu instid0(SALU_CYCLE_1)
	s_and_not1_b32 exec_lo, exec_lo, s17
	s_cbranch_execnz .LBB191_117
; %bb.118:                              ;   in Loop: Header=BB191_105 Depth=2
	s_or_b32 exec_lo, exec_lo, s17
	s_delay_alu instid0(SALU_CYCLE_1)
	s_and_not1_b32 s16, s16, exec_lo
	s_branch .LBB191_104
.LBB191_119:                            ;   in Loop: Header=BB191_87 Depth=1
	s_or_b32 exec_lo, exec_lo, s14
	v_mul_f64 v[7:8], v[1:2], v[7:8]
	v_mov_b32_e32 v11, v16
	s_mov_b32 s14, 0
	s_branch .LBB191_121
.LBB191_120:                            ;   in Loop: Header=BB191_121 Depth=2
	s_or_b32 exec_lo, exec_lo, s15
	s_xor_b32 s15, s16, -1
	s_delay_alu instid0(SALU_CYCLE_1) | instskip(NEXT) | instid1(SALU_CYCLE_1)
	s_and_b32 s15, exec_lo, s15
	s_or_b32 s14, s15, s14
	s_delay_alu instid0(SALU_CYCLE_1)
	s_and_not1_b32 exec_lo, exec_lo, s14
	s_cbranch_execz .LBB191_135
.LBB191_121:                            ;   Parent Loop BB191_87 Depth=1
                                        ; =>  This Loop Header: Depth=2
                                        ;       Child Loop BB191_127 Depth 3
                                        ;       Child Loop BB191_133 Depth 3
	s_delay_alu instid0(VALU_DEP_1)
	v_lshl_add_u32 v9, v11, 2, 0
	s_mov_b32 s15, exec_lo
                                        ; implicit-def: $sgpr16
	ds_load_b32 v10, v9
	s_waitcnt lgkmcnt(0)
	v_cmpx_ne_u32_e64 v10, v15
	s_xor_b32 s15, exec_lo, s15
	s_cbranch_execz .LBB191_131
; %bb.122:                              ;   in Loop: Header=BB191_121 Depth=2
	s_mov_b32 s17, exec_lo
                                        ; implicit-def: $sgpr16
	v_cmpx_ne_u32_e64 s33, v10
	s_xor_b32 s17, exec_lo, s17
; %bb.123:                              ;   in Loop: Header=BB191_121 Depth=2
	v_add_nc_u32_e32 v9, 1, v11
	s_mov_b32 s16, -1
	s_delay_alu instid0(VALU_DEP_1)
	v_and_b32_e32 v11, 0x7f, v9
                                        ; implicit-def: $vgpr9
; %bb.124:                              ;   in Loop: Header=BB191_121 Depth=2
	s_and_not1_saveexec_b32 s17, s17
	s_cbranch_execz .LBB191_130
; %bb.125:                              ;   in Loop: Header=BB191_121 Depth=2
	v_mov_b32_e32 v10, s33
	s_mov_b32 s19, -1
	s_mov_b32 s18, exec_lo
	ds_cmpstore_rtn_b32 v10, v9, v15, v10
	s_waitcnt lgkmcnt(0)
	v_cmpx_eq_u32_e64 s33, v10
	s_cbranch_execz .LBB191_129
; %bb.126:                              ;   in Loop: Header=BB191_121 Depth=2
	v_mul_lo_u32 v10, v11, 28
	s_mov_b32 s19, 0
	s_delay_alu instid0(VALU_DEP_1)
	v_add_nc_u32_e32 v12, v9, v10
	ds_load_b64 v[9:10], v12 offset:528
.LBB191_127:                            ;   Parent Loop BB191_87 Depth=1
                                        ;     Parent Loop BB191_121 Depth=2
                                        ; =>    This Inner Loop Header: Depth=3
	s_waitcnt lgkmcnt(0)
	v_add_f64 v[13:14], v[9:10], v[7:8]
	ds_cmpstore_rtn_b64 v[13:14], v12, v[13:14], v[9:10] offset:528
	s_waitcnt lgkmcnt(0)
	v_cmp_eq_u64_e32 vcc_lo, v[13:14], v[9:10]
	v_dual_mov_b32 v9, v13 :: v_dual_mov_b32 v10, v14
	s_or_b32 s19, vcc_lo, s19
	s_delay_alu instid0(SALU_CYCLE_1)
	s_and_not1_b32 exec_lo, exec_lo, s19
	s_cbranch_execnz .LBB191_127
; %bb.128:                              ;   in Loop: Header=BB191_121 Depth=2
	s_or_b32 exec_lo, exec_lo, s19
	s_delay_alu instid0(SALU_CYCLE_1)
	s_xor_b32 s19, exec_lo, -1
.LBB191_129:                            ;   in Loop: Header=BB191_121 Depth=2
	s_or_b32 exec_lo, exec_lo, s18
	s_delay_alu instid0(SALU_CYCLE_1) | instskip(SKIP_1) | instid1(SALU_CYCLE_1)
	s_and_not1_b32 s16, s16, exec_lo
	s_and_b32 s18, s19, exec_lo
	s_or_b32 s16, s16, s18
.LBB191_130:                            ;   in Loop: Header=BB191_121 Depth=2
	s_or_b32 exec_lo, exec_lo, s17
	s_delay_alu instid0(SALU_CYCLE_1)
	s_and_b32 s16, s16, exec_lo
                                        ; implicit-def: $vgpr9
.LBB191_131:                            ;   in Loop: Header=BB191_121 Depth=2
	s_and_not1_saveexec_b32 s15, s15
	s_cbranch_execz .LBB191_120
; %bb.132:                              ;   in Loop: Header=BB191_121 Depth=2
	v_mul_lo_u32 v10, v11, 28
	s_mov_b32 s17, 0
	s_delay_alu instid0(VALU_DEP_1)
	v_add_nc_u32_e32 v12, v9, v10
	ds_load_b64 v[9:10], v12 offset:528
.LBB191_133:                            ;   Parent Loop BB191_87 Depth=1
                                        ;     Parent Loop BB191_121 Depth=2
                                        ; =>    This Inner Loop Header: Depth=3
	s_waitcnt lgkmcnt(0)
	v_add_f64 v[13:14], v[9:10], v[7:8]
	ds_cmpstore_rtn_b64 v[13:14], v12, v[13:14], v[9:10] offset:528
	s_waitcnt lgkmcnt(0)
	v_cmp_eq_u64_e32 vcc_lo, v[13:14], v[9:10]
	v_dual_mov_b32 v9, v13 :: v_dual_mov_b32 v10, v14
	s_or_b32 s17, vcc_lo, s17
	s_delay_alu instid0(SALU_CYCLE_1)
	s_and_not1_b32 exec_lo, exec_lo, s17
	s_cbranch_execnz .LBB191_133
; %bb.134:                              ;   in Loop: Header=BB191_121 Depth=2
	s_or_b32 exec_lo, exec_lo, s17
	s_delay_alu instid0(SALU_CYCLE_1)
	s_and_not1_b32 s16, s16, exec_lo
	s_branch .LBB191_120
.LBB191_135:                            ;   in Loop: Header=BB191_87 Depth=1
	s_or_b32 exec_lo, exec_lo, s14
	s_waitcnt vmcnt(0)
	v_mul_f64 v[5:6], v[1:2], v[5:6]
	s_mov_b32 s14, 0
	s_branch .LBB191_137
.LBB191_136:                            ;   in Loop: Header=BB191_137 Depth=2
	s_or_b32 exec_lo, exec_lo, s15
	s_xor_b32 s15, s16, -1
	s_delay_alu instid0(SALU_CYCLE_1) | instskip(NEXT) | instid1(SALU_CYCLE_1)
	s_and_b32 s15, exec_lo, s15
	s_or_b32 s14, s15, s14
	s_delay_alu instid0(SALU_CYCLE_1)
	s_and_not1_b32 exec_lo, exec_lo, s14
	s_cbranch_execz .LBB191_86
.LBB191_137:                            ;   Parent Loop BB191_87 Depth=1
                                        ; =>  This Loop Header: Depth=2
                                        ;       Child Loop BB191_143 Depth 3
                                        ;       Child Loop BB191_149 Depth 3
	v_lshl_add_u32 v7, v16, 2, 0
	s_mov_b32 s15, exec_lo
                                        ; implicit-def: $sgpr16
	ds_load_b32 v8, v7
	s_waitcnt lgkmcnt(0)
	v_cmpx_ne_u32_e64 v8, v15
	s_xor_b32 s15, exec_lo, s15
	s_cbranch_execz .LBB191_147
; %bb.138:                              ;   in Loop: Header=BB191_137 Depth=2
	s_mov_b32 s17, exec_lo
                                        ; implicit-def: $sgpr16
	v_cmpx_ne_u32_e64 s33, v8
	s_xor_b32 s17, exec_lo, s17
; %bb.139:                              ;   in Loop: Header=BB191_137 Depth=2
	v_add_nc_u32_e32 v7, 1, v16
	s_mov_b32 s16, -1
	s_delay_alu instid0(VALU_DEP_1)
	v_and_b32_e32 v16, 0x7f, v7
                                        ; implicit-def: $vgpr7
; %bb.140:                              ;   in Loop: Header=BB191_137 Depth=2
	s_and_not1_saveexec_b32 s17, s17
	s_cbranch_execz .LBB191_146
; %bb.141:                              ;   in Loop: Header=BB191_137 Depth=2
	v_mov_b32_e32 v8, s33
	s_mov_b32 s19, -1
	s_mov_b32 s18, exec_lo
	ds_cmpstore_rtn_b32 v8, v7, v15, v8
	s_waitcnt lgkmcnt(0)
	v_cmpx_eq_u32_e64 s33, v8
	s_cbranch_execz .LBB191_145
; %bb.142:                              ;   in Loop: Header=BB191_137 Depth=2
	v_mul_lo_u32 v8, v16, 28
	s_mov_b32 s19, 0
	s_delay_alu instid0(VALU_DEP_1)
	v_add_nc_u32_e32 v9, v7, v8
	ds_load_b64 v[7:8], v9 offset:536
.LBB191_143:                            ;   Parent Loop BB191_87 Depth=1
                                        ;     Parent Loop BB191_137 Depth=2
                                        ; =>    This Inner Loop Header: Depth=3
	s_waitcnt lgkmcnt(0)
	v_add_f64 v[10:11], v[7:8], v[5:6]
	ds_cmpstore_rtn_b64 v[10:11], v9, v[10:11], v[7:8] offset:536
	s_waitcnt lgkmcnt(0)
	v_cmp_eq_u64_e32 vcc_lo, v[10:11], v[7:8]
	v_dual_mov_b32 v7, v10 :: v_dual_mov_b32 v8, v11
	s_or_b32 s19, vcc_lo, s19
	s_delay_alu instid0(SALU_CYCLE_1)
	s_and_not1_b32 exec_lo, exec_lo, s19
	s_cbranch_execnz .LBB191_143
; %bb.144:                              ;   in Loop: Header=BB191_137 Depth=2
	s_or_b32 exec_lo, exec_lo, s19
	s_delay_alu instid0(SALU_CYCLE_1)
	s_xor_b32 s19, exec_lo, -1
.LBB191_145:                            ;   in Loop: Header=BB191_137 Depth=2
	s_or_b32 exec_lo, exec_lo, s18
	s_delay_alu instid0(SALU_CYCLE_1) | instskip(SKIP_1) | instid1(SALU_CYCLE_1)
	s_and_not1_b32 s16, s16, exec_lo
	s_and_b32 s18, s19, exec_lo
	s_or_b32 s16, s16, s18
.LBB191_146:                            ;   in Loop: Header=BB191_137 Depth=2
	s_or_b32 exec_lo, exec_lo, s17
	s_delay_alu instid0(SALU_CYCLE_1)
	s_and_b32 s16, s16, exec_lo
                                        ; implicit-def: $vgpr7
.LBB191_147:                            ;   in Loop: Header=BB191_137 Depth=2
	s_and_not1_saveexec_b32 s15, s15
	s_cbranch_execz .LBB191_136
; %bb.148:                              ;   in Loop: Header=BB191_137 Depth=2
	v_mul_lo_u32 v8, v16, 28
	s_mov_b32 s17, 0
	s_delay_alu instid0(VALU_DEP_1)
	v_add_nc_u32_e32 v9, v7, v8
	ds_load_b64 v[7:8], v9 offset:536
.LBB191_149:                            ;   Parent Loop BB191_87 Depth=1
                                        ;     Parent Loop BB191_137 Depth=2
                                        ; =>    This Inner Loop Header: Depth=3
	s_waitcnt lgkmcnt(0)
	v_add_f64 v[10:11], v[7:8], v[5:6]
	ds_cmpstore_rtn_b64 v[10:11], v9, v[10:11], v[7:8] offset:536
	s_waitcnt lgkmcnt(0)
	v_cmp_eq_u64_e32 vcc_lo, v[10:11], v[7:8]
	v_dual_mov_b32 v7, v10 :: v_dual_mov_b32 v8, v11
	s_or_b32 s17, vcc_lo, s17
	s_delay_alu instid0(SALU_CYCLE_1)
	s_and_not1_b32 exec_lo, exec_lo, s17
	s_cbranch_execnz .LBB191_149
; %bb.150:                              ;   in Loop: Header=BB191_137 Depth=2
	s_or_b32 exec_lo, exec_lo, s17
	s_delay_alu instid0(SALU_CYCLE_1)
	s_and_not1_b32 s16, s16, exec_lo
	s_branch .LBB191_136
.LBB191_151:
	s_or_b32 exec_lo, exec_lo, s4
.LBB191_152:
	s_barrier
	buffer_gl0_inv
	s_and_saveexec_b32 s0, s2
	s_cbranch_execz .LBB191_157
; %bb.153:
	ds_load_b32 v3, v31
	s_mov_b32 s1, 0
	s_waitcnt lgkmcnt(0)
	v_cmp_gt_i32_e32 vcc_lo, s33, v3
	s_and_b32 exec_lo, exec_lo, vcc_lo
	s_cbranch_execz .LBB191_157
; %bb.154:
	s_lshl_b64 s[4:5], s[34:35], 3
	s_delay_alu instid0(SALU_CYCLE_1)
	s_add_u32 s4, s10, s4
	s_addc_u32 s5, s11, s5
	s_load_b64 s[4:5], s[4:5], 0x0
	s_waitcnt lgkmcnt(0)
	s_sub_u32 s4, s4, s22
	s_subb_u32 s5, s5, 0
	s_delay_alu instid0(SALU_CYCLE_1)
	v_dual_mov_b32 v1, s4 :: v_dual_mov_b32 v2, s5
.LBB191_155:                            ; =>This Inner Loop Header: Depth=1
	s_add_i32 s0, s1, 0
	s_add_i32 s1, s1, 64
	v_mov_b32_e32 v18, s0
	s_cmpk_lg_i32 s1, 0x200
	ds_load_2addr_b32 v[4:5], v18 offset1:1
	ds_load_2addr_b32 v[6:7], v18 offset0:2 offset1:3
	ds_load_2addr_b32 v[8:9], v18 offset0:4 offset1:5
	;; [unrolled: 1-line block ×7, first 2 shown]
	s_waitcnt lgkmcnt(7)
	v_cmp_gt_i32_e32 vcc_lo, v3, v4
	v_cndmask_b32_e64 v4, 0, 1, vcc_lo
	v_cmp_gt_i32_e32 vcc_lo, v3, v5
	v_cndmask_b32_e64 v5, 0, 1, vcc_lo
	s_waitcnt lgkmcnt(6)
	v_cmp_gt_i32_e32 vcc_lo, v3, v6
	v_cndmask_b32_e64 v6, 0, 1, vcc_lo
	v_cmp_gt_i32_e32 vcc_lo, v3, v7
	v_cndmask_b32_e64 v7, 0, 1, vcc_lo
	;; [unrolled: 5-line block ×4, first 2 shown]
	s_waitcnt lgkmcnt(3)
	v_cmp_gt_i32_e32 vcc_lo, v3, v12
	v_cndmask_b32_e64 v12, 0, 1, vcc_lo
	v_add_co_u32 v1, vcc_lo, v1, v4
	v_add_co_ci_u32_e32 v2, vcc_lo, 0, v2, vcc_lo
	v_cmp_gt_i32_e32 vcc_lo, v3, v13
	s_delay_alu instid0(VALU_DEP_3) | instskip(NEXT) | instid1(VALU_DEP_1)
	v_add_co_u32 v1, s0, v1, v5
	v_add_co_ci_u32_e64 v2, s0, 0, v2, s0
	v_cndmask_b32_e64 v4, 0, 1, vcc_lo
	s_delay_alu instid0(VALU_DEP_3) | instskip(NEXT) | instid1(VALU_DEP_3)
	v_add_co_u32 v1, vcc_lo, v1, v6
	v_add_co_ci_u32_e32 v2, vcc_lo, 0, v2, vcc_lo
	s_waitcnt lgkmcnt(2)
	v_cmp_gt_i32_e32 vcc_lo, v3, v14
	s_delay_alu instid0(VALU_DEP_3) | instskip(NEXT) | instid1(VALU_DEP_1)
	v_add_co_u32 v1, s0, v1, v7
	v_add_co_ci_u32_e64 v2, s0, 0, v2, s0
	v_cndmask_b32_e64 v5, 0, 1, vcc_lo
	s_delay_alu instid0(VALU_DEP_3) | instskip(NEXT) | instid1(VALU_DEP_3)
	v_add_co_u32 v1, vcc_lo, v1, v8
	v_add_co_ci_u32_e32 v2, vcc_lo, 0, v2, vcc_lo
	v_cmp_gt_i32_e32 vcc_lo, v3, v15
	s_delay_alu instid0(VALU_DEP_3) | instskip(NEXT) | instid1(VALU_DEP_1)
	v_add_co_u32 v1, s0, v1, v9
	v_add_co_ci_u32_e64 v2, s0, 0, v2, s0
	v_cndmask_b32_e64 v6, 0, 1, vcc_lo
	s_delay_alu instid0(VALU_DEP_3) | instskip(NEXT) | instid1(VALU_DEP_3)
	v_add_co_u32 v1, vcc_lo, v1, v10
	v_add_co_ci_u32_e32 v2, vcc_lo, 0, v2, vcc_lo
	s_waitcnt lgkmcnt(1)
	v_cmp_gt_i32_e32 vcc_lo, v3, v16
	s_delay_alu instid0(VALU_DEP_3) | instskip(NEXT) | instid1(VALU_DEP_1)
	v_add_co_u32 v1, s0, v1, v11
	v_add_co_ci_u32_e64 v2, s0, 0, v2, s0
	v_cndmask_b32_e64 v7, 0, 1, vcc_lo
	s_delay_alu instid0(VALU_DEP_3) | instskip(NEXT) | instid1(VALU_DEP_3)
	;; [unrolled: 17-line block ×3, first 2 shown]
	v_add_co_u32 v1, vcc_lo, v1, v7
	v_add_co_ci_u32_e32 v2, vcc_lo, 0, v2, vcc_lo
	v_cmp_gt_i32_e32 vcc_lo, v3, v19
	s_delay_alu instid0(VALU_DEP_3) | instskip(NEXT) | instid1(VALU_DEP_1)
	v_add_co_u32 v1, s0, v1, v4
	v_add_co_ci_u32_e64 v2, s0, 0, v2, s0
	v_cndmask_b32_e64 v4, 0, 1, vcc_lo
	s_delay_alu instid0(VALU_DEP_3) | instskip(NEXT) | instid1(VALU_DEP_3)
	v_add_co_u32 v1, vcc_lo, v1, v5
	v_add_co_ci_u32_e32 v2, vcc_lo, 0, v2, vcc_lo
	s_delay_alu instid0(VALU_DEP_2) | instskip(NEXT) | instid1(VALU_DEP_2)
	v_add_co_u32 v1, vcc_lo, v1, v4
	v_add_co_ci_u32_e32 v2, vcc_lo, 0, v2, vcc_lo
	s_cbranch_scc1 .LBB191_155
; %bb.156:
	v_lshlrev_b32_e32 v4, 2, v0
	s_cmp_eq_u32 s3, 0
	v_lshlrev_b32_e32 v0, 5, v0
	s_cselect_b32 s0, 2, 1
	s_cselect_b32 s1, 1, 2
	v_or_b32_e32 v5, s0, v4
	v_or_b32_e32 v4, s1, v4
	v_add_nc_u32_e32 v6, 0, v0
	v_add3_u32 v0, 0, 0x200, v0
	v_lshlrev_b64 v[12:13], 2, v[1:2]
	v_lshl_add_u32 v7, v5, 3, 0
	v_lshl_add_u32 v10, v4, 3, 0
	v_add_nc_u32_e32 v14, s22, v3
	ds_load_b64 v[4:5], v6 offset:512
	ds_load_b64 v[8:9], v7 offset:512
	;; [unrolled: 1-line block ×4, first 2 shown]
	v_lshlrev_b64 v[0:1], 5, v[1:2]
	v_add_co_u32 v2, vcc_lo, s24, v12
	v_add_co_ci_u32_e32 v3, vcc_lo, s25, v13, vcc_lo
	s_delay_alu instid0(VALU_DEP_3) | instskip(NEXT) | instid1(VALU_DEP_4)
	v_add_co_u32 v0, vcc_lo, s26, v0
	v_add_co_ci_u32_e32 v1, vcc_lo, s27, v1, vcc_lo
	global_store_b32 v[2:3], v14, off
	s_waitcnt lgkmcnt(1)
	global_store_b128 v[0:1], v[4:7], off
	s_waitcnt lgkmcnt(0)
	global_store_b128 v[0:1], v[8:11], off offset:16
.LBB191_157:
	s_nop 0
	s_sendmsg sendmsg(MSG_DEALLOC_VGPRS)
	s_endpgm
	.section	.rodata,"a",@progbits
	.p2align	6, 0x0
	.amdhsa_kernel _ZN9rocsparseL30bsrgemm_fill_block_per_row_2x2ILj256ELj16ELj128ELj137ElidEEv20rocsparse_direction_T4_S2_PKS2_S4_NS_24const_host_device_scalarIT5_EEPKT3_S4_PKS6_SA_S4_SC_S7_SA_S4_SC_SA_PS2_PS6_21rocsparse_index_base_SF_SF_SF_bbb
		.amdhsa_group_segment_fixed_size 0
		.amdhsa_private_segment_fixed_size 0
		.amdhsa_kernarg_size 164
		.amdhsa_user_sgpr_count 15
		.amdhsa_user_sgpr_dispatch_ptr 0
		.amdhsa_user_sgpr_queue_ptr 0
		.amdhsa_user_sgpr_kernarg_segment_ptr 1
		.amdhsa_user_sgpr_dispatch_id 0
		.amdhsa_user_sgpr_private_segment_size 0
		.amdhsa_wavefront_size32 1
		.amdhsa_uses_dynamic_stack 0
		.amdhsa_enable_private_segment 0
		.amdhsa_system_sgpr_workgroup_id_x 1
		.amdhsa_system_sgpr_workgroup_id_y 0
		.amdhsa_system_sgpr_workgroup_id_z 0
		.amdhsa_system_sgpr_workgroup_info 0
		.amdhsa_system_vgpr_workitem_id 0
		.amdhsa_next_free_vgpr 40
		.amdhsa_next_free_sgpr 48
		.amdhsa_reserve_vcc 1
		.amdhsa_float_round_mode_32 0
		.amdhsa_float_round_mode_16_64 0
		.amdhsa_float_denorm_mode_32 3
		.amdhsa_float_denorm_mode_16_64 3
		.amdhsa_dx10_clamp 1
		.amdhsa_ieee_mode 1
		.amdhsa_fp16_overflow 0
		.amdhsa_workgroup_processor_mode 1
		.amdhsa_memory_ordered 1
		.amdhsa_forward_progress 0
		.amdhsa_shared_vgpr_count 0
		.amdhsa_exception_fp_ieee_invalid_op 0
		.amdhsa_exception_fp_denorm_src 0
		.amdhsa_exception_fp_ieee_div_zero 0
		.amdhsa_exception_fp_ieee_overflow 0
		.amdhsa_exception_fp_ieee_underflow 0
		.amdhsa_exception_fp_ieee_inexact 0
		.amdhsa_exception_int_div_zero 0
	.end_amdhsa_kernel
	.section	.text._ZN9rocsparseL30bsrgemm_fill_block_per_row_2x2ILj256ELj16ELj128ELj137ElidEEv20rocsparse_direction_T4_S2_PKS2_S4_NS_24const_host_device_scalarIT5_EEPKT3_S4_PKS6_SA_S4_SC_S7_SA_S4_SC_SA_PS2_PS6_21rocsparse_index_base_SF_SF_SF_bbb,"axG",@progbits,_ZN9rocsparseL30bsrgemm_fill_block_per_row_2x2ILj256ELj16ELj128ELj137ElidEEv20rocsparse_direction_T4_S2_PKS2_S4_NS_24const_host_device_scalarIT5_EEPKT3_S4_PKS6_SA_S4_SC_S7_SA_S4_SC_SA_PS2_PS6_21rocsparse_index_base_SF_SF_SF_bbb,comdat
.Lfunc_end191:
	.size	_ZN9rocsparseL30bsrgemm_fill_block_per_row_2x2ILj256ELj16ELj128ELj137ElidEEv20rocsparse_direction_T4_S2_PKS2_S4_NS_24const_host_device_scalarIT5_EEPKT3_S4_PKS6_SA_S4_SC_S7_SA_S4_SC_SA_PS2_PS6_21rocsparse_index_base_SF_SF_SF_bbb, .Lfunc_end191-_ZN9rocsparseL30bsrgemm_fill_block_per_row_2x2ILj256ELj16ELj128ELj137ElidEEv20rocsparse_direction_T4_S2_PKS2_S4_NS_24const_host_device_scalarIT5_EEPKT3_S4_PKS6_SA_S4_SC_S7_SA_S4_SC_SA_PS2_PS6_21rocsparse_index_base_SF_SF_SF_bbb
                                        ; -- End function
	.section	.AMDGPU.csdata,"",@progbits
; Kernel info:
; codeLenInByte = 5764
; NumSgprs: 50
; NumVgprs: 40
; ScratchSize: 0
; MemoryBound: 0
; FloatMode: 240
; IeeeMode: 1
; LDSByteSize: 0 bytes/workgroup (compile time only)
; SGPRBlocks: 6
; VGPRBlocks: 4
; NumSGPRsForWavesPerEU: 50
; NumVGPRsForWavesPerEU: 40
; Occupancy: 16
; WaveLimiterHint : 1
; COMPUTE_PGM_RSRC2:SCRATCH_EN: 0
; COMPUTE_PGM_RSRC2:USER_SGPR: 15
; COMPUTE_PGM_RSRC2:TRAP_HANDLER: 0
; COMPUTE_PGM_RSRC2:TGID_X_EN: 1
; COMPUTE_PGM_RSRC2:TGID_Y_EN: 0
; COMPUTE_PGM_RSRC2:TGID_Z_EN: 0
; COMPUTE_PGM_RSRC2:TIDIG_COMP_CNT: 0
	.section	.text._ZN9rocsparseL30bsrgemm_fill_block_per_row_2x2ILj256ELj16ELj256ELj137ElidEEv20rocsparse_direction_T4_S2_PKS2_S4_NS_24const_host_device_scalarIT5_EEPKT3_S4_PKS6_SA_S4_SC_S7_SA_S4_SC_SA_PS2_PS6_21rocsparse_index_base_SF_SF_SF_bbb,"axG",@progbits,_ZN9rocsparseL30bsrgemm_fill_block_per_row_2x2ILj256ELj16ELj256ELj137ElidEEv20rocsparse_direction_T4_S2_PKS2_S4_NS_24const_host_device_scalarIT5_EEPKT3_S4_PKS6_SA_S4_SC_S7_SA_S4_SC_SA_PS2_PS6_21rocsparse_index_base_SF_SF_SF_bbb,comdat
	.globl	_ZN9rocsparseL30bsrgemm_fill_block_per_row_2x2ILj256ELj16ELj256ELj137ElidEEv20rocsparse_direction_T4_S2_PKS2_S4_NS_24const_host_device_scalarIT5_EEPKT3_S4_PKS6_SA_S4_SC_S7_SA_S4_SC_SA_PS2_PS6_21rocsparse_index_base_SF_SF_SF_bbb ; -- Begin function _ZN9rocsparseL30bsrgemm_fill_block_per_row_2x2ILj256ELj16ELj256ELj137ElidEEv20rocsparse_direction_T4_S2_PKS2_S4_NS_24const_host_device_scalarIT5_EEPKT3_S4_PKS6_SA_S4_SC_S7_SA_S4_SC_SA_PS2_PS6_21rocsparse_index_base_SF_SF_SF_bbb
	.p2align	8
	.type	_ZN9rocsparseL30bsrgemm_fill_block_per_row_2x2ILj256ELj16ELj256ELj137ElidEEv20rocsparse_direction_T4_S2_PKS2_S4_NS_24const_host_device_scalarIT5_EEPKT3_S4_PKS6_SA_S4_SC_S7_SA_S4_SC_SA_PS2_PS6_21rocsparse_index_base_SF_SF_SF_bbb,@function
_ZN9rocsparseL30bsrgemm_fill_block_per_row_2x2ILj256ELj16ELj256ELj137ElidEEv20rocsparse_direction_T4_S2_PKS2_S4_NS_24const_host_device_scalarIT5_EEPKT3_S4_PKS6_SA_S4_SC_S7_SA_S4_SC_SA_PS2_PS6_21rocsparse_index_base_SF_SF_SF_bbb: ; @_ZN9rocsparseL30bsrgemm_fill_block_per_row_2x2ILj256ELj16ELj256ELj137ElidEEv20rocsparse_direction_T4_S2_PKS2_S4_NS_24const_host_device_scalarIT5_EEPKT3_S4_PKS6_SA_S4_SC_S7_SA_S4_SC_SA_PS2_PS6_21rocsparse_index_base_SF_SF_SF_bbb
; %bb.0:
	s_clause 0x2
	s_load_b32 s6, s[0:1], 0xa0
	s_load_b64 s[4:5], s[0:1], 0x20
	s_load_b64 s[2:3], s[0:1], 0x58
	s_mov_b32 s34, s15
	s_waitcnt lgkmcnt(0)
	s_and_b32 s8, 1, s6
	s_bitcmp1_b32 s6, 16
	s_cselect_b32 s7, -1, 0
	s_cmp_eq_u32 s8, 1
	s_cselect_b32 s35, -1, 0
	s_delay_alu instid0(SALU_CYCLE_1)
	s_and_b32 s8, s35, exec_lo
	s_cselect_b32 s9, s5, 0
	s_cselect_b32 s8, s4, 0
	s_xor_b32 s10, s35, -1
	v_dual_mov_b32 v3, s8 :: v_dual_mov_b32 v4, s9
	s_or_b32 s10, s10, s7
	s_delay_alu instid0(SALU_CYCLE_1)
	s_and_b32 vcc_lo, exec_lo, s10
	s_cbranch_vccnz .LBB192_2
; %bb.1:
	v_dual_mov_b32 v1, s4 :: v_dual_mov_b32 v2, s5
	flat_load_b64 v[3:4], v[1:2]
.LBB192_2:
	s_load_b128 s[20:23], s[0:1], 0x90
	s_bitcmp1_b32 s6, 8
	s_cselect_b32 s40, -1, 0
	s_delay_alu instid0(SALU_CYCLE_1)
	s_and_b32 s4, s40, exec_lo
	s_cselect_b32 s5, s3, 0
	s_cselect_b32 s4, s2, 0
	s_xor_b32 s6, s40, -1
	v_dual_mov_b32 v1, s4 :: v_dual_mov_b32 v2, s5
	s_or_b32 s6, s6, s7
	s_delay_alu instid0(SALU_CYCLE_1)
	s_and_b32 vcc_lo, exec_lo, s6
	s_cbranch_vccnz .LBB192_4
; %bb.3:
	v_dual_mov_b32 v1, s2 :: v_dual_mov_b32 v2, s3
	flat_load_b64 v[1:2], v[1:2]
.LBB192_4:
	s_clause 0x5
	s_load_b128 s[24:27], s[0:1], 0x80
	s_load_b256 s[4:11], s[0:1], 0x60
	s_load_b128 s[28:31], s[0:1], 0x48
	s_load_b256 s[12:19], s[0:1], 0x28
	s_load_b128 s[36:39], s[0:1], 0x10
	s_load_b32 s33, s[0:1], 0x8
	v_cmp_gt_u32_e64 s2, 0x100, v0
	v_lshl_add_u32 v31, v0, 2, 0
	s_delay_alu instid0(VALU_DEP_2)
	s_and_saveexec_b32 s3, s2
	s_cbranch_execz .LBB192_6
; %bb.5:
	s_waitcnt lgkmcnt(0)
	v_mov_b32_e32 v5, s33
	ds_store_b32 v31, v5
.LBB192_6:
	s_or_b32 exec_lo, exec_lo, s3
	v_dual_mov_b32 v5, 0 :: v_dual_lshlrev_b32 v6, 3, v0
	v_or_b32_e32 v7, 0xffffff00, v0
	s_mov_b32 s3, 0
	s_delay_alu instid0(VALU_DEP_2) | instskip(NEXT) | instid1(VALU_DEP_3)
	v_add3_u32 v8, v6, 0, 0x400
	v_mov_b32_e32 v6, v5
.LBB192_7:                              ; =>This Inner Loop Header: Depth=1
	s_delay_alu instid0(VALU_DEP_3) | instskip(SKIP_4) | instid1(SALU_CYCLE_1)
	v_add_nc_u32_e32 v7, 0x100, v7
	ds_store_b64 v8, v[5:6]
	v_add_nc_u32_e32 v8, 0x800, v8
	v_cmp_lt_u32_e32 vcc_lo, 0x2ff, v7
	s_or_b32 s3, vcc_lo, s3
	s_and_not1_b32 exec_lo, exec_lo, s3
	s_cbranch_execnz .LBB192_7
; %bb.8:
	s_or_b32 exec_lo, exec_lo, s3
	s_waitcnt lgkmcnt(0)
	s_cmp_lg_u64 s[38:39], 0
	s_waitcnt vmcnt(0)
	s_barrier
	buffer_gl0_inv
	s_cbranch_scc0 .LBB192_10
; %bb.9:
	s_load_b32 s3, s[36:37], 0x0
	s_mov_b32 s37, 0
	s_waitcnt lgkmcnt(0)
	s_add_i32 s36, s3, s34
	s_delay_alu instid0(SALU_CYCLE_1) | instskip(NEXT) | instid1(SALU_CYCLE_1)
	s_lshl_b64 s[36:37], s[36:37], 2
	s_add_u32 s36, s38, s36
	s_addc_u32 s37, s39, s37
	s_load_b32 s34, s[36:37], 0x0
.LBB192_10:
	s_load_b32 s3, s[0:1], 0x0
	s_and_not1_b32 vcc_lo, exec_lo, s35
	s_waitcnt lgkmcnt(0)
	s_ashr_i32 s35, s34, 31
	s_cbranch_vccnz .LBB192_82
; %bb.11:
	s_lshl_b64 s[0:1], s[34:35], 3
	v_lshrrev_b32_e32 v5, 4, v0
	s_add_u32 s0, s12, s0
	s_addc_u32 s1, s13, s1
	s_mov_b32 s13, 0
	s_load_b128 s[36:39], s[0:1], 0x0
	v_sub_co_u32 v5, s0, v5, s20
	s_delay_alu instid0(VALU_DEP_1) | instskip(SKIP_2) | instid1(VALU_DEP_2)
	v_sub_co_ci_u32_e64 v6, null, 0, 0, s0
	s_mov_b32 s12, exec_lo
	s_waitcnt lgkmcnt(0)
	v_add_co_u32 v5, vcc_lo, s36, v5
	s_delay_alu instid0(VALU_DEP_2)
	v_add_co_ci_u32_e32 v6, vcc_lo, s37, v6, vcc_lo
	s_sub_u32 s0, s38, s20
	s_subb_u32 s1, s39, 0
	s_delay_alu instid0(VALU_DEP_1) | instid1(SALU_CYCLE_1)
	v_cmpx_gt_i64_e64 s[0:1], v[5:6]
	s_cbranch_execz .LBB192_81
; %bb.12:
	v_and_b32_e32 v7, 15, v0
	s_cmp_eq_u32 s3, 0
	s_cselect_b32 s37, 1, 2
	s_cselect_b32 s38, 2, 1
	s_delay_alu instid0(VALU_DEP_1) | instskip(NEXT) | instid1(VALU_DEP_1)
	v_sub_co_u32 v32, s36, v7, s21
	v_sub_co_ci_u32_e64 v33, null, 0, 0, s36
	s_mov_b32 s36, s21
	s_branch .LBB192_14
.LBB192_13:                             ;   in Loop: Header=BB192_14 Depth=1
	s_or_b32 exec_lo, exec_lo, s39
	v_add_co_u32 v5, vcc_lo, v5, 16
	v_add_co_ci_u32_e32 v6, vcc_lo, 0, v6, vcc_lo
	s_delay_alu instid0(VALU_DEP_1) | instskip(SKIP_1) | instid1(SALU_CYCLE_1)
	v_cmp_le_i64_e32 vcc_lo, s[0:1], v[5:6]
	s_or_b32 s13, vcc_lo, s13
	s_and_not1_b32 exec_lo, exec_lo, s13
	s_cbranch_execz .LBB192_81
.LBB192_14:                             ; =>This Loop Header: Depth=1
                                        ;     Child Loop BB192_17 Depth 2
                                        ;       Child Loop BB192_19 Depth 3
                                        ;         Child Loop BB192_25 Depth 4
                                        ;         Child Loop BB192_31 Depth 4
                                        ;       Child Loop BB192_35 Depth 3
                                        ;         Child Loop BB192_41 Depth 4
                                        ;         Child Loop BB192_47 Depth 4
	;; [unrolled: 3-line block ×4, first 2 shown]
	v_lshlrev_b64 v[11:12], 2, v[5:6]
	s_mov_b32 s39, exec_lo
	s_delay_alu instid0(VALU_DEP_1) | instskip(NEXT) | instid1(VALU_DEP_2)
	v_add_co_u32 v7, vcc_lo, s14, v11
	v_add_co_ci_u32_e32 v8, vcc_lo, s15, v12, vcc_lo
	global_load_b32 v7, v[7:8], off
	s_waitcnt vmcnt(0)
	v_subrev_nc_u32_e32 v7, s20, v7
	s_delay_alu instid0(VALU_DEP_1) | instskip(NEXT) | instid1(VALU_DEP_1)
	v_ashrrev_i32_e32 v8, 31, v7
	v_lshlrev_b64 v[7:8], 3, v[7:8]
	s_delay_alu instid0(VALU_DEP_1) | instskip(NEXT) | instid1(VALU_DEP_2)
	v_add_co_u32 v7, vcc_lo, s18, v7
	v_add_co_ci_u32_e32 v8, vcc_lo, s19, v8, vcc_lo
	global_load_b128 v[13:16], v[7:8], off
	s_waitcnt vmcnt(0)
	v_sub_co_u32 v7, vcc_lo, v15, s36
	v_subrev_co_ci_u32_e32 v8, vcc_lo, 0, v16, vcc_lo
	v_add_co_u32 v9, vcc_lo, v13, v32
	v_add_co_ci_u32_e32 v10, vcc_lo, v14, v33, vcc_lo
	s_delay_alu instid0(VALU_DEP_1)
	v_cmpx_lt_i64_e64 v[9:10], v[7:8]
	s_cbranch_execz .LBB192_13
; %bb.15:                               ;   in Loop: Header=BB192_14 Depth=1
	v_or_b32_e32 v14, 0, v12
	v_or_b32_e32 v13, s38, v11
	v_lshlrev_b64 v[15:16], 5, v[5:6]
	v_or_b32_e32 v12, 0, v12
	v_or_b32_e32 v11, s37, v11
	s_mov_b32 s41, 0
	v_lshlrev_b64 v[13:14], 3, v[13:14]
	s_delay_alu instid0(VALU_DEP_4) | instskip(NEXT) | instid1(VALU_DEP_3)
	v_add_co_u32 v15, vcc_lo, s16, v15
	v_lshlrev_b64 v[11:12], 3, v[11:12]
	v_add_co_ci_u32_e32 v16, vcc_lo, s17, v16, vcc_lo
	s_delay_alu instid0(VALU_DEP_4) | instskip(SKIP_1) | instid1(VALU_DEP_4)
	v_add_co_u32 v13, vcc_lo, s16, v13
	v_add_co_ci_u32_e32 v14, vcc_lo, s17, v14, vcc_lo
	v_add_co_u32 v11, vcc_lo, s16, v11
	v_add_co_ci_u32_e32 v12, vcc_lo, s17, v12, vcc_lo
	s_clause 0x3
	global_load_b64 v[17:18], v[15:16], off offset:24
	global_load_b64 v[13:14], v[13:14], off
	global_load_b64 v[19:20], v[11:12], off
	;; [unrolled: 1-line block ×3, first 2 shown]
	s_waitcnt vmcnt(3)
	v_mul_f64 v[11:12], v[3:4], v[17:18]
	s_waitcnt vmcnt(2)
	v_mul_f64 v[13:14], v[3:4], v[13:14]
	;; [unrolled: 2-line block ×4, first 2 shown]
	s_branch .LBB192_17
.LBB192_16:                             ;   in Loop: Header=BB192_17 Depth=2
	s_or_b32 exec_lo, exec_lo, s42
	v_add_co_u32 v9, vcc_lo, v9, 16
	v_add_co_ci_u32_e32 v10, vcc_lo, 0, v10, vcc_lo
	s_delay_alu instid0(VALU_DEP_1) | instskip(SKIP_1) | instid1(SALU_CYCLE_1)
	v_cmp_ge_i64_e32 vcc_lo, v[9:10], v[7:8]
	s_or_b32 s41, vcc_lo, s41
	s_and_not1_b32 exec_lo, exec_lo, s41
	s_cbranch_execz .LBB192_13
.LBB192_17:                             ;   Parent Loop BB192_14 Depth=1
                                        ; =>  This Loop Header: Depth=2
                                        ;       Child Loop BB192_19 Depth 3
                                        ;         Child Loop BB192_25 Depth 4
                                        ;         Child Loop BB192_31 Depth 4
                                        ;       Child Loop BB192_35 Depth 3
                                        ;         Child Loop BB192_41 Depth 4
                                        ;         Child Loop BB192_47 Depth 4
	;; [unrolled: 3-line block ×4, first 2 shown]
	v_lshlrev_b64 v[19:20], 2, v[9:10]
	s_mov_b32 s42, 0
	s_delay_alu instid0(VALU_DEP_1) | instskip(NEXT) | instid1(VALU_DEP_2)
	v_or_b32_e32 v22, 0, v20
	v_or_b32_e32 v21, s38, v19
	s_delay_alu instid0(VALU_DEP_1) | instskip(NEXT) | instid1(VALU_DEP_1)
	v_lshlrev_b64 v[21:22], 3, v[21:22]
	v_add_co_u32 v21, vcc_lo, s30, v21
	s_delay_alu instid0(VALU_DEP_2) | instskip(SKIP_2) | instid1(VALU_DEP_1)
	v_add_co_ci_u32_e32 v22, vcc_lo, s31, v22, vcc_lo
	global_load_b64 v[23:24], v[21:22], off
	v_lshlrev_b64 v[21:22], 5, v[9:10]
	v_add_co_u32 v21, vcc_lo, s30, v21
	s_delay_alu instid0(VALU_DEP_2)
	v_add_co_ci_u32_e32 v22, vcc_lo, s31, v22, vcc_lo
	v_add_co_u32 v27, vcc_lo, s28, v19
	v_add_co_ci_u32_e32 v28, vcc_lo, s29, v20, vcc_lo
	global_load_b64 v[25:26], v[21:22], off
	v_or_b32_e32 v20, 0, v20
	v_or_b32_e32 v19, s37, v19
	global_load_b32 v29, v[27:28], off
	v_lshlrev_b64 v[19:20], 3, v[19:20]
	s_delay_alu instid0(VALU_DEP_1) | instskip(NEXT) | instid1(VALU_DEP_2)
	v_add_co_u32 v19, vcc_lo, s30, v19
	v_add_co_ci_u32_e32 v20, vcc_lo, s31, v20, vcc_lo
	s_clause 0x1
	global_load_b64 v[19:20], v[19:20], off
	global_load_b64 v[21:22], v[21:22], off offset:24
	s_waitcnt vmcnt(4)
	v_mul_f64 v[27:28], v[15:16], v[23:24]
	s_waitcnt vmcnt(2)
	v_subrev_nc_u32_e32 v34, s21, v29
	s_delay_alu instid0(VALU_DEP_1) | instskip(NEXT) | instid1(VALU_DEP_1)
	v_mul_lo_u32 v29, 0x89, v34
	v_and_b32_e32 v35, 0xff, v29
	s_delay_alu instid0(VALU_DEP_1)
	v_mov_b32_e32 v36, v35
	v_fma_f64 v[27:28], v[17:18], v[25:26], v[27:28]
	s_branch .LBB192_19
.LBB192_18:                             ;   in Loop: Header=BB192_19 Depth=3
	s_or_b32 exec_lo, exec_lo, s43
	s_xor_b32 s43, s44, -1
	s_delay_alu instid0(SALU_CYCLE_1) | instskip(NEXT) | instid1(SALU_CYCLE_1)
	s_and_b32 s43, exec_lo, s43
	s_or_b32 s42, s43, s42
	s_delay_alu instid0(SALU_CYCLE_1)
	s_and_not1_b32 exec_lo, exec_lo, s42
	s_cbranch_execz .LBB192_33
.LBB192_19:                             ;   Parent Loop BB192_14 Depth=1
                                        ;     Parent Loop BB192_17 Depth=2
                                        ; =>    This Loop Header: Depth=3
                                        ;         Child Loop BB192_25 Depth 4
                                        ;         Child Loop BB192_31 Depth 4
	s_delay_alu instid0(VALU_DEP_2)
	v_lshl_add_u32 v29, v36, 2, 0
	s_mov_b32 s43, exec_lo
                                        ; implicit-def: $sgpr44
	ds_load_b32 v30, v29
	s_waitcnt lgkmcnt(0)
	v_cmpx_ne_u32_e64 v30, v34
	s_xor_b32 s43, exec_lo, s43
	s_cbranch_execz .LBB192_29
; %bb.20:                               ;   in Loop: Header=BB192_19 Depth=3
	s_mov_b32 s45, exec_lo
                                        ; implicit-def: $sgpr44
	v_cmpx_ne_u32_e64 s33, v30
	s_xor_b32 s45, exec_lo, s45
; %bb.21:                               ;   in Loop: Header=BB192_19 Depth=3
	v_add_nc_u32_e32 v29, 1, v36
	s_mov_b32 s44, -1
	s_delay_alu instid0(VALU_DEP_1)
	v_and_b32_e32 v36, 0xff, v29
                                        ; implicit-def: $vgpr29
; %bb.22:                               ;   in Loop: Header=BB192_19 Depth=3
	s_and_not1_saveexec_b32 s45, s45
	s_cbranch_execz .LBB192_28
; %bb.23:                               ;   in Loop: Header=BB192_19 Depth=3
	v_mov_b32_e32 v30, s33
	s_mov_b32 s47, -1
	s_mov_b32 s46, exec_lo
	ds_cmpstore_rtn_b32 v30, v29, v34, v30
	s_waitcnt lgkmcnt(0)
	v_cmpx_eq_u32_e64 s33, v30
	s_cbranch_execz .LBB192_27
; %bb.24:                               ;   in Loop: Header=BB192_19 Depth=3
	v_mul_lo_u32 v30, v36, 28
	s_mov_b32 s47, 0
	s_delay_alu instid0(VALU_DEP_1)
	v_add_nc_u32_e32 v37, v29, v30
	ds_load_b64 v[29:30], v37 offset:1024
.LBB192_25:                             ;   Parent Loop BB192_14 Depth=1
                                        ;     Parent Loop BB192_17 Depth=2
                                        ;       Parent Loop BB192_19 Depth=3
                                        ; =>      This Inner Loop Header: Depth=4
	s_waitcnt lgkmcnt(0)
	v_add_f64 v[38:39], v[29:30], v[27:28]
	ds_cmpstore_rtn_b64 v[38:39], v37, v[38:39], v[29:30] offset:1024
	s_waitcnt lgkmcnt(0)
	v_cmp_eq_u64_e32 vcc_lo, v[38:39], v[29:30]
	v_dual_mov_b32 v29, v38 :: v_dual_mov_b32 v30, v39
	s_or_b32 s47, vcc_lo, s47
	s_delay_alu instid0(SALU_CYCLE_1)
	s_and_not1_b32 exec_lo, exec_lo, s47
	s_cbranch_execnz .LBB192_25
; %bb.26:                               ;   in Loop: Header=BB192_19 Depth=3
	s_or_b32 exec_lo, exec_lo, s47
	s_delay_alu instid0(SALU_CYCLE_1)
	s_xor_b32 s47, exec_lo, -1
.LBB192_27:                             ;   in Loop: Header=BB192_19 Depth=3
	s_or_b32 exec_lo, exec_lo, s46
	s_delay_alu instid0(SALU_CYCLE_1) | instskip(SKIP_1) | instid1(SALU_CYCLE_1)
	s_and_not1_b32 s44, s44, exec_lo
	s_and_b32 s46, s47, exec_lo
	s_or_b32 s44, s44, s46
.LBB192_28:                             ;   in Loop: Header=BB192_19 Depth=3
	s_or_b32 exec_lo, exec_lo, s45
	s_delay_alu instid0(SALU_CYCLE_1)
	s_and_b32 s44, s44, exec_lo
                                        ; implicit-def: $vgpr29
.LBB192_29:                             ;   in Loop: Header=BB192_19 Depth=3
	s_and_not1_saveexec_b32 s43, s43
	s_cbranch_execz .LBB192_18
; %bb.30:                               ;   in Loop: Header=BB192_19 Depth=3
	v_mul_lo_u32 v30, v36, 28
	s_mov_b32 s45, 0
	s_delay_alu instid0(VALU_DEP_1)
	v_add_nc_u32_e32 v37, v29, v30
	ds_load_b64 v[29:30], v37 offset:1024
.LBB192_31:                             ;   Parent Loop BB192_14 Depth=1
                                        ;     Parent Loop BB192_17 Depth=2
                                        ;       Parent Loop BB192_19 Depth=3
                                        ; =>      This Inner Loop Header: Depth=4
	s_waitcnt lgkmcnt(0)
	v_add_f64 v[38:39], v[29:30], v[27:28]
	ds_cmpstore_rtn_b64 v[38:39], v37, v[38:39], v[29:30] offset:1024
	s_waitcnt lgkmcnt(0)
	v_cmp_eq_u64_e32 vcc_lo, v[38:39], v[29:30]
	v_dual_mov_b32 v29, v38 :: v_dual_mov_b32 v30, v39
	s_or_b32 s45, vcc_lo, s45
	s_delay_alu instid0(SALU_CYCLE_1)
	s_and_not1_b32 exec_lo, exec_lo, s45
	s_cbranch_execnz .LBB192_31
; %bb.32:                               ;   in Loop: Header=BB192_19 Depth=3
	s_or_b32 exec_lo, exec_lo, s45
	s_delay_alu instid0(SALU_CYCLE_1)
	s_and_not1_b32 s44, s44, exec_lo
	s_branch .LBB192_18
.LBB192_33:                             ;   in Loop: Header=BB192_17 Depth=2
	s_or_b32 exec_lo, exec_lo, s42
	s_waitcnt vmcnt(0)
	v_mul_f64 v[27:28], v[15:16], v[21:22]
	v_mov_b32_e32 v36, v35
	s_mov_b32 s42, 0
	s_delay_alu instid0(VALU_DEP_2)
	v_fma_f64 v[27:28], v[17:18], v[19:20], v[27:28]
	s_branch .LBB192_35
.LBB192_34:                             ;   in Loop: Header=BB192_35 Depth=3
	s_or_b32 exec_lo, exec_lo, s43
	s_xor_b32 s43, s44, -1
	s_delay_alu instid0(SALU_CYCLE_1) | instskip(NEXT) | instid1(SALU_CYCLE_1)
	s_and_b32 s43, exec_lo, s43
	s_or_b32 s42, s43, s42
	s_delay_alu instid0(SALU_CYCLE_1)
	s_and_not1_b32 exec_lo, exec_lo, s42
	s_cbranch_execz .LBB192_49
.LBB192_35:                             ;   Parent Loop BB192_14 Depth=1
                                        ;     Parent Loop BB192_17 Depth=2
                                        ; =>    This Loop Header: Depth=3
                                        ;         Child Loop BB192_41 Depth 4
                                        ;         Child Loop BB192_47 Depth 4
	s_delay_alu instid0(VALU_DEP_2)
	v_lshl_add_u32 v29, v36, 2, 0
	s_mov_b32 s43, exec_lo
                                        ; implicit-def: $sgpr44
	ds_load_b32 v30, v29
	s_waitcnt lgkmcnt(0)
	v_cmpx_ne_u32_e64 v30, v34
	s_xor_b32 s43, exec_lo, s43
	s_cbranch_execz .LBB192_45
; %bb.36:                               ;   in Loop: Header=BB192_35 Depth=3
	s_mov_b32 s45, exec_lo
                                        ; implicit-def: $sgpr44
	v_cmpx_ne_u32_e64 s33, v30
	s_xor_b32 s45, exec_lo, s45
; %bb.37:                               ;   in Loop: Header=BB192_35 Depth=3
	v_add_nc_u32_e32 v29, 1, v36
	s_mov_b32 s44, -1
	s_delay_alu instid0(VALU_DEP_1)
	v_and_b32_e32 v36, 0xff, v29
                                        ; implicit-def: $vgpr29
; %bb.38:                               ;   in Loop: Header=BB192_35 Depth=3
	s_and_not1_saveexec_b32 s45, s45
	s_cbranch_execz .LBB192_44
; %bb.39:                               ;   in Loop: Header=BB192_35 Depth=3
	v_mov_b32_e32 v30, s33
	s_mov_b32 s47, -1
	s_mov_b32 s46, exec_lo
	ds_cmpstore_rtn_b32 v30, v29, v34, v30
	s_waitcnt lgkmcnt(0)
	v_cmpx_eq_u32_e64 s33, v30
	s_cbranch_execz .LBB192_43
; %bb.40:                               ;   in Loop: Header=BB192_35 Depth=3
	v_mul_lo_u32 v30, v36, 28
	s_mov_b32 s47, 0
	s_delay_alu instid0(VALU_DEP_1)
	v_add_nc_u32_e32 v37, v29, v30
	ds_load_b64 v[29:30], v37 offset:1032
.LBB192_41:                             ;   Parent Loop BB192_14 Depth=1
                                        ;     Parent Loop BB192_17 Depth=2
                                        ;       Parent Loop BB192_35 Depth=3
                                        ; =>      This Inner Loop Header: Depth=4
	s_waitcnt lgkmcnt(0)
	v_add_f64 v[38:39], v[29:30], v[27:28]
	ds_cmpstore_rtn_b64 v[38:39], v37, v[38:39], v[29:30] offset:1032
	s_waitcnt lgkmcnt(0)
	v_cmp_eq_u64_e32 vcc_lo, v[38:39], v[29:30]
	v_dual_mov_b32 v29, v38 :: v_dual_mov_b32 v30, v39
	s_or_b32 s47, vcc_lo, s47
	s_delay_alu instid0(SALU_CYCLE_1)
	s_and_not1_b32 exec_lo, exec_lo, s47
	s_cbranch_execnz .LBB192_41
; %bb.42:                               ;   in Loop: Header=BB192_35 Depth=3
	s_or_b32 exec_lo, exec_lo, s47
	s_delay_alu instid0(SALU_CYCLE_1)
	s_xor_b32 s47, exec_lo, -1
.LBB192_43:                             ;   in Loop: Header=BB192_35 Depth=3
	s_or_b32 exec_lo, exec_lo, s46
	s_delay_alu instid0(SALU_CYCLE_1) | instskip(SKIP_1) | instid1(SALU_CYCLE_1)
	s_and_not1_b32 s44, s44, exec_lo
	s_and_b32 s46, s47, exec_lo
	s_or_b32 s44, s44, s46
.LBB192_44:                             ;   in Loop: Header=BB192_35 Depth=3
	s_or_b32 exec_lo, exec_lo, s45
	s_delay_alu instid0(SALU_CYCLE_1)
	s_and_b32 s44, s44, exec_lo
                                        ; implicit-def: $vgpr29
.LBB192_45:                             ;   in Loop: Header=BB192_35 Depth=3
	s_and_not1_saveexec_b32 s43, s43
	s_cbranch_execz .LBB192_34
; %bb.46:                               ;   in Loop: Header=BB192_35 Depth=3
	v_mul_lo_u32 v30, v36, 28
	s_mov_b32 s45, 0
	s_delay_alu instid0(VALU_DEP_1)
	v_add_nc_u32_e32 v37, v29, v30
	ds_load_b64 v[29:30], v37 offset:1032
.LBB192_47:                             ;   Parent Loop BB192_14 Depth=1
                                        ;     Parent Loop BB192_17 Depth=2
                                        ;       Parent Loop BB192_35 Depth=3
                                        ; =>      This Inner Loop Header: Depth=4
	s_waitcnt lgkmcnt(0)
	v_add_f64 v[38:39], v[29:30], v[27:28]
	ds_cmpstore_rtn_b64 v[38:39], v37, v[38:39], v[29:30] offset:1032
	s_waitcnt lgkmcnt(0)
	v_cmp_eq_u64_e32 vcc_lo, v[38:39], v[29:30]
	v_dual_mov_b32 v29, v38 :: v_dual_mov_b32 v30, v39
	s_or_b32 s45, vcc_lo, s45
	s_delay_alu instid0(SALU_CYCLE_1)
	s_and_not1_b32 exec_lo, exec_lo, s45
	s_cbranch_execnz .LBB192_47
; %bb.48:                               ;   in Loop: Header=BB192_35 Depth=3
	s_or_b32 exec_lo, exec_lo, s45
	s_delay_alu instid0(SALU_CYCLE_1)
	s_and_not1_b32 s44, s44, exec_lo
	s_branch .LBB192_34
.LBB192_49:                             ;   in Loop: Header=BB192_17 Depth=2
	s_or_b32 exec_lo, exec_lo, s42
	v_mul_f64 v[23:24], v[11:12], v[23:24]
	v_mov_b32_e32 v27, v35
	s_mov_b32 s42, 0
	s_delay_alu instid0(VALU_DEP_2)
	v_fma_f64 v[23:24], v[13:14], v[25:26], v[23:24]
	s_branch .LBB192_51
.LBB192_50:                             ;   in Loop: Header=BB192_51 Depth=3
	s_or_b32 exec_lo, exec_lo, s43
	s_xor_b32 s43, s44, -1
	s_delay_alu instid0(SALU_CYCLE_1) | instskip(NEXT) | instid1(SALU_CYCLE_1)
	s_and_b32 s43, exec_lo, s43
	s_or_b32 s42, s43, s42
	s_delay_alu instid0(SALU_CYCLE_1)
	s_and_not1_b32 exec_lo, exec_lo, s42
	s_cbranch_execz .LBB192_65
.LBB192_51:                             ;   Parent Loop BB192_14 Depth=1
                                        ;     Parent Loop BB192_17 Depth=2
                                        ; =>    This Loop Header: Depth=3
                                        ;         Child Loop BB192_57 Depth 4
                                        ;         Child Loop BB192_63 Depth 4
	s_delay_alu instid0(VALU_DEP_2)
	v_lshl_add_u32 v25, v27, 2, 0
	s_mov_b32 s43, exec_lo
                                        ; implicit-def: $sgpr44
	ds_load_b32 v26, v25
	s_waitcnt lgkmcnt(0)
	v_cmpx_ne_u32_e64 v26, v34
	s_xor_b32 s43, exec_lo, s43
	s_cbranch_execz .LBB192_61
; %bb.52:                               ;   in Loop: Header=BB192_51 Depth=3
	s_mov_b32 s45, exec_lo
                                        ; implicit-def: $sgpr44
	v_cmpx_ne_u32_e64 s33, v26
	s_xor_b32 s45, exec_lo, s45
; %bb.53:                               ;   in Loop: Header=BB192_51 Depth=3
	v_add_nc_u32_e32 v25, 1, v27
	s_mov_b32 s44, -1
	s_delay_alu instid0(VALU_DEP_1)
	v_and_b32_e32 v27, 0xff, v25
                                        ; implicit-def: $vgpr25
; %bb.54:                               ;   in Loop: Header=BB192_51 Depth=3
	s_and_not1_saveexec_b32 s45, s45
	s_cbranch_execz .LBB192_60
; %bb.55:                               ;   in Loop: Header=BB192_51 Depth=3
	v_mov_b32_e32 v26, s33
	s_mov_b32 s47, -1
	s_mov_b32 s46, exec_lo
	ds_cmpstore_rtn_b32 v26, v25, v34, v26
	s_waitcnt lgkmcnt(0)
	v_cmpx_eq_u32_e64 s33, v26
	s_cbranch_execz .LBB192_59
; %bb.56:                               ;   in Loop: Header=BB192_51 Depth=3
	v_mul_lo_u32 v26, v27, 28
	s_mov_b32 s47, 0
	s_delay_alu instid0(VALU_DEP_1)
	v_add_nc_u32_e32 v28, v25, v26
	ds_load_b64 v[25:26], v28 offset:1040
.LBB192_57:                             ;   Parent Loop BB192_14 Depth=1
                                        ;     Parent Loop BB192_17 Depth=2
                                        ;       Parent Loop BB192_51 Depth=3
                                        ; =>      This Inner Loop Header: Depth=4
	s_waitcnt lgkmcnt(0)
	v_add_f64 v[29:30], v[25:26], v[23:24]
	ds_cmpstore_rtn_b64 v[29:30], v28, v[29:30], v[25:26] offset:1040
	s_waitcnt lgkmcnt(0)
	v_cmp_eq_u64_e32 vcc_lo, v[29:30], v[25:26]
	v_dual_mov_b32 v25, v29 :: v_dual_mov_b32 v26, v30
	s_or_b32 s47, vcc_lo, s47
	s_delay_alu instid0(SALU_CYCLE_1)
	s_and_not1_b32 exec_lo, exec_lo, s47
	s_cbranch_execnz .LBB192_57
; %bb.58:                               ;   in Loop: Header=BB192_51 Depth=3
	s_or_b32 exec_lo, exec_lo, s47
	s_delay_alu instid0(SALU_CYCLE_1)
	s_xor_b32 s47, exec_lo, -1
.LBB192_59:                             ;   in Loop: Header=BB192_51 Depth=3
	s_or_b32 exec_lo, exec_lo, s46
	s_delay_alu instid0(SALU_CYCLE_1) | instskip(SKIP_1) | instid1(SALU_CYCLE_1)
	s_and_not1_b32 s44, s44, exec_lo
	s_and_b32 s46, s47, exec_lo
	s_or_b32 s44, s44, s46
.LBB192_60:                             ;   in Loop: Header=BB192_51 Depth=3
	s_or_b32 exec_lo, exec_lo, s45
	s_delay_alu instid0(SALU_CYCLE_1)
	s_and_b32 s44, s44, exec_lo
                                        ; implicit-def: $vgpr25
.LBB192_61:                             ;   in Loop: Header=BB192_51 Depth=3
	s_and_not1_saveexec_b32 s43, s43
	s_cbranch_execz .LBB192_50
; %bb.62:                               ;   in Loop: Header=BB192_51 Depth=3
	v_mul_lo_u32 v26, v27, 28
	s_mov_b32 s45, 0
	s_delay_alu instid0(VALU_DEP_1)
	v_add_nc_u32_e32 v28, v25, v26
	ds_load_b64 v[25:26], v28 offset:1040
.LBB192_63:                             ;   Parent Loop BB192_14 Depth=1
                                        ;     Parent Loop BB192_17 Depth=2
                                        ;       Parent Loop BB192_51 Depth=3
                                        ; =>      This Inner Loop Header: Depth=4
	s_waitcnt lgkmcnt(0)
	v_add_f64 v[29:30], v[25:26], v[23:24]
	ds_cmpstore_rtn_b64 v[29:30], v28, v[29:30], v[25:26] offset:1040
	s_waitcnt lgkmcnt(0)
	v_cmp_eq_u64_e32 vcc_lo, v[29:30], v[25:26]
	v_dual_mov_b32 v25, v29 :: v_dual_mov_b32 v26, v30
	s_or_b32 s45, vcc_lo, s45
	s_delay_alu instid0(SALU_CYCLE_1)
	s_and_not1_b32 exec_lo, exec_lo, s45
	s_cbranch_execnz .LBB192_63
; %bb.64:                               ;   in Loop: Header=BB192_51 Depth=3
	s_or_b32 exec_lo, exec_lo, s45
	s_delay_alu instid0(SALU_CYCLE_1)
	s_and_not1_b32 s44, s44, exec_lo
	s_branch .LBB192_50
.LBB192_65:                             ;   in Loop: Header=BB192_17 Depth=2
	s_or_b32 exec_lo, exec_lo, s42
	v_mul_f64 v[21:22], v[11:12], v[21:22]
	s_mov_b32 s42, 0
	s_delay_alu instid0(VALU_DEP_1)
	v_fma_f64 v[19:20], v[13:14], v[19:20], v[21:22]
	s_branch .LBB192_67
.LBB192_66:                             ;   in Loop: Header=BB192_67 Depth=3
	s_or_b32 exec_lo, exec_lo, s43
	s_xor_b32 s43, s44, -1
	s_delay_alu instid0(SALU_CYCLE_1) | instskip(NEXT) | instid1(SALU_CYCLE_1)
	s_and_b32 s43, exec_lo, s43
	s_or_b32 s42, s43, s42
	s_delay_alu instid0(SALU_CYCLE_1)
	s_and_not1_b32 exec_lo, exec_lo, s42
	s_cbranch_execz .LBB192_16
.LBB192_67:                             ;   Parent Loop BB192_14 Depth=1
                                        ;     Parent Loop BB192_17 Depth=2
                                        ; =>    This Loop Header: Depth=3
                                        ;         Child Loop BB192_73 Depth 4
                                        ;         Child Loop BB192_79 Depth 4
	v_lshl_add_u32 v21, v35, 2, 0
	s_mov_b32 s43, exec_lo
                                        ; implicit-def: $sgpr44
	ds_load_b32 v22, v21
	s_waitcnt lgkmcnt(0)
	v_cmpx_ne_u32_e64 v22, v34
	s_xor_b32 s43, exec_lo, s43
	s_cbranch_execz .LBB192_77
; %bb.68:                               ;   in Loop: Header=BB192_67 Depth=3
	s_mov_b32 s45, exec_lo
                                        ; implicit-def: $sgpr44
	v_cmpx_ne_u32_e64 s33, v22
	s_xor_b32 s45, exec_lo, s45
; %bb.69:                               ;   in Loop: Header=BB192_67 Depth=3
	v_add_nc_u32_e32 v21, 1, v35
	s_mov_b32 s44, -1
	s_delay_alu instid0(VALU_DEP_1)
	v_and_b32_e32 v35, 0xff, v21
                                        ; implicit-def: $vgpr21
; %bb.70:                               ;   in Loop: Header=BB192_67 Depth=3
	s_and_not1_saveexec_b32 s45, s45
	s_cbranch_execz .LBB192_76
; %bb.71:                               ;   in Loop: Header=BB192_67 Depth=3
	v_mov_b32_e32 v22, s33
	s_mov_b32 s47, -1
	s_mov_b32 s46, exec_lo
	ds_cmpstore_rtn_b32 v22, v21, v34, v22
	s_waitcnt lgkmcnt(0)
	v_cmpx_eq_u32_e64 s33, v22
	s_cbranch_execz .LBB192_75
; %bb.72:                               ;   in Loop: Header=BB192_67 Depth=3
	v_mul_lo_u32 v22, v35, 28
	s_mov_b32 s47, 0
	s_delay_alu instid0(VALU_DEP_1)
	v_add_nc_u32_e32 v23, v21, v22
	ds_load_b64 v[21:22], v23 offset:1048
.LBB192_73:                             ;   Parent Loop BB192_14 Depth=1
                                        ;     Parent Loop BB192_17 Depth=2
                                        ;       Parent Loop BB192_67 Depth=3
                                        ; =>      This Inner Loop Header: Depth=4
	s_waitcnt lgkmcnt(0)
	v_add_f64 v[24:25], v[21:22], v[19:20]
	ds_cmpstore_rtn_b64 v[24:25], v23, v[24:25], v[21:22] offset:1048
	s_waitcnt lgkmcnt(0)
	v_cmp_eq_u64_e32 vcc_lo, v[24:25], v[21:22]
	v_dual_mov_b32 v21, v24 :: v_dual_mov_b32 v22, v25
	s_or_b32 s47, vcc_lo, s47
	s_delay_alu instid0(SALU_CYCLE_1)
	s_and_not1_b32 exec_lo, exec_lo, s47
	s_cbranch_execnz .LBB192_73
; %bb.74:                               ;   in Loop: Header=BB192_67 Depth=3
	s_or_b32 exec_lo, exec_lo, s47
	s_delay_alu instid0(SALU_CYCLE_1)
	s_xor_b32 s47, exec_lo, -1
.LBB192_75:                             ;   in Loop: Header=BB192_67 Depth=3
	s_or_b32 exec_lo, exec_lo, s46
	s_delay_alu instid0(SALU_CYCLE_1) | instskip(SKIP_1) | instid1(SALU_CYCLE_1)
	s_and_not1_b32 s44, s44, exec_lo
	s_and_b32 s46, s47, exec_lo
	s_or_b32 s44, s44, s46
.LBB192_76:                             ;   in Loop: Header=BB192_67 Depth=3
	s_or_b32 exec_lo, exec_lo, s45
	s_delay_alu instid0(SALU_CYCLE_1)
	s_and_b32 s44, s44, exec_lo
                                        ; implicit-def: $vgpr21
.LBB192_77:                             ;   in Loop: Header=BB192_67 Depth=3
	s_and_not1_saveexec_b32 s43, s43
	s_cbranch_execz .LBB192_66
; %bb.78:                               ;   in Loop: Header=BB192_67 Depth=3
	v_mul_lo_u32 v22, v35, 28
	s_mov_b32 s45, 0
	s_delay_alu instid0(VALU_DEP_1)
	v_add_nc_u32_e32 v23, v21, v22
	ds_load_b64 v[21:22], v23 offset:1048
.LBB192_79:                             ;   Parent Loop BB192_14 Depth=1
                                        ;     Parent Loop BB192_17 Depth=2
                                        ;       Parent Loop BB192_67 Depth=3
                                        ; =>      This Inner Loop Header: Depth=4
	s_waitcnt lgkmcnt(0)
	v_add_f64 v[24:25], v[21:22], v[19:20]
	ds_cmpstore_rtn_b64 v[24:25], v23, v[24:25], v[21:22] offset:1048
	s_waitcnt lgkmcnt(0)
	v_cmp_eq_u64_e32 vcc_lo, v[24:25], v[21:22]
	v_dual_mov_b32 v21, v24 :: v_dual_mov_b32 v22, v25
	s_or_b32 s45, vcc_lo, s45
	s_delay_alu instid0(SALU_CYCLE_1)
	s_and_not1_b32 exec_lo, exec_lo, s45
	s_cbranch_execnz .LBB192_79
; %bb.80:                               ;   in Loop: Header=BB192_67 Depth=3
	s_or_b32 exec_lo, exec_lo, s45
	s_delay_alu instid0(SALU_CYCLE_1)
	s_and_not1_b32 s44, s44, exec_lo
	s_branch .LBB192_66
.LBB192_81:
	s_or_b32 exec_lo, exec_lo, s12
.LBB192_82:
	s_delay_alu instid0(SALU_CYCLE_1)
	s_and_not1_b32 vcc_lo, exec_lo, s40
	s_barrier
	buffer_gl0_inv
	s_cbranch_vccnz .LBB192_151
; %bb.83:
	s_lshl_b64 s[0:1], s[34:35], 3
	s_delay_alu instid0(SALU_CYCLE_1) | instskip(SKIP_4) | instid1(VALU_DEP_1)
	s_add_u32 s0, s4, s0
	s_addc_u32 s1, s5, s1
	s_mov_b32 s5, 0
	s_load_b128 s[12:15], s[0:1], 0x0
	v_sub_co_u32 v3, s0, v0, s23
	v_sub_co_ci_u32_e64 v4, null, 0, 0, s0
	s_mov_b32 s4, exec_lo
	s_waitcnt lgkmcnt(0)
	s_delay_alu instid0(VALU_DEP_2) | instskip(NEXT) | instid1(VALU_DEP_2)
	v_add_co_u32 v3, vcc_lo, s12, v3
	v_add_co_ci_u32_e32 v4, vcc_lo, s13, v4, vcc_lo
	s_sub_u32 s0, s14, s23
	s_subb_u32 s1, s15, 0
	s_delay_alu instid0(VALU_DEP_1) | instid1(SALU_CYCLE_1)
	v_cmpx_gt_i64_e64 s[0:1], v[3:4]
	s_cbranch_execz .LBB192_150
; %bb.84:
	s_cmp_eq_u32 s3, 0
	s_cselect_b32 s12, 1, 2
	s_cselect_b32 s13, 2, 1
	s_branch .LBB192_86
.LBB192_85:                             ;   in Loop: Header=BB192_86 Depth=1
	s_or_b32 exec_lo, exec_lo, s14
	v_add_co_u32 v3, vcc_lo, 0x100, v3
	v_add_co_ci_u32_e32 v4, vcc_lo, 0, v4, vcc_lo
	s_delay_alu instid0(VALU_DEP_1) | instskip(SKIP_1) | instid1(SALU_CYCLE_1)
	v_cmp_le_i64_e32 vcc_lo, s[0:1], v[3:4]
	s_or_b32 s5, vcc_lo, s5
	s_and_not1_b32 exec_lo, exec_lo, s5
	s_cbranch_execz .LBB192_150
.LBB192_86:                             ; =>This Loop Header: Depth=1
                                        ;     Child Loop BB192_88 Depth 2
                                        ;       Child Loop BB192_94 Depth 3
                                        ;       Child Loop BB192_100 Depth 3
                                        ;     Child Loop BB192_104 Depth 2
                                        ;       Child Loop BB192_110 Depth 3
                                        ;       Child Loop BB192_116 Depth 3
	;; [unrolled: 3-line block ×4, first 2 shown]
	v_lshlrev_b64 v[5:6], 5, v[3:4]
	v_lshlrev_b64 v[7:8], 2, v[3:4]
	s_mov_b32 s14, 0
	s_delay_alu instid0(VALU_DEP_2) | instskip(NEXT) | instid1(VALU_DEP_3)
	v_add_co_u32 v5, vcc_lo, s8, v5
	v_add_co_ci_u32_e32 v6, vcc_lo, s9, v6, vcc_lo
	s_delay_alu instid0(VALU_DEP_3) | instskip(NEXT) | instid1(VALU_DEP_4)
	v_add_co_u32 v9, vcc_lo, s6, v7
	v_add_co_ci_u32_e32 v10, vcc_lo, s7, v8, vcc_lo
	global_load_b64 v[11:12], v[5:6], off
	v_or_b32_e32 v14, 0, v8
	v_or_b32_e32 v13, s13, v7
	global_load_b32 v15, v[9:10], off
	v_or_b32_e32 v8, 0, v8
	v_or_b32_e32 v7, s12, v7
	v_lshlrev_b64 v[9:10], 3, v[13:14]
	s_delay_alu instid0(VALU_DEP_2) | instskip(NEXT) | instid1(VALU_DEP_2)
	v_lshlrev_b64 v[7:8], 3, v[7:8]
	v_add_co_u32 v9, vcc_lo, s8, v9
	s_delay_alu instid0(VALU_DEP_3) | instskip(NEXT) | instid1(VALU_DEP_3)
	v_add_co_ci_u32_e32 v10, vcc_lo, s9, v10, vcc_lo
	v_add_co_u32 v13, vcc_lo, s8, v7
	s_delay_alu instid0(VALU_DEP_4)
	v_add_co_ci_u32_e32 v14, vcc_lo, s9, v8, vcc_lo
	s_clause 0x2
	global_load_b64 v[7:8], v[9:10], off
	global_load_b64 v[9:10], v[13:14], off
	global_load_b64 v[5:6], v[5:6], off offset:24
	s_waitcnt vmcnt(4)
	v_mul_f64 v[11:12], v[1:2], v[11:12]
	s_waitcnt vmcnt(3)
	v_subrev_nc_u32_e32 v15, s23, v15
	s_delay_alu instid0(VALU_DEP_1) | instskip(NEXT) | instid1(VALU_DEP_1)
	v_mul_lo_u32 v13, 0x89, v15
	v_and_b32_e32 v16, 0xff, v13
	s_delay_alu instid0(VALU_DEP_1)
	v_mov_b32_e32 v17, v16
	s_branch .LBB192_88
.LBB192_87:                             ;   in Loop: Header=BB192_88 Depth=2
	s_or_b32 exec_lo, exec_lo, s15
	s_xor_b32 s15, s16, -1
	s_delay_alu instid0(SALU_CYCLE_1) | instskip(NEXT) | instid1(SALU_CYCLE_1)
	s_and_b32 s15, exec_lo, s15
	s_or_b32 s14, s15, s14
	s_delay_alu instid0(SALU_CYCLE_1)
	s_and_not1_b32 exec_lo, exec_lo, s14
	s_cbranch_execz .LBB192_102
.LBB192_88:                             ;   Parent Loop BB192_86 Depth=1
                                        ; =>  This Loop Header: Depth=2
                                        ;       Child Loop BB192_94 Depth 3
                                        ;       Child Loop BB192_100 Depth 3
	s_delay_alu instid0(VALU_DEP_1)
	v_lshl_add_u32 v13, v17, 2, 0
	s_mov_b32 s15, exec_lo
                                        ; implicit-def: $sgpr16
	ds_load_b32 v14, v13
	s_waitcnt lgkmcnt(0)
	v_cmpx_ne_u32_e64 v14, v15
	s_xor_b32 s15, exec_lo, s15
	s_cbranch_execz .LBB192_98
; %bb.89:                               ;   in Loop: Header=BB192_88 Depth=2
	s_mov_b32 s17, exec_lo
                                        ; implicit-def: $sgpr16
	v_cmpx_ne_u32_e64 s33, v14
	s_xor_b32 s17, exec_lo, s17
; %bb.90:                               ;   in Loop: Header=BB192_88 Depth=2
	v_add_nc_u32_e32 v13, 1, v17
	s_mov_b32 s16, -1
	s_delay_alu instid0(VALU_DEP_1)
	v_and_b32_e32 v17, 0xff, v13
                                        ; implicit-def: $vgpr13
; %bb.91:                               ;   in Loop: Header=BB192_88 Depth=2
	s_and_not1_saveexec_b32 s17, s17
	s_cbranch_execz .LBB192_97
; %bb.92:                               ;   in Loop: Header=BB192_88 Depth=2
	v_mov_b32_e32 v14, s33
	s_mov_b32 s19, -1
	s_mov_b32 s18, exec_lo
	ds_cmpstore_rtn_b32 v14, v13, v15, v14
	s_waitcnt lgkmcnt(0)
	v_cmpx_eq_u32_e64 s33, v14
	s_cbranch_execz .LBB192_96
; %bb.93:                               ;   in Loop: Header=BB192_88 Depth=2
	v_mul_lo_u32 v14, v17, 28
	s_mov_b32 s19, 0
	s_delay_alu instid0(VALU_DEP_1)
	v_add_nc_u32_e32 v18, v13, v14
	ds_load_b64 v[13:14], v18 offset:1024
.LBB192_94:                             ;   Parent Loop BB192_86 Depth=1
                                        ;     Parent Loop BB192_88 Depth=2
                                        ; =>    This Inner Loop Header: Depth=3
	s_waitcnt lgkmcnt(0)
	v_add_f64 v[19:20], v[13:14], v[11:12]
	ds_cmpstore_rtn_b64 v[19:20], v18, v[19:20], v[13:14] offset:1024
	s_waitcnt lgkmcnt(0)
	v_cmp_eq_u64_e32 vcc_lo, v[19:20], v[13:14]
	v_dual_mov_b32 v13, v19 :: v_dual_mov_b32 v14, v20
	s_or_b32 s19, vcc_lo, s19
	s_delay_alu instid0(SALU_CYCLE_1)
	s_and_not1_b32 exec_lo, exec_lo, s19
	s_cbranch_execnz .LBB192_94
; %bb.95:                               ;   in Loop: Header=BB192_88 Depth=2
	s_or_b32 exec_lo, exec_lo, s19
	s_delay_alu instid0(SALU_CYCLE_1)
	s_xor_b32 s19, exec_lo, -1
.LBB192_96:                             ;   in Loop: Header=BB192_88 Depth=2
	s_or_b32 exec_lo, exec_lo, s18
	s_delay_alu instid0(SALU_CYCLE_1) | instskip(SKIP_1) | instid1(SALU_CYCLE_1)
	s_and_not1_b32 s16, s16, exec_lo
	s_and_b32 s18, s19, exec_lo
	s_or_b32 s16, s16, s18
.LBB192_97:                             ;   in Loop: Header=BB192_88 Depth=2
	s_or_b32 exec_lo, exec_lo, s17
	s_delay_alu instid0(SALU_CYCLE_1)
	s_and_b32 s16, s16, exec_lo
                                        ; implicit-def: $vgpr13
.LBB192_98:                             ;   in Loop: Header=BB192_88 Depth=2
	s_and_not1_saveexec_b32 s15, s15
	s_cbranch_execz .LBB192_87
; %bb.99:                               ;   in Loop: Header=BB192_88 Depth=2
	v_mul_lo_u32 v14, v17, 28
	s_mov_b32 s17, 0
	s_delay_alu instid0(VALU_DEP_1)
	v_add_nc_u32_e32 v18, v13, v14
	ds_load_b64 v[13:14], v18 offset:1024
.LBB192_100:                            ;   Parent Loop BB192_86 Depth=1
                                        ;     Parent Loop BB192_88 Depth=2
                                        ; =>    This Inner Loop Header: Depth=3
	s_waitcnt lgkmcnt(0)
	v_add_f64 v[19:20], v[13:14], v[11:12]
	ds_cmpstore_rtn_b64 v[19:20], v18, v[19:20], v[13:14] offset:1024
	s_waitcnt lgkmcnt(0)
	v_cmp_eq_u64_e32 vcc_lo, v[19:20], v[13:14]
	v_dual_mov_b32 v13, v19 :: v_dual_mov_b32 v14, v20
	s_or_b32 s17, vcc_lo, s17
	s_delay_alu instid0(SALU_CYCLE_1)
	s_and_not1_b32 exec_lo, exec_lo, s17
	s_cbranch_execnz .LBB192_100
; %bb.101:                              ;   in Loop: Header=BB192_88 Depth=2
	s_or_b32 exec_lo, exec_lo, s17
	s_delay_alu instid0(SALU_CYCLE_1)
	s_and_not1_b32 s16, s16, exec_lo
	s_branch .LBB192_87
.LBB192_102:                            ;   in Loop: Header=BB192_86 Depth=1
	s_or_b32 exec_lo, exec_lo, s14
	s_waitcnt vmcnt(1)
	v_mul_f64 v[9:10], v[1:2], v[9:10]
	v_mov_b32_e32 v13, v16
	s_mov_b32 s14, 0
	s_branch .LBB192_104
.LBB192_103:                            ;   in Loop: Header=BB192_104 Depth=2
	s_or_b32 exec_lo, exec_lo, s15
	s_xor_b32 s15, s16, -1
	s_delay_alu instid0(SALU_CYCLE_1) | instskip(NEXT) | instid1(SALU_CYCLE_1)
	s_and_b32 s15, exec_lo, s15
	s_or_b32 s14, s15, s14
	s_delay_alu instid0(SALU_CYCLE_1)
	s_and_not1_b32 exec_lo, exec_lo, s14
	s_cbranch_execz .LBB192_118
.LBB192_104:                            ;   Parent Loop BB192_86 Depth=1
                                        ; =>  This Loop Header: Depth=2
                                        ;       Child Loop BB192_110 Depth 3
                                        ;       Child Loop BB192_116 Depth 3
	s_delay_alu instid0(VALU_DEP_1)
	v_lshl_add_u32 v11, v13, 2, 0
	s_mov_b32 s15, exec_lo
                                        ; implicit-def: $sgpr16
	ds_load_b32 v12, v11
	s_waitcnt lgkmcnt(0)
	v_cmpx_ne_u32_e64 v12, v15
	s_xor_b32 s15, exec_lo, s15
	s_cbranch_execz .LBB192_114
; %bb.105:                              ;   in Loop: Header=BB192_104 Depth=2
	s_mov_b32 s17, exec_lo
                                        ; implicit-def: $sgpr16
	v_cmpx_ne_u32_e64 s33, v12
	s_xor_b32 s17, exec_lo, s17
; %bb.106:                              ;   in Loop: Header=BB192_104 Depth=2
	v_add_nc_u32_e32 v11, 1, v13
	s_mov_b32 s16, -1
	s_delay_alu instid0(VALU_DEP_1)
	v_and_b32_e32 v13, 0xff, v11
                                        ; implicit-def: $vgpr11
; %bb.107:                              ;   in Loop: Header=BB192_104 Depth=2
	s_and_not1_saveexec_b32 s17, s17
	s_cbranch_execz .LBB192_113
; %bb.108:                              ;   in Loop: Header=BB192_104 Depth=2
	v_mov_b32_e32 v12, s33
	s_mov_b32 s19, -1
	s_mov_b32 s18, exec_lo
	ds_cmpstore_rtn_b32 v12, v11, v15, v12
	s_waitcnt lgkmcnt(0)
	v_cmpx_eq_u32_e64 s33, v12
	s_cbranch_execz .LBB192_112
; %bb.109:                              ;   in Loop: Header=BB192_104 Depth=2
	v_mul_lo_u32 v12, v13, 28
	s_mov_b32 s19, 0
	s_delay_alu instid0(VALU_DEP_1)
	v_add_nc_u32_e32 v14, v11, v12
	ds_load_b64 v[11:12], v14 offset:1032
.LBB192_110:                            ;   Parent Loop BB192_86 Depth=1
                                        ;     Parent Loop BB192_104 Depth=2
                                        ; =>    This Inner Loop Header: Depth=3
	s_waitcnt lgkmcnt(0)
	v_add_f64 v[17:18], v[11:12], v[9:10]
	ds_cmpstore_rtn_b64 v[17:18], v14, v[17:18], v[11:12] offset:1032
	s_waitcnt lgkmcnt(0)
	v_cmp_eq_u64_e32 vcc_lo, v[17:18], v[11:12]
	v_dual_mov_b32 v11, v17 :: v_dual_mov_b32 v12, v18
	s_or_b32 s19, vcc_lo, s19
	s_delay_alu instid0(SALU_CYCLE_1)
	s_and_not1_b32 exec_lo, exec_lo, s19
	s_cbranch_execnz .LBB192_110
; %bb.111:                              ;   in Loop: Header=BB192_104 Depth=2
	s_or_b32 exec_lo, exec_lo, s19
	s_delay_alu instid0(SALU_CYCLE_1)
	s_xor_b32 s19, exec_lo, -1
.LBB192_112:                            ;   in Loop: Header=BB192_104 Depth=2
	s_or_b32 exec_lo, exec_lo, s18
	s_delay_alu instid0(SALU_CYCLE_1) | instskip(SKIP_1) | instid1(SALU_CYCLE_1)
	s_and_not1_b32 s16, s16, exec_lo
	s_and_b32 s18, s19, exec_lo
	s_or_b32 s16, s16, s18
.LBB192_113:                            ;   in Loop: Header=BB192_104 Depth=2
	s_or_b32 exec_lo, exec_lo, s17
	s_delay_alu instid0(SALU_CYCLE_1)
	s_and_b32 s16, s16, exec_lo
                                        ; implicit-def: $vgpr11
.LBB192_114:                            ;   in Loop: Header=BB192_104 Depth=2
	s_and_not1_saveexec_b32 s15, s15
	s_cbranch_execz .LBB192_103
; %bb.115:                              ;   in Loop: Header=BB192_104 Depth=2
	v_mul_lo_u32 v12, v13, 28
	s_mov_b32 s17, 0
	s_delay_alu instid0(VALU_DEP_1)
	v_add_nc_u32_e32 v14, v11, v12
	ds_load_b64 v[11:12], v14 offset:1032
.LBB192_116:                            ;   Parent Loop BB192_86 Depth=1
                                        ;     Parent Loop BB192_104 Depth=2
                                        ; =>    This Inner Loop Header: Depth=3
	s_waitcnt lgkmcnt(0)
	v_add_f64 v[17:18], v[11:12], v[9:10]
	ds_cmpstore_rtn_b64 v[17:18], v14, v[17:18], v[11:12] offset:1032
	s_waitcnt lgkmcnt(0)
	v_cmp_eq_u64_e32 vcc_lo, v[17:18], v[11:12]
	v_dual_mov_b32 v11, v17 :: v_dual_mov_b32 v12, v18
	s_or_b32 s17, vcc_lo, s17
	s_delay_alu instid0(SALU_CYCLE_1)
	s_and_not1_b32 exec_lo, exec_lo, s17
	s_cbranch_execnz .LBB192_116
; %bb.117:                              ;   in Loop: Header=BB192_104 Depth=2
	s_or_b32 exec_lo, exec_lo, s17
	s_delay_alu instid0(SALU_CYCLE_1)
	s_and_not1_b32 s16, s16, exec_lo
	s_branch .LBB192_103
.LBB192_118:                            ;   in Loop: Header=BB192_86 Depth=1
	s_or_b32 exec_lo, exec_lo, s14
	v_mul_f64 v[7:8], v[1:2], v[7:8]
	v_mov_b32_e32 v11, v16
	s_mov_b32 s14, 0
	s_branch .LBB192_120
.LBB192_119:                            ;   in Loop: Header=BB192_120 Depth=2
	s_or_b32 exec_lo, exec_lo, s15
	s_xor_b32 s15, s16, -1
	s_delay_alu instid0(SALU_CYCLE_1) | instskip(NEXT) | instid1(SALU_CYCLE_1)
	s_and_b32 s15, exec_lo, s15
	s_or_b32 s14, s15, s14
	s_delay_alu instid0(SALU_CYCLE_1)
	s_and_not1_b32 exec_lo, exec_lo, s14
	s_cbranch_execz .LBB192_134
.LBB192_120:                            ;   Parent Loop BB192_86 Depth=1
                                        ; =>  This Loop Header: Depth=2
                                        ;       Child Loop BB192_126 Depth 3
                                        ;       Child Loop BB192_132 Depth 3
	s_delay_alu instid0(VALU_DEP_1)
	v_lshl_add_u32 v9, v11, 2, 0
	s_mov_b32 s15, exec_lo
                                        ; implicit-def: $sgpr16
	ds_load_b32 v10, v9
	s_waitcnt lgkmcnt(0)
	v_cmpx_ne_u32_e64 v10, v15
	s_xor_b32 s15, exec_lo, s15
	s_cbranch_execz .LBB192_130
; %bb.121:                              ;   in Loop: Header=BB192_120 Depth=2
	s_mov_b32 s17, exec_lo
                                        ; implicit-def: $sgpr16
	v_cmpx_ne_u32_e64 s33, v10
	s_xor_b32 s17, exec_lo, s17
; %bb.122:                              ;   in Loop: Header=BB192_120 Depth=2
	v_add_nc_u32_e32 v9, 1, v11
	s_mov_b32 s16, -1
	s_delay_alu instid0(VALU_DEP_1)
	v_and_b32_e32 v11, 0xff, v9
                                        ; implicit-def: $vgpr9
; %bb.123:                              ;   in Loop: Header=BB192_120 Depth=2
	s_and_not1_saveexec_b32 s17, s17
	s_cbranch_execz .LBB192_129
; %bb.124:                              ;   in Loop: Header=BB192_120 Depth=2
	v_mov_b32_e32 v10, s33
	s_mov_b32 s19, -1
	s_mov_b32 s18, exec_lo
	ds_cmpstore_rtn_b32 v10, v9, v15, v10
	s_waitcnt lgkmcnt(0)
	v_cmpx_eq_u32_e64 s33, v10
	s_cbranch_execz .LBB192_128
; %bb.125:                              ;   in Loop: Header=BB192_120 Depth=2
	v_mul_lo_u32 v10, v11, 28
	s_mov_b32 s19, 0
	s_delay_alu instid0(VALU_DEP_1)
	v_add_nc_u32_e32 v12, v9, v10
	ds_load_b64 v[9:10], v12 offset:1040
.LBB192_126:                            ;   Parent Loop BB192_86 Depth=1
                                        ;     Parent Loop BB192_120 Depth=2
                                        ; =>    This Inner Loop Header: Depth=3
	s_waitcnt lgkmcnt(0)
	v_add_f64 v[13:14], v[9:10], v[7:8]
	ds_cmpstore_rtn_b64 v[13:14], v12, v[13:14], v[9:10] offset:1040
	s_waitcnt lgkmcnt(0)
	v_cmp_eq_u64_e32 vcc_lo, v[13:14], v[9:10]
	v_dual_mov_b32 v9, v13 :: v_dual_mov_b32 v10, v14
	s_or_b32 s19, vcc_lo, s19
	s_delay_alu instid0(SALU_CYCLE_1)
	s_and_not1_b32 exec_lo, exec_lo, s19
	s_cbranch_execnz .LBB192_126
; %bb.127:                              ;   in Loop: Header=BB192_120 Depth=2
	s_or_b32 exec_lo, exec_lo, s19
	s_delay_alu instid0(SALU_CYCLE_1)
	s_xor_b32 s19, exec_lo, -1
.LBB192_128:                            ;   in Loop: Header=BB192_120 Depth=2
	s_or_b32 exec_lo, exec_lo, s18
	s_delay_alu instid0(SALU_CYCLE_1) | instskip(SKIP_1) | instid1(SALU_CYCLE_1)
	s_and_not1_b32 s16, s16, exec_lo
	s_and_b32 s18, s19, exec_lo
	s_or_b32 s16, s16, s18
.LBB192_129:                            ;   in Loop: Header=BB192_120 Depth=2
	s_or_b32 exec_lo, exec_lo, s17
	s_delay_alu instid0(SALU_CYCLE_1)
	s_and_b32 s16, s16, exec_lo
                                        ; implicit-def: $vgpr9
.LBB192_130:                            ;   in Loop: Header=BB192_120 Depth=2
	s_and_not1_saveexec_b32 s15, s15
	s_cbranch_execz .LBB192_119
; %bb.131:                              ;   in Loop: Header=BB192_120 Depth=2
	v_mul_lo_u32 v10, v11, 28
	s_mov_b32 s17, 0
	s_delay_alu instid0(VALU_DEP_1)
	v_add_nc_u32_e32 v12, v9, v10
	ds_load_b64 v[9:10], v12 offset:1040
.LBB192_132:                            ;   Parent Loop BB192_86 Depth=1
                                        ;     Parent Loop BB192_120 Depth=2
                                        ; =>    This Inner Loop Header: Depth=3
	s_waitcnt lgkmcnt(0)
	v_add_f64 v[13:14], v[9:10], v[7:8]
	ds_cmpstore_rtn_b64 v[13:14], v12, v[13:14], v[9:10] offset:1040
	s_waitcnt lgkmcnt(0)
	v_cmp_eq_u64_e32 vcc_lo, v[13:14], v[9:10]
	v_dual_mov_b32 v9, v13 :: v_dual_mov_b32 v10, v14
	s_or_b32 s17, vcc_lo, s17
	s_delay_alu instid0(SALU_CYCLE_1)
	s_and_not1_b32 exec_lo, exec_lo, s17
	s_cbranch_execnz .LBB192_132
; %bb.133:                              ;   in Loop: Header=BB192_120 Depth=2
	s_or_b32 exec_lo, exec_lo, s17
	s_delay_alu instid0(SALU_CYCLE_1)
	s_and_not1_b32 s16, s16, exec_lo
	s_branch .LBB192_119
.LBB192_134:                            ;   in Loop: Header=BB192_86 Depth=1
	s_or_b32 exec_lo, exec_lo, s14
	s_waitcnt vmcnt(0)
	v_mul_f64 v[5:6], v[1:2], v[5:6]
	s_mov_b32 s14, 0
	s_branch .LBB192_136
.LBB192_135:                            ;   in Loop: Header=BB192_136 Depth=2
	s_or_b32 exec_lo, exec_lo, s15
	s_xor_b32 s15, s16, -1
	s_delay_alu instid0(SALU_CYCLE_1) | instskip(NEXT) | instid1(SALU_CYCLE_1)
	s_and_b32 s15, exec_lo, s15
	s_or_b32 s14, s15, s14
	s_delay_alu instid0(SALU_CYCLE_1)
	s_and_not1_b32 exec_lo, exec_lo, s14
	s_cbranch_execz .LBB192_85
.LBB192_136:                            ;   Parent Loop BB192_86 Depth=1
                                        ; =>  This Loop Header: Depth=2
                                        ;       Child Loop BB192_142 Depth 3
                                        ;       Child Loop BB192_148 Depth 3
	v_lshl_add_u32 v7, v16, 2, 0
	s_mov_b32 s15, exec_lo
                                        ; implicit-def: $sgpr16
	ds_load_b32 v8, v7
	s_waitcnt lgkmcnt(0)
	v_cmpx_ne_u32_e64 v8, v15
	s_xor_b32 s15, exec_lo, s15
	s_cbranch_execz .LBB192_146
; %bb.137:                              ;   in Loop: Header=BB192_136 Depth=2
	s_mov_b32 s17, exec_lo
                                        ; implicit-def: $sgpr16
	v_cmpx_ne_u32_e64 s33, v8
	s_xor_b32 s17, exec_lo, s17
; %bb.138:                              ;   in Loop: Header=BB192_136 Depth=2
	v_add_nc_u32_e32 v7, 1, v16
	s_mov_b32 s16, -1
	s_delay_alu instid0(VALU_DEP_1)
	v_and_b32_e32 v16, 0xff, v7
                                        ; implicit-def: $vgpr7
; %bb.139:                              ;   in Loop: Header=BB192_136 Depth=2
	s_and_not1_saveexec_b32 s17, s17
	s_cbranch_execz .LBB192_145
; %bb.140:                              ;   in Loop: Header=BB192_136 Depth=2
	v_mov_b32_e32 v8, s33
	s_mov_b32 s19, -1
	s_mov_b32 s18, exec_lo
	ds_cmpstore_rtn_b32 v8, v7, v15, v8
	s_waitcnt lgkmcnt(0)
	v_cmpx_eq_u32_e64 s33, v8
	s_cbranch_execz .LBB192_144
; %bb.141:                              ;   in Loop: Header=BB192_136 Depth=2
	v_mul_lo_u32 v8, v16, 28
	s_mov_b32 s19, 0
	s_delay_alu instid0(VALU_DEP_1)
	v_add_nc_u32_e32 v9, v7, v8
	ds_load_b64 v[7:8], v9 offset:1048
.LBB192_142:                            ;   Parent Loop BB192_86 Depth=1
                                        ;     Parent Loop BB192_136 Depth=2
                                        ; =>    This Inner Loop Header: Depth=3
	s_waitcnt lgkmcnt(0)
	v_add_f64 v[10:11], v[7:8], v[5:6]
	ds_cmpstore_rtn_b64 v[10:11], v9, v[10:11], v[7:8] offset:1048
	s_waitcnt lgkmcnt(0)
	v_cmp_eq_u64_e32 vcc_lo, v[10:11], v[7:8]
	v_dual_mov_b32 v7, v10 :: v_dual_mov_b32 v8, v11
	s_or_b32 s19, vcc_lo, s19
	s_delay_alu instid0(SALU_CYCLE_1)
	s_and_not1_b32 exec_lo, exec_lo, s19
	s_cbranch_execnz .LBB192_142
; %bb.143:                              ;   in Loop: Header=BB192_136 Depth=2
	s_or_b32 exec_lo, exec_lo, s19
	s_delay_alu instid0(SALU_CYCLE_1)
	s_xor_b32 s19, exec_lo, -1
.LBB192_144:                            ;   in Loop: Header=BB192_136 Depth=2
	s_or_b32 exec_lo, exec_lo, s18
	s_delay_alu instid0(SALU_CYCLE_1) | instskip(SKIP_1) | instid1(SALU_CYCLE_1)
	s_and_not1_b32 s16, s16, exec_lo
	s_and_b32 s18, s19, exec_lo
	s_or_b32 s16, s16, s18
.LBB192_145:                            ;   in Loop: Header=BB192_136 Depth=2
	s_or_b32 exec_lo, exec_lo, s17
	s_delay_alu instid0(SALU_CYCLE_1)
	s_and_b32 s16, s16, exec_lo
                                        ; implicit-def: $vgpr7
.LBB192_146:                            ;   in Loop: Header=BB192_136 Depth=2
	s_and_not1_saveexec_b32 s15, s15
	s_cbranch_execz .LBB192_135
; %bb.147:                              ;   in Loop: Header=BB192_136 Depth=2
	v_mul_lo_u32 v8, v16, 28
	s_mov_b32 s17, 0
	s_delay_alu instid0(VALU_DEP_1)
	v_add_nc_u32_e32 v9, v7, v8
	ds_load_b64 v[7:8], v9 offset:1048
.LBB192_148:                            ;   Parent Loop BB192_86 Depth=1
                                        ;     Parent Loop BB192_136 Depth=2
                                        ; =>    This Inner Loop Header: Depth=3
	s_waitcnt lgkmcnt(0)
	v_add_f64 v[10:11], v[7:8], v[5:6]
	ds_cmpstore_rtn_b64 v[10:11], v9, v[10:11], v[7:8] offset:1048
	s_waitcnt lgkmcnt(0)
	v_cmp_eq_u64_e32 vcc_lo, v[10:11], v[7:8]
	v_dual_mov_b32 v7, v10 :: v_dual_mov_b32 v8, v11
	s_or_b32 s17, vcc_lo, s17
	s_delay_alu instid0(SALU_CYCLE_1)
	s_and_not1_b32 exec_lo, exec_lo, s17
	s_cbranch_execnz .LBB192_148
; %bb.149:                              ;   in Loop: Header=BB192_136 Depth=2
	s_or_b32 exec_lo, exec_lo, s17
	s_delay_alu instid0(SALU_CYCLE_1)
	s_and_not1_b32 s16, s16, exec_lo
	s_branch .LBB192_135
.LBB192_150:
	s_or_b32 exec_lo, exec_lo, s4
.LBB192_151:
	s_barrier
	buffer_gl0_inv
	s_and_saveexec_b32 s0, s2
	s_cbranch_execz .LBB192_156
; %bb.152:
	ds_load_b32 v3, v31
	s_mov_b32 s1, 0
	s_waitcnt lgkmcnt(0)
	v_cmp_gt_i32_e32 vcc_lo, s33, v3
	s_and_b32 exec_lo, exec_lo, vcc_lo
	s_cbranch_execz .LBB192_156
; %bb.153:
	s_lshl_b64 s[4:5], s[34:35], 3
	s_delay_alu instid0(SALU_CYCLE_1)
	s_add_u32 s4, s10, s4
	s_addc_u32 s5, s11, s5
	s_load_b64 s[4:5], s[4:5], 0x0
	s_waitcnt lgkmcnt(0)
	s_sub_u32 s4, s4, s22
	s_subb_u32 s5, s5, 0
	s_delay_alu instid0(SALU_CYCLE_1)
	v_dual_mov_b32 v1, s4 :: v_dual_mov_b32 v2, s5
.LBB192_154:                            ; =>This Inner Loop Header: Depth=1
	s_add_i32 s0, s1, 0
	s_add_i32 s1, s1, 64
	v_mov_b32_e32 v18, s0
	s_cmpk_lg_i32 s1, 0x400
	ds_load_2addr_b32 v[4:5], v18 offset1:1
	ds_load_2addr_b32 v[6:7], v18 offset0:2 offset1:3
	ds_load_2addr_b32 v[8:9], v18 offset0:4 offset1:5
	;; [unrolled: 1-line block ×7, first 2 shown]
	s_waitcnt lgkmcnt(7)
	v_cmp_gt_i32_e32 vcc_lo, v3, v4
	v_cndmask_b32_e64 v4, 0, 1, vcc_lo
	v_cmp_gt_i32_e32 vcc_lo, v3, v5
	v_cndmask_b32_e64 v5, 0, 1, vcc_lo
	s_waitcnt lgkmcnt(6)
	v_cmp_gt_i32_e32 vcc_lo, v3, v6
	v_cndmask_b32_e64 v6, 0, 1, vcc_lo
	v_cmp_gt_i32_e32 vcc_lo, v3, v7
	v_cndmask_b32_e64 v7, 0, 1, vcc_lo
	;; [unrolled: 5-line block ×4, first 2 shown]
	s_waitcnt lgkmcnt(3)
	v_cmp_gt_i32_e32 vcc_lo, v3, v12
	v_cndmask_b32_e64 v12, 0, 1, vcc_lo
	v_add_co_u32 v1, vcc_lo, v1, v4
	v_add_co_ci_u32_e32 v2, vcc_lo, 0, v2, vcc_lo
	v_cmp_gt_i32_e32 vcc_lo, v3, v13
	s_delay_alu instid0(VALU_DEP_3) | instskip(NEXT) | instid1(VALU_DEP_1)
	v_add_co_u32 v1, s0, v1, v5
	v_add_co_ci_u32_e64 v2, s0, 0, v2, s0
	v_cndmask_b32_e64 v4, 0, 1, vcc_lo
	s_delay_alu instid0(VALU_DEP_3) | instskip(NEXT) | instid1(VALU_DEP_3)
	v_add_co_u32 v1, vcc_lo, v1, v6
	v_add_co_ci_u32_e32 v2, vcc_lo, 0, v2, vcc_lo
	s_waitcnt lgkmcnt(2)
	v_cmp_gt_i32_e32 vcc_lo, v3, v14
	s_delay_alu instid0(VALU_DEP_3) | instskip(NEXT) | instid1(VALU_DEP_1)
	v_add_co_u32 v1, s0, v1, v7
	v_add_co_ci_u32_e64 v2, s0, 0, v2, s0
	v_cndmask_b32_e64 v5, 0, 1, vcc_lo
	s_delay_alu instid0(VALU_DEP_3) | instskip(NEXT) | instid1(VALU_DEP_3)
	v_add_co_u32 v1, vcc_lo, v1, v8
	v_add_co_ci_u32_e32 v2, vcc_lo, 0, v2, vcc_lo
	v_cmp_gt_i32_e32 vcc_lo, v3, v15
	s_delay_alu instid0(VALU_DEP_3) | instskip(NEXT) | instid1(VALU_DEP_1)
	v_add_co_u32 v1, s0, v1, v9
	v_add_co_ci_u32_e64 v2, s0, 0, v2, s0
	v_cndmask_b32_e64 v6, 0, 1, vcc_lo
	s_delay_alu instid0(VALU_DEP_3) | instskip(NEXT) | instid1(VALU_DEP_3)
	v_add_co_u32 v1, vcc_lo, v1, v10
	v_add_co_ci_u32_e32 v2, vcc_lo, 0, v2, vcc_lo
	s_waitcnt lgkmcnt(1)
	v_cmp_gt_i32_e32 vcc_lo, v3, v16
	s_delay_alu instid0(VALU_DEP_3) | instskip(NEXT) | instid1(VALU_DEP_1)
	v_add_co_u32 v1, s0, v1, v11
	v_add_co_ci_u32_e64 v2, s0, 0, v2, s0
	v_cndmask_b32_e64 v7, 0, 1, vcc_lo
	s_delay_alu instid0(VALU_DEP_3) | instskip(NEXT) | instid1(VALU_DEP_3)
	;; [unrolled: 17-line block ×3, first 2 shown]
	v_add_co_u32 v1, vcc_lo, v1, v7
	v_add_co_ci_u32_e32 v2, vcc_lo, 0, v2, vcc_lo
	v_cmp_gt_i32_e32 vcc_lo, v3, v19
	s_delay_alu instid0(VALU_DEP_3) | instskip(NEXT) | instid1(VALU_DEP_1)
	v_add_co_u32 v1, s0, v1, v4
	v_add_co_ci_u32_e64 v2, s0, 0, v2, s0
	v_cndmask_b32_e64 v4, 0, 1, vcc_lo
	s_delay_alu instid0(VALU_DEP_3) | instskip(NEXT) | instid1(VALU_DEP_3)
	v_add_co_u32 v1, vcc_lo, v1, v5
	v_add_co_ci_u32_e32 v2, vcc_lo, 0, v2, vcc_lo
	s_delay_alu instid0(VALU_DEP_2) | instskip(NEXT) | instid1(VALU_DEP_2)
	v_add_co_u32 v1, vcc_lo, v1, v4
	v_add_co_ci_u32_e32 v2, vcc_lo, 0, v2, vcc_lo
	s_cbranch_scc1 .LBB192_154
; %bb.155:
	v_lshlrev_b32_e32 v4, 2, v0
	s_cmp_eq_u32 s3, 0
	v_lshlrev_b32_e32 v0, 5, v0
	s_cselect_b32 s0, 2, 1
	s_cselect_b32 s1, 1, 2
	v_or_b32_e32 v5, s0, v4
	v_or_b32_e32 v4, s1, v4
	v_add_nc_u32_e32 v6, 0, v0
	v_add3_u32 v0, 0, 0x400, v0
	v_lshlrev_b64 v[12:13], 2, v[1:2]
	v_lshl_add_u32 v7, v5, 3, 0
	v_lshl_add_u32 v10, v4, 3, 0
	v_add_nc_u32_e32 v14, s22, v3
	ds_load_b64 v[4:5], v6 offset:1024
	ds_load_b64 v[8:9], v7 offset:1024
	;; [unrolled: 1-line block ×4, first 2 shown]
	v_lshlrev_b64 v[0:1], 5, v[1:2]
	v_add_co_u32 v2, vcc_lo, s24, v12
	v_add_co_ci_u32_e32 v3, vcc_lo, s25, v13, vcc_lo
	s_delay_alu instid0(VALU_DEP_3) | instskip(NEXT) | instid1(VALU_DEP_4)
	v_add_co_u32 v0, vcc_lo, s26, v0
	v_add_co_ci_u32_e32 v1, vcc_lo, s27, v1, vcc_lo
	global_store_b32 v[2:3], v14, off
	s_waitcnt lgkmcnt(1)
	global_store_b128 v[0:1], v[4:7], off
	s_waitcnt lgkmcnt(0)
	global_store_b128 v[0:1], v[8:11], off offset:16
.LBB192_156:
	s_nop 0
	s_sendmsg sendmsg(MSG_DEALLOC_VGPRS)
	s_endpgm
	.section	.rodata,"a",@progbits
	.p2align	6, 0x0
	.amdhsa_kernel _ZN9rocsparseL30bsrgemm_fill_block_per_row_2x2ILj256ELj16ELj256ELj137ElidEEv20rocsparse_direction_T4_S2_PKS2_S4_NS_24const_host_device_scalarIT5_EEPKT3_S4_PKS6_SA_S4_SC_S7_SA_S4_SC_SA_PS2_PS6_21rocsparse_index_base_SF_SF_SF_bbb
		.amdhsa_group_segment_fixed_size 0
		.amdhsa_private_segment_fixed_size 0
		.amdhsa_kernarg_size 164
		.amdhsa_user_sgpr_count 15
		.amdhsa_user_sgpr_dispatch_ptr 0
		.amdhsa_user_sgpr_queue_ptr 0
		.amdhsa_user_sgpr_kernarg_segment_ptr 1
		.amdhsa_user_sgpr_dispatch_id 0
		.amdhsa_user_sgpr_private_segment_size 0
		.amdhsa_wavefront_size32 1
		.amdhsa_uses_dynamic_stack 0
		.amdhsa_enable_private_segment 0
		.amdhsa_system_sgpr_workgroup_id_x 1
		.amdhsa_system_sgpr_workgroup_id_y 0
		.amdhsa_system_sgpr_workgroup_id_z 0
		.amdhsa_system_sgpr_workgroup_info 0
		.amdhsa_system_vgpr_workitem_id 0
		.amdhsa_next_free_vgpr 40
		.amdhsa_next_free_sgpr 48
		.amdhsa_reserve_vcc 1
		.amdhsa_float_round_mode_32 0
		.amdhsa_float_round_mode_16_64 0
		.amdhsa_float_denorm_mode_32 3
		.amdhsa_float_denorm_mode_16_64 3
		.amdhsa_dx10_clamp 1
		.amdhsa_ieee_mode 1
		.amdhsa_fp16_overflow 0
		.amdhsa_workgroup_processor_mode 1
		.amdhsa_memory_ordered 1
		.amdhsa_forward_progress 0
		.amdhsa_shared_vgpr_count 0
		.amdhsa_exception_fp_ieee_invalid_op 0
		.amdhsa_exception_fp_denorm_src 0
		.amdhsa_exception_fp_ieee_div_zero 0
		.amdhsa_exception_fp_ieee_overflow 0
		.amdhsa_exception_fp_ieee_underflow 0
		.amdhsa_exception_fp_ieee_inexact 0
		.amdhsa_exception_int_div_zero 0
	.end_amdhsa_kernel
	.section	.text._ZN9rocsparseL30bsrgemm_fill_block_per_row_2x2ILj256ELj16ELj256ELj137ElidEEv20rocsparse_direction_T4_S2_PKS2_S4_NS_24const_host_device_scalarIT5_EEPKT3_S4_PKS6_SA_S4_SC_S7_SA_S4_SC_SA_PS2_PS6_21rocsparse_index_base_SF_SF_SF_bbb,"axG",@progbits,_ZN9rocsparseL30bsrgemm_fill_block_per_row_2x2ILj256ELj16ELj256ELj137ElidEEv20rocsparse_direction_T4_S2_PKS2_S4_NS_24const_host_device_scalarIT5_EEPKT3_S4_PKS6_SA_S4_SC_S7_SA_S4_SC_SA_PS2_PS6_21rocsparse_index_base_SF_SF_SF_bbb,comdat
.Lfunc_end192:
	.size	_ZN9rocsparseL30bsrgemm_fill_block_per_row_2x2ILj256ELj16ELj256ELj137ElidEEv20rocsparse_direction_T4_S2_PKS2_S4_NS_24const_host_device_scalarIT5_EEPKT3_S4_PKS6_SA_S4_SC_S7_SA_S4_SC_SA_PS2_PS6_21rocsparse_index_base_SF_SF_SF_bbb, .Lfunc_end192-_ZN9rocsparseL30bsrgemm_fill_block_per_row_2x2ILj256ELj16ELj256ELj137ElidEEv20rocsparse_direction_T4_S2_PKS2_S4_NS_24const_host_device_scalarIT5_EEPKT3_S4_PKS6_SA_S4_SC_S7_SA_S4_SC_SA_PS2_PS6_21rocsparse_index_base_SF_SF_SF_bbb
                                        ; -- End function
	.section	.AMDGPU.csdata,"",@progbits
; Kernel info:
; codeLenInByte = 5744
; NumSgprs: 50
; NumVgprs: 40
; ScratchSize: 0
; MemoryBound: 0
; FloatMode: 240
; IeeeMode: 1
; LDSByteSize: 0 bytes/workgroup (compile time only)
; SGPRBlocks: 6
; VGPRBlocks: 4
; NumSGPRsForWavesPerEU: 50
; NumVGPRsForWavesPerEU: 40
; Occupancy: 16
; WaveLimiterHint : 1
; COMPUTE_PGM_RSRC2:SCRATCH_EN: 0
; COMPUTE_PGM_RSRC2:USER_SGPR: 15
; COMPUTE_PGM_RSRC2:TRAP_HANDLER: 0
; COMPUTE_PGM_RSRC2:TGID_X_EN: 1
; COMPUTE_PGM_RSRC2:TGID_Y_EN: 0
; COMPUTE_PGM_RSRC2:TGID_Z_EN: 0
; COMPUTE_PGM_RSRC2:TIDIG_COMP_CNT: 0
	.section	.text._ZN9rocsparseL30bsrgemm_fill_block_per_row_2x2ILj256ELj16ELj512ELj137ElidEEv20rocsparse_direction_T4_S2_PKS2_S4_NS_24const_host_device_scalarIT5_EEPKT3_S4_PKS6_SA_S4_SC_S7_SA_S4_SC_SA_PS2_PS6_21rocsparse_index_base_SF_SF_SF_bbb,"axG",@progbits,_ZN9rocsparseL30bsrgemm_fill_block_per_row_2x2ILj256ELj16ELj512ELj137ElidEEv20rocsparse_direction_T4_S2_PKS2_S4_NS_24const_host_device_scalarIT5_EEPKT3_S4_PKS6_SA_S4_SC_S7_SA_S4_SC_SA_PS2_PS6_21rocsparse_index_base_SF_SF_SF_bbb,comdat
	.globl	_ZN9rocsparseL30bsrgemm_fill_block_per_row_2x2ILj256ELj16ELj512ELj137ElidEEv20rocsparse_direction_T4_S2_PKS2_S4_NS_24const_host_device_scalarIT5_EEPKT3_S4_PKS6_SA_S4_SC_S7_SA_S4_SC_SA_PS2_PS6_21rocsparse_index_base_SF_SF_SF_bbb ; -- Begin function _ZN9rocsparseL30bsrgemm_fill_block_per_row_2x2ILj256ELj16ELj512ELj137ElidEEv20rocsparse_direction_T4_S2_PKS2_S4_NS_24const_host_device_scalarIT5_EEPKT3_S4_PKS6_SA_S4_SC_S7_SA_S4_SC_SA_PS2_PS6_21rocsparse_index_base_SF_SF_SF_bbb
	.p2align	8
	.type	_ZN9rocsparseL30bsrgemm_fill_block_per_row_2x2ILj256ELj16ELj512ELj137ElidEEv20rocsparse_direction_T4_S2_PKS2_S4_NS_24const_host_device_scalarIT5_EEPKT3_S4_PKS6_SA_S4_SC_S7_SA_S4_SC_SA_PS2_PS6_21rocsparse_index_base_SF_SF_SF_bbb,@function
_ZN9rocsparseL30bsrgemm_fill_block_per_row_2x2ILj256ELj16ELj512ELj137ElidEEv20rocsparse_direction_T4_S2_PKS2_S4_NS_24const_host_device_scalarIT5_EEPKT3_S4_PKS6_SA_S4_SC_S7_SA_S4_SC_SA_PS2_PS6_21rocsparse_index_base_SF_SF_SF_bbb: ; @_ZN9rocsparseL30bsrgemm_fill_block_per_row_2x2ILj256ELj16ELj512ELj137ElidEEv20rocsparse_direction_T4_S2_PKS2_S4_NS_24const_host_device_scalarIT5_EEPKT3_S4_PKS6_SA_S4_SC_S7_SA_S4_SC_SA_PS2_PS6_21rocsparse_index_base_SF_SF_SF_bbb
; %bb.0:
	s_clause 0x2
	s_load_b32 s6, s[0:1], 0xa0
	s_load_b64 s[4:5], s[0:1], 0x20
	s_load_b64 s[2:3], s[0:1], 0x58
	s_mov_b32 s34, s15
	s_waitcnt lgkmcnt(0)
	s_and_b32 s8, 1, s6
	s_bitcmp1_b32 s6, 16
	s_cselect_b32 s7, -1, 0
	s_cmp_eq_u32 s8, 1
	s_cselect_b32 s35, -1, 0
	s_delay_alu instid0(SALU_CYCLE_1)
	s_and_b32 s8, s35, exec_lo
	s_cselect_b32 s9, s5, 0
	s_cselect_b32 s8, s4, 0
	s_xor_b32 s10, s35, -1
	v_dual_mov_b32 v3, s8 :: v_dual_mov_b32 v4, s9
	s_or_b32 s10, s10, s7
	s_delay_alu instid0(SALU_CYCLE_1)
	s_and_b32 vcc_lo, exec_lo, s10
	s_cbranch_vccnz .LBB193_2
; %bb.1:
	v_dual_mov_b32 v1, s4 :: v_dual_mov_b32 v2, s5
	flat_load_b64 v[3:4], v[1:2]
.LBB193_2:
	s_bitcmp1_b32 s6, 8
	s_cselect_b32 s40, -1, 0
	s_delay_alu instid0(SALU_CYCLE_1)
	s_and_b32 s4, s40, exec_lo
	s_cselect_b32 s5, s3, 0
	s_cselect_b32 s4, s2, 0
	s_xor_b32 s6, s40, -1
	v_dual_mov_b32 v1, s4 :: v_dual_mov_b32 v2, s5
	s_or_b32 s6, s6, s7
	s_delay_alu instid0(SALU_CYCLE_1)
	s_and_b32 vcc_lo, exec_lo, s6
	s_cbranch_vccnz .LBB193_4
; %bb.3:
	v_dual_mov_b32 v1, s2 :: v_dual_mov_b32 v2, s3
	flat_load_b64 v[1:2], v[1:2]
.LBB193_4:
	s_clause 0x1
	s_load_b128 s[20:23], s[0:1], 0x90
	s_load_b32 s33, s[0:1], 0x8
	v_cmp_gt_u32_e64 s2, 0x200, v0
	v_or_b32_e32 v7, 0xffffff00, v0
	s_mov_b32 s3, exec_lo
	v_cmpx_lt_u32_e32 0x1ff, v0
	s_xor_b32 s3, exec_lo, s3
; %bb.5:
	v_or_b32_e32 v7, 0xffffff00, v0
; %bb.6:
	s_or_saveexec_b32 s3, s3
	s_clause 0x4
	s_load_b128 s[24:27], s[0:1], 0x80
	s_load_b256 s[4:11], s[0:1], 0x60
	s_load_b128 s[28:31], s[0:1], 0x48
	s_load_b128 s[36:39], s[0:1], 0x10
	s_load_b256 s[12:19], s[0:1], 0x28
	s_xor_b32 exec_lo, exec_lo, s3
	s_cbranch_execz .LBB193_10
; %bb.7:
	v_lshl_add_u32 v5, v0, 2, 0
	s_waitcnt lgkmcnt(0)
	v_mov_b32_e32 v6, s33
	v_mov_b32_e32 v8, v7
	s_mov_b32 s41, 0
.LBB193_8:                              ; =>This Inner Loop Header: Depth=1
	s_delay_alu instid0(VALU_DEP_1) | instskip(NEXT) | instid1(VALU_DEP_1)
	v_add_co_u32 v8, s42, 0x100, v8
	s_xor_b32 s42, s42, -1
	ds_store_b32 v5, v6
	v_add_nc_u32_e32 v5, 0x400, v5
	s_and_b32 s42, exec_lo, s42
	s_delay_alu instid0(SALU_CYCLE_1) | instskip(NEXT) | instid1(SALU_CYCLE_1)
	s_or_b32 s41, s42, s41
	s_and_not1_b32 exec_lo, exec_lo, s41
	s_cbranch_execnz .LBB193_8
; %bb.9:
	s_or_b32 exec_lo, exec_lo, s41
.LBB193_10:
	s_delay_alu instid0(SALU_CYCLE_1) | instskip(SKIP_2) | instid1(VALU_DEP_1)
	s_or_b32 exec_lo, exec_lo, s3
	v_dual_mov_b32 v5, 0 :: v_dual_lshlrev_b32 v6, 3, v0
	s_mov_b32 s3, 0
	v_add3_u32 v8, v6, 0, 0x800
	s_delay_alu instid0(VALU_DEP_2)
	v_mov_b32_e32 v6, v5
.LBB193_11:                             ; =>This Inner Loop Header: Depth=1
	v_add_nc_u32_e32 v7, 0x100, v7
	ds_store_b64 v8, v[5:6]
	v_add_nc_u32_e32 v8, 0x800, v8
	v_cmp_lt_u32_e32 vcc_lo, 0x6ff, v7
	s_or_b32 s3, vcc_lo, s3
	s_delay_alu instid0(SALU_CYCLE_1)
	s_and_not1_b32 exec_lo, exec_lo, s3
	s_cbranch_execnz .LBB193_11
; %bb.12:
	s_or_b32 exec_lo, exec_lo, s3
	s_waitcnt lgkmcnt(0)
	s_cmp_lg_u64 s[38:39], 0
	s_waitcnt vmcnt(0)
	s_barrier
	buffer_gl0_inv
	s_cbranch_scc0 .LBB193_14
; %bb.13:
	s_load_b32 s3, s[36:37], 0x0
	s_mov_b32 s37, 0
	s_waitcnt lgkmcnt(0)
	s_add_i32 s36, s3, s34
	s_delay_alu instid0(SALU_CYCLE_1) | instskip(NEXT) | instid1(SALU_CYCLE_1)
	s_lshl_b64 s[36:37], s[36:37], 2
	s_add_u32 s36, s38, s36
	s_addc_u32 s37, s39, s37
	s_load_b32 s34, s[36:37], 0x0
.LBB193_14:
	s_load_b32 s36, s[0:1], 0x0
	s_and_not1_b32 vcc_lo, exec_lo, s35
	s_waitcnt lgkmcnt(0)
	s_ashr_i32 s35, s34, 31
	s_cbranch_vccnz .LBB193_86
; %bb.15:
	s_lshl_b64 s[0:1], s[34:35], 3
	v_lshrrev_b32_e32 v5, 4, v0
	s_add_u32 s0, s12, s0
	s_addc_u32 s1, s13, s1
	s_mov_b32 s12, 0
	s_load_b128 s[44:47], s[0:1], 0x0
	v_sub_co_u32 v5, s0, v5, s20
	s_delay_alu instid0(VALU_DEP_1) | instskip(SKIP_2) | instid1(VALU_DEP_2)
	v_sub_co_ci_u32_e64 v6, null, 0, 0, s0
	s_mov_b32 s3, exec_lo
	s_waitcnt lgkmcnt(0)
	v_add_co_u32 v5, vcc_lo, s44, v5
	s_delay_alu instid0(VALU_DEP_2)
	v_add_co_ci_u32_e32 v6, vcc_lo, s45, v6, vcc_lo
	s_sub_u32 s0, s46, s20
	s_subb_u32 s1, s47, 0
	s_delay_alu instid0(VALU_DEP_1) | instid1(SALU_CYCLE_1)
	v_cmpx_gt_i64_e64 s[0:1], v[5:6]
	s_cbranch_execz .LBB193_85
; %bb.16:
	v_and_b32_e32 v7, 15, v0
	s_cmp_eq_u32 s36, 0
	s_cselect_b32 s37, 1, 2
	s_cselect_b32 s38, 2, 1
	s_delay_alu instid0(VALU_DEP_1) | instskip(NEXT) | instid1(VALU_DEP_1)
	v_sub_co_u32 v31, s13, v7, s21
	v_sub_co_ci_u32_e64 v32, null, 0, 0, s13
	s_mov_b32 s13, s21
	s_branch .LBB193_18
.LBB193_17:                             ;   in Loop: Header=BB193_18 Depth=1
	s_or_b32 exec_lo, exec_lo, s39
	v_add_co_u32 v5, vcc_lo, v5, 16
	v_add_co_ci_u32_e32 v6, vcc_lo, 0, v6, vcc_lo
	s_delay_alu instid0(VALU_DEP_1) | instskip(SKIP_1) | instid1(SALU_CYCLE_1)
	v_cmp_le_i64_e32 vcc_lo, s[0:1], v[5:6]
	s_or_b32 s12, vcc_lo, s12
	s_and_not1_b32 exec_lo, exec_lo, s12
	s_cbranch_execz .LBB193_85
.LBB193_18:                             ; =>This Loop Header: Depth=1
                                        ;     Child Loop BB193_21 Depth 2
                                        ;       Child Loop BB193_23 Depth 3
                                        ;         Child Loop BB193_29 Depth 4
                                        ;         Child Loop BB193_35 Depth 4
                                        ;       Child Loop BB193_39 Depth 3
                                        ;         Child Loop BB193_45 Depth 4
                                        ;         Child Loop BB193_51 Depth 4
	;; [unrolled: 3-line block ×4, first 2 shown]
	v_lshlrev_b64 v[11:12], 2, v[5:6]
	s_mov_b32 s39, exec_lo
	s_delay_alu instid0(VALU_DEP_1) | instskip(NEXT) | instid1(VALU_DEP_2)
	v_add_co_u32 v7, vcc_lo, s14, v11
	v_add_co_ci_u32_e32 v8, vcc_lo, s15, v12, vcc_lo
	global_load_b32 v7, v[7:8], off
	s_waitcnt vmcnt(0)
	v_subrev_nc_u32_e32 v7, s20, v7
	s_delay_alu instid0(VALU_DEP_1) | instskip(NEXT) | instid1(VALU_DEP_1)
	v_ashrrev_i32_e32 v8, 31, v7
	v_lshlrev_b64 v[7:8], 3, v[7:8]
	s_delay_alu instid0(VALU_DEP_1) | instskip(NEXT) | instid1(VALU_DEP_2)
	v_add_co_u32 v7, vcc_lo, s18, v7
	v_add_co_ci_u32_e32 v8, vcc_lo, s19, v8, vcc_lo
	global_load_b128 v[13:16], v[7:8], off
	s_waitcnt vmcnt(0)
	v_sub_co_u32 v7, vcc_lo, v15, s13
	v_subrev_co_ci_u32_e32 v8, vcc_lo, 0, v16, vcc_lo
	v_add_co_u32 v9, vcc_lo, v13, v31
	v_add_co_ci_u32_e32 v10, vcc_lo, v14, v32, vcc_lo
	s_delay_alu instid0(VALU_DEP_1)
	v_cmpx_lt_i64_e64 v[9:10], v[7:8]
	s_cbranch_execz .LBB193_17
; %bb.19:                               ;   in Loop: Header=BB193_18 Depth=1
	v_or_b32_e32 v14, 0, v12
	v_or_b32_e32 v13, s38, v11
	v_lshlrev_b64 v[15:16], 5, v[5:6]
	v_or_b32_e32 v12, 0, v12
	v_or_b32_e32 v11, s37, v11
	s_mov_b32 s41, 0
	v_lshlrev_b64 v[13:14], 3, v[13:14]
	s_delay_alu instid0(VALU_DEP_4) | instskip(NEXT) | instid1(VALU_DEP_3)
	v_add_co_u32 v15, vcc_lo, s16, v15
	v_lshlrev_b64 v[11:12], 3, v[11:12]
	v_add_co_ci_u32_e32 v16, vcc_lo, s17, v16, vcc_lo
	s_delay_alu instid0(VALU_DEP_4) | instskip(SKIP_1) | instid1(VALU_DEP_4)
	v_add_co_u32 v13, vcc_lo, s16, v13
	v_add_co_ci_u32_e32 v14, vcc_lo, s17, v14, vcc_lo
	v_add_co_u32 v11, vcc_lo, s16, v11
	v_add_co_ci_u32_e32 v12, vcc_lo, s17, v12, vcc_lo
	s_clause 0x3
	global_load_b64 v[17:18], v[15:16], off offset:24
	global_load_b64 v[13:14], v[13:14], off
	global_load_b64 v[19:20], v[11:12], off
	;; [unrolled: 1-line block ×3, first 2 shown]
	s_waitcnt vmcnt(3)
	v_mul_f64 v[11:12], v[3:4], v[17:18]
	s_waitcnt vmcnt(2)
	v_mul_f64 v[13:14], v[3:4], v[13:14]
	;; [unrolled: 2-line block ×4, first 2 shown]
	s_branch .LBB193_21
.LBB193_20:                             ;   in Loop: Header=BB193_21 Depth=2
	s_or_b32 exec_lo, exec_lo, s42
	v_add_co_u32 v9, vcc_lo, v9, 16
	v_add_co_ci_u32_e32 v10, vcc_lo, 0, v10, vcc_lo
	s_delay_alu instid0(VALU_DEP_1) | instskip(SKIP_1) | instid1(SALU_CYCLE_1)
	v_cmp_ge_i64_e32 vcc_lo, v[9:10], v[7:8]
	s_or_b32 s41, vcc_lo, s41
	s_and_not1_b32 exec_lo, exec_lo, s41
	s_cbranch_execz .LBB193_17
.LBB193_21:                             ;   Parent Loop BB193_18 Depth=1
                                        ; =>  This Loop Header: Depth=2
                                        ;       Child Loop BB193_23 Depth 3
                                        ;         Child Loop BB193_29 Depth 4
                                        ;         Child Loop BB193_35 Depth 4
                                        ;       Child Loop BB193_39 Depth 3
                                        ;         Child Loop BB193_45 Depth 4
                                        ;         Child Loop BB193_51 Depth 4
	;; [unrolled: 3-line block ×4, first 2 shown]
	v_lshlrev_b64 v[19:20], 2, v[9:10]
	s_mov_b32 s42, 0
	s_delay_alu instid0(VALU_DEP_1) | instskip(NEXT) | instid1(VALU_DEP_2)
	v_or_b32_e32 v22, 0, v20
	v_or_b32_e32 v21, s38, v19
	s_delay_alu instid0(VALU_DEP_1) | instskip(NEXT) | instid1(VALU_DEP_1)
	v_lshlrev_b64 v[21:22], 3, v[21:22]
	v_add_co_u32 v21, vcc_lo, s30, v21
	s_delay_alu instid0(VALU_DEP_2) | instskip(SKIP_2) | instid1(VALU_DEP_1)
	v_add_co_ci_u32_e32 v22, vcc_lo, s31, v22, vcc_lo
	global_load_b64 v[23:24], v[21:22], off
	v_lshlrev_b64 v[21:22], 5, v[9:10]
	v_add_co_u32 v21, vcc_lo, s30, v21
	s_delay_alu instid0(VALU_DEP_2)
	v_add_co_ci_u32_e32 v22, vcc_lo, s31, v22, vcc_lo
	v_add_co_u32 v27, vcc_lo, s28, v19
	v_add_co_ci_u32_e32 v28, vcc_lo, s29, v20, vcc_lo
	global_load_b64 v[25:26], v[21:22], off
	v_or_b32_e32 v20, 0, v20
	v_or_b32_e32 v19, s37, v19
	global_load_b32 v29, v[27:28], off
	v_lshlrev_b64 v[19:20], 3, v[19:20]
	s_delay_alu instid0(VALU_DEP_1) | instskip(NEXT) | instid1(VALU_DEP_2)
	v_add_co_u32 v19, vcc_lo, s30, v19
	v_add_co_ci_u32_e32 v20, vcc_lo, s31, v20, vcc_lo
	s_clause 0x1
	global_load_b64 v[19:20], v[19:20], off
	global_load_b64 v[21:22], v[21:22], off offset:24
	s_waitcnt vmcnt(4)
	v_mul_f64 v[27:28], v[15:16], v[23:24]
	s_waitcnt vmcnt(2)
	v_subrev_nc_u32_e32 v33, s21, v29
	s_delay_alu instid0(VALU_DEP_1) | instskip(NEXT) | instid1(VALU_DEP_1)
	v_mul_lo_u32 v29, 0x89, v33
	v_and_b32_e32 v34, 0x1ff, v29
	s_delay_alu instid0(VALU_DEP_1)
	v_mov_b32_e32 v35, v34
	v_fma_f64 v[27:28], v[17:18], v[25:26], v[27:28]
	s_branch .LBB193_23
.LBB193_22:                             ;   in Loop: Header=BB193_23 Depth=3
	s_or_b32 exec_lo, exec_lo, s43
	s_xor_b32 s43, s44, -1
	s_delay_alu instid0(SALU_CYCLE_1) | instskip(NEXT) | instid1(SALU_CYCLE_1)
	s_and_b32 s43, exec_lo, s43
	s_or_b32 s42, s43, s42
	s_delay_alu instid0(SALU_CYCLE_1)
	s_and_not1_b32 exec_lo, exec_lo, s42
	s_cbranch_execz .LBB193_37
.LBB193_23:                             ;   Parent Loop BB193_18 Depth=1
                                        ;     Parent Loop BB193_21 Depth=2
                                        ; =>    This Loop Header: Depth=3
                                        ;         Child Loop BB193_29 Depth 4
                                        ;         Child Loop BB193_35 Depth 4
	s_delay_alu instid0(VALU_DEP_2)
	v_lshl_add_u32 v29, v35, 2, 0
	s_mov_b32 s43, exec_lo
                                        ; implicit-def: $sgpr44
	ds_load_b32 v30, v29
	s_waitcnt lgkmcnt(0)
	v_cmpx_ne_u32_e64 v30, v33
	s_xor_b32 s43, exec_lo, s43
	s_cbranch_execz .LBB193_33
; %bb.24:                               ;   in Loop: Header=BB193_23 Depth=3
	s_mov_b32 s45, exec_lo
                                        ; implicit-def: $sgpr44
	v_cmpx_ne_u32_e64 s33, v30
	s_xor_b32 s45, exec_lo, s45
; %bb.25:                               ;   in Loop: Header=BB193_23 Depth=3
	v_add_nc_u32_e32 v29, 1, v35
	s_mov_b32 s44, -1
	s_delay_alu instid0(VALU_DEP_1)
	v_and_b32_e32 v35, 0x1ff, v29
                                        ; implicit-def: $vgpr29
; %bb.26:                               ;   in Loop: Header=BB193_23 Depth=3
	s_and_not1_saveexec_b32 s45, s45
	s_cbranch_execz .LBB193_32
; %bb.27:                               ;   in Loop: Header=BB193_23 Depth=3
	v_mov_b32_e32 v30, s33
	s_mov_b32 s47, -1
	s_mov_b32 s46, exec_lo
	ds_cmpstore_rtn_b32 v30, v29, v33, v30
	s_waitcnt lgkmcnt(0)
	v_cmpx_eq_u32_e64 s33, v30
	s_cbranch_execz .LBB193_31
; %bb.28:                               ;   in Loop: Header=BB193_23 Depth=3
	v_mul_lo_u32 v30, v35, 28
	s_mov_b32 s47, 0
	s_delay_alu instid0(VALU_DEP_1)
	v_add_nc_u32_e32 v36, v29, v30
	ds_load_b64 v[29:30], v36 offset:2048
.LBB193_29:                             ;   Parent Loop BB193_18 Depth=1
                                        ;     Parent Loop BB193_21 Depth=2
                                        ;       Parent Loop BB193_23 Depth=3
                                        ; =>      This Inner Loop Header: Depth=4
	s_waitcnt lgkmcnt(0)
	v_add_f64 v[37:38], v[29:30], v[27:28]
	ds_cmpstore_rtn_b64 v[37:38], v36, v[37:38], v[29:30] offset:2048
	s_waitcnt lgkmcnt(0)
	v_cmp_eq_u64_e32 vcc_lo, v[37:38], v[29:30]
	v_dual_mov_b32 v29, v37 :: v_dual_mov_b32 v30, v38
	s_or_b32 s47, vcc_lo, s47
	s_delay_alu instid0(SALU_CYCLE_1)
	s_and_not1_b32 exec_lo, exec_lo, s47
	s_cbranch_execnz .LBB193_29
; %bb.30:                               ;   in Loop: Header=BB193_23 Depth=3
	s_or_b32 exec_lo, exec_lo, s47
	s_delay_alu instid0(SALU_CYCLE_1)
	s_xor_b32 s47, exec_lo, -1
.LBB193_31:                             ;   in Loop: Header=BB193_23 Depth=3
	s_or_b32 exec_lo, exec_lo, s46
	s_delay_alu instid0(SALU_CYCLE_1) | instskip(SKIP_1) | instid1(SALU_CYCLE_1)
	s_and_not1_b32 s44, s44, exec_lo
	s_and_b32 s46, s47, exec_lo
	s_or_b32 s44, s44, s46
.LBB193_32:                             ;   in Loop: Header=BB193_23 Depth=3
	s_or_b32 exec_lo, exec_lo, s45
	s_delay_alu instid0(SALU_CYCLE_1)
	s_and_b32 s44, s44, exec_lo
                                        ; implicit-def: $vgpr29
.LBB193_33:                             ;   in Loop: Header=BB193_23 Depth=3
	s_and_not1_saveexec_b32 s43, s43
	s_cbranch_execz .LBB193_22
; %bb.34:                               ;   in Loop: Header=BB193_23 Depth=3
	v_mul_lo_u32 v30, v35, 28
	s_mov_b32 s45, 0
	s_delay_alu instid0(VALU_DEP_1)
	v_add_nc_u32_e32 v36, v29, v30
	ds_load_b64 v[29:30], v36 offset:2048
.LBB193_35:                             ;   Parent Loop BB193_18 Depth=1
                                        ;     Parent Loop BB193_21 Depth=2
                                        ;       Parent Loop BB193_23 Depth=3
                                        ; =>      This Inner Loop Header: Depth=4
	s_waitcnt lgkmcnt(0)
	v_add_f64 v[37:38], v[29:30], v[27:28]
	ds_cmpstore_rtn_b64 v[37:38], v36, v[37:38], v[29:30] offset:2048
	s_waitcnt lgkmcnt(0)
	v_cmp_eq_u64_e32 vcc_lo, v[37:38], v[29:30]
	v_dual_mov_b32 v29, v37 :: v_dual_mov_b32 v30, v38
	s_or_b32 s45, vcc_lo, s45
	s_delay_alu instid0(SALU_CYCLE_1)
	s_and_not1_b32 exec_lo, exec_lo, s45
	s_cbranch_execnz .LBB193_35
; %bb.36:                               ;   in Loop: Header=BB193_23 Depth=3
	s_or_b32 exec_lo, exec_lo, s45
	s_delay_alu instid0(SALU_CYCLE_1)
	s_and_not1_b32 s44, s44, exec_lo
	s_branch .LBB193_22
.LBB193_37:                             ;   in Loop: Header=BB193_21 Depth=2
	s_or_b32 exec_lo, exec_lo, s42
	s_waitcnt vmcnt(0)
	v_mul_f64 v[27:28], v[15:16], v[21:22]
	v_mov_b32_e32 v35, v34
	s_mov_b32 s42, 0
	s_delay_alu instid0(VALU_DEP_2)
	v_fma_f64 v[27:28], v[17:18], v[19:20], v[27:28]
	s_branch .LBB193_39
.LBB193_38:                             ;   in Loop: Header=BB193_39 Depth=3
	s_or_b32 exec_lo, exec_lo, s43
	s_xor_b32 s43, s44, -1
	s_delay_alu instid0(SALU_CYCLE_1) | instskip(NEXT) | instid1(SALU_CYCLE_1)
	s_and_b32 s43, exec_lo, s43
	s_or_b32 s42, s43, s42
	s_delay_alu instid0(SALU_CYCLE_1)
	s_and_not1_b32 exec_lo, exec_lo, s42
	s_cbranch_execz .LBB193_53
.LBB193_39:                             ;   Parent Loop BB193_18 Depth=1
                                        ;     Parent Loop BB193_21 Depth=2
                                        ; =>    This Loop Header: Depth=3
                                        ;         Child Loop BB193_45 Depth 4
                                        ;         Child Loop BB193_51 Depth 4
	s_delay_alu instid0(VALU_DEP_2)
	v_lshl_add_u32 v29, v35, 2, 0
	s_mov_b32 s43, exec_lo
                                        ; implicit-def: $sgpr44
	ds_load_b32 v30, v29
	s_waitcnt lgkmcnt(0)
	v_cmpx_ne_u32_e64 v30, v33
	s_xor_b32 s43, exec_lo, s43
	s_cbranch_execz .LBB193_49
; %bb.40:                               ;   in Loop: Header=BB193_39 Depth=3
	s_mov_b32 s45, exec_lo
                                        ; implicit-def: $sgpr44
	v_cmpx_ne_u32_e64 s33, v30
	s_xor_b32 s45, exec_lo, s45
; %bb.41:                               ;   in Loop: Header=BB193_39 Depth=3
	v_add_nc_u32_e32 v29, 1, v35
	s_mov_b32 s44, -1
	s_delay_alu instid0(VALU_DEP_1)
	v_and_b32_e32 v35, 0x1ff, v29
                                        ; implicit-def: $vgpr29
; %bb.42:                               ;   in Loop: Header=BB193_39 Depth=3
	s_and_not1_saveexec_b32 s45, s45
	s_cbranch_execz .LBB193_48
; %bb.43:                               ;   in Loop: Header=BB193_39 Depth=3
	v_mov_b32_e32 v30, s33
	s_mov_b32 s47, -1
	s_mov_b32 s46, exec_lo
	ds_cmpstore_rtn_b32 v30, v29, v33, v30
	s_waitcnt lgkmcnt(0)
	v_cmpx_eq_u32_e64 s33, v30
	s_cbranch_execz .LBB193_47
; %bb.44:                               ;   in Loop: Header=BB193_39 Depth=3
	v_mul_lo_u32 v30, v35, 28
	s_mov_b32 s47, 0
	s_delay_alu instid0(VALU_DEP_1)
	v_add_nc_u32_e32 v36, v29, v30
	ds_load_b64 v[29:30], v36 offset:2056
.LBB193_45:                             ;   Parent Loop BB193_18 Depth=1
                                        ;     Parent Loop BB193_21 Depth=2
                                        ;       Parent Loop BB193_39 Depth=3
                                        ; =>      This Inner Loop Header: Depth=4
	s_waitcnt lgkmcnt(0)
	v_add_f64 v[37:38], v[29:30], v[27:28]
	ds_cmpstore_rtn_b64 v[37:38], v36, v[37:38], v[29:30] offset:2056
	s_waitcnt lgkmcnt(0)
	v_cmp_eq_u64_e32 vcc_lo, v[37:38], v[29:30]
	v_dual_mov_b32 v29, v37 :: v_dual_mov_b32 v30, v38
	s_or_b32 s47, vcc_lo, s47
	s_delay_alu instid0(SALU_CYCLE_1)
	s_and_not1_b32 exec_lo, exec_lo, s47
	s_cbranch_execnz .LBB193_45
; %bb.46:                               ;   in Loop: Header=BB193_39 Depth=3
	s_or_b32 exec_lo, exec_lo, s47
	s_delay_alu instid0(SALU_CYCLE_1)
	s_xor_b32 s47, exec_lo, -1
.LBB193_47:                             ;   in Loop: Header=BB193_39 Depth=3
	s_or_b32 exec_lo, exec_lo, s46
	s_delay_alu instid0(SALU_CYCLE_1) | instskip(SKIP_1) | instid1(SALU_CYCLE_1)
	s_and_not1_b32 s44, s44, exec_lo
	s_and_b32 s46, s47, exec_lo
	s_or_b32 s44, s44, s46
.LBB193_48:                             ;   in Loop: Header=BB193_39 Depth=3
	s_or_b32 exec_lo, exec_lo, s45
	s_delay_alu instid0(SALU_CYCLE_1)
	s_and_b32 s44, s44, exec_lo
                                        ; implicit-def: $vgpr29
.LBB193_49:                             ;   in Loop: Header=BB193_39 Depth=3
	s_and_not1_saveexec_b32 s43, s43
	s_cbranch_execz .LBB193_38
; %bb.50:                               ;   in Loop: Header=BB193_39 Depth=3
	v_mul_lo_u32 v30, v35, 28
	s_mov_b32 s45, 0
	s_delay_alu instid0(VALU_DEP_1)
	v_add_nc_u32_e32 v36, v29, v30
	ds_load_b64 v[29:30], v36 offset:2056
.LBB193_51:                             ;   Parent Loop BB193_18 Depth=1
                                        ;     Parent Loop BB193_21 Depth=2
                                        ;       Parent Loop BB193_39 Depth=3
                                        ; =>      This Inner Loop Header: Depth=4
	s_waitcnt lgkmcnt(0)
	v_add_f64 v[37:38], v[29:30], v[27:28]
	ds_cmpstore_rtn_b64 v[37:38], v36, v[37:38], v[29:30] offset:2056
	s_waitcnt lgkmcnt(0)
	v_cmp_eq_u64_e32 vcc_lo, v[37:38], v[29:30]
	v_dual_mov_b32 v29, v37 :: v_dual_mov_b32 v30, v38
	s_or_b32 s45, vcc_lo, s45
	s_delay_alu instid0(SALU_CYCLE_1)
	s_and_not1_b32 exec_lo, exec_lo, s45
	s_cbranch_execnz .LBB193_51
; %bb.52:                               ;   in Loop: Header=BB193_39 Depth=3
	s_or_b32 exec_lo, exec_lo, s45
	s_delay_alu instid0(SALU_CYCLE_1)
	s_and_not1_b32 s44, s44, exec_lo
	s_branch .LBB193_38
.LBB193_53:                             ;   in Loop: Header=BB193_21 Depth=2
	s_or_b32 exec_lo, exec_lo, s42
	v_mul_f64 v[23:24], v[11:12], v[23:24]
	v_mov_b32_e32 v27, v34
	s_mov_b32 s42, 0
	s_delay_alu instid0(VALU_DEP_2)
	v_fma_f64 v[23:24], v[13:14], v[25:26], v[23:24]
	s_branch .LBB193_55
.LBB193_54:                             ;   in Loop: Header=BB193_55 Depth=3
	s_or_b32 exec_lo, exec_lo, s43
	s_xor_b32 s43, s44, -1
	s_delay_alu instid0(SALU_CYCLE_1) | instskip(NEXT) | instid1(SALU_CYCLE_1)
	s_and_b32 s43, exec_lo, s43
	s_or_b32 s42, s43, s42
	s_delay_alu instid0(SALU_CYCLE_1)
	s_and_not1_b32 exec_lo, exec_lo, s42
	s_cbranch_execz .LBB193_69
.LBB193_55:                             ;   Parent Loop BB193_18 Depth=1
                                        ;     Parent Loop BB193_21 Depth=2
                                        ; =>    This Loop Header: Depth=3
                                        ;         Child Loop BB193_61 Depth 4
                                        ;         Child Loop BB193_67 Depth 4
	s_delay_alu instid0(VALU_DEP_2)
	v_lshl_add_u32 v25, v27, 2, 0
	s_mov_b32 s43, exec_lo
                                        ; implicit-def: $sgpr44
	ds_load_b32 v26, v25
	s_waitcnt lgkmcnt(0)
	v_cmpx_ne_u32_e64 v26, v33
	s_xor_b32 s43, exec_lo, s43
	s_cbranch_execz .LBB193_65
; %bb.56:                               ;   in Loop: Header=BB193_55 Depth=3
	s_mov_b32 s45, exec_lo
                                        ; implicit-def: $sgpr44
	v_cmpx_ne_u32_e64 s33, v26
	s_xor_b32 s45, exec_lo, s45
; %bb.57:                               ;   in Loop: Header=BB193_55 Depth=3
	v_add_nc_u32_e32 v25, 1, v27
	s_mov_b32 s44, -1
	s_delay_alu instid0(VALU_DEP_1)
	v_and_b32_e32 v27, 0x1ff, v25
                                        ; implicit-def: $vgpr25
; %bb.58:                               ;   in Loop: Header=BB193_55 Depth=3
	s_and_not1_saveexec_b32 s45, s45
	s_cbranch_execz .LBB193_64
; %bb.59:                               ;   in Loop: Header=BB193_55 Depth=3
	v_mov_b32_e32 v26, s33
	s_mov_b32 s47, -1
	s_mov_b32 s46, exec_lo
	ds_cmpstore_rtn_b32 v26, v25, v33, v26
	s_waitcnt lgkmcnt(0)
	v_cmpx_eq_u32_e64 s33, v26
	s_cbranch_execz .LBB193_63
; %bb.60:                               ;   in Loop: Header=BB193_55 Depth=3
	v_mul_lo_u32 v26, v27, 28
	s_mov_b32 s47, 0
	s_delay_alu instid0(VALU_DEP_1)
	v_add_nc_u32_e32 v28, v25, v26
	ds_load_b64 v[25:26], v28 offset:2064
.LBB193_61:                             ;   Parent Loop BB193_18 Depth=1
                                        ;     Parent Loop BB193_21 Depth=2
                                        ;       Parent Loop BB193_55 Depth=3
                                        ; =>      This Inner Loop Header: Depth=4
	s_waitcnt lgkmcnt(0)
	v_add_f64 v[29:30], v[25:26], v[23:24]
	ds_cmpstore_rtn_b64 v[29:30], v28, v[29:30], v[25:26] offset:2064
	s_waitcnt lgkmcnt(0)
	v_cmp_eq_u64_e32 vcc_lo, v[29:30], v[25:26]
	v_dual_mov_b32 v25, v29 :: v_dual_mov_b32 v26, v30
	s_or_b32 s47, vcc_lo, s47
	s_delay_alu instid0(SALU_CYCLE_1)
	s_and_not1_b32 exec_lo, exec_lo, s47
	s_cbranch_execnz .LBB193_61
; %bb.62:                               ;   in Loop: Header=BB193_55 Depth=3
	s_or_b32 exec_lo, exec_lo, s47
	s_delay_alu instid0(SALU_CYCLE_1)
	s_xor_b32 s47, exec_lo, -1
.LBB193_63:                             ;   in Loop: Header=BB193_55 Depth=3
	s_or_b32 exec_lo, exec_lo, s46
	s_delay_alu instid0(SALU_CYCLE_1) | instskip(SKIP_1) | instid1(SALU_CYCLE_1)
	s_and_not1_b32 s44, s44, exec_lo
	s_and_b32 s46, s47, exec_lo
	s_or_b32 s44, s44, s46
.LBB193_64:                             ;   in Loop: Header=BB193_55 Depth=3
	s_or_b32 exec_lo, exec_lo, s45
	s_delay_alu instid0(SALU_CYCLE_1)
	s_and_b32 s44, s44, exec_lo
                                        ; implicit-def: $vgpr25
.LBB193_65:                             ;   in Loop: Header=BB193_55 Depth=3
	s_and_not1_saveexec_b32 s43, s43
	s_cbranch_execz .LBB193_54
; %bb.66:                               ;   in Loop: Header=BB193_55 Depth=3
	v_mul_lo_u32 v26, v27, 28
	s_mov_b32 s45, 0
	s_delay_alu instid0(VALU_DEP_1)
	v_add_nc_u32_e32 v28, v25, v26
	ds_load_b64 v[25:26], v28 offset:2064
.LBB193_67:                             ;   Parent Loop BB193_18 Depth=1
                                        ;     Parent Loop BB193_21 Depth=2
                                        ;       Parent Loop BB193_55 Depth=3
                                        ; =>      This Inner Loop Header: Depth=4
	s_waitcnt lgkmcnt(0)
	v_add_f64 v[29:30], v[25:26], v[23:24]
	ds_cmpstore_rtn_b64 v[29:30], v28, v[29:30], v[25:26] offset:2064
	s_waitcnt lgkmcnt(0)
	v_cmp_eq_u64_e32 vcc_lo, v[29:30], v[25:26]
	v_dual_mov_b32 v25, v29 :: v_dual_mov_b32 v26, v30
	s_or_b32 s45, vcc_lo, s45
	s_delay_alu instid0(SALU_CYCLE_1)
	s_and_not1_b32 exec_lo, exec_lo, s45
	s_cbranch_execnz .LBB193_67
; %bb.68:                               ;   in Loop: Header=BB193_55 Depth=3
	s_or_b32 exec_lo, exec_lo, s45
	s_delay_alu instid0(SALU_CYCLE_1)
	s_and_not1_b32 s44, s44, exec_lo
	s_branch .LBB193_54
.LBB193_69:                             ;   in Loop: Header=BB193_21 Depth=2
	s_or_b32 exec_lo, exec_lo, s42
	v_mul_f64 v[21:22], v[11:12], v[21:22]
	s_mov_b32 s42, 0
	s_delay_alu instid0(VALU_DEP_1)
	v_fma_f64 v[19:20], v[13:14], v[19:20], v[21:22]
	s_branch .LBB193_71
.LBB193_70:                             ;   in Loop: Header=BB193_71 Depth=3
	s_or_b32 exec_lo, exec_lo, s43
	s_xor_b32 s43, s44, -1
	s_delay_alu instid0(SALU_CYCLE_1) | instskip(NEXT) | instid1(SALU_CYCLE_1)
	s_and_b32 s43, exec_lo, s43
	s_or_b32 s42, s43, s42
	s_delay_alu instid0(SALU_CYCLE_1)
	s_and_not1_b32 exec_lo, exec_lo, s42
	s_cbranch_execz .LBB193_20
.LBB193_71:                             ;   Parent Loop BB193_18 Depth=1
                                        ;     Parent Loop BB193_21 Depth=2
                                        ; =>    This Loop Header: Depth=3
                                        ;         Child Loop BB193_77 Depth 4
                                        ;         Child Loop BB193_83 Depth 4
	v_lshl_add_u32 v21, v34, 2, 0
	s_mov_b32 s43, exec_lo
                                        ; implicit-def: $sgpr44
	ds_load_b32 v22, v21
	s_waitcnt lgkmcnt(0)
	v_cmpx_ne_u32_e64 v22, v33
	s_xor_b32 s43, exec_lo, s43
	s_cbranch_execz .LBB193_81
; %bb.72:                               ;   in Loop: Header=BB193_71 Depth=3
	s_mov_b32 s45, exec_lo
                                        ; implicit-def: $sgpr44
	v_cmpx_ne_u32_e64 s33, v22
	s_xor_b32 s45, exec_lo, s45
; %bb.73:                               ;   in Loop: Header=BB193_71 Depth=3
	v_add_nc_u32_e32 v21, 1, v34
	s_mov_b32 s44, -1
	s_delay_alu instid0(VALU_DEP_1)
	v_and_b32_e32 v34, 0x1ff, v21
                                        ; implicit-def: $vgpr21
; %bb.74:                               ;   in Loop: Header=BB193_71 Depth=3
	s_and_not1_saveexec_b32 s45, s45
	s_cbranch_execz .LBB193_80
; %bb.75:                               ;   in Loop: Header=BB193_71 Depth=3
	v_mov_b32_e32 v22, s33
	s_mov_b32 s47, -1
	s_mov_b32 s46, exec_lo
	ds_cmpstore_rtn_b32 v22, v21, v33, v22
	s_waitcnt lgkmcnt(0)
	v_cmpx_eq_u32_e64 s33, v22
	s_cbranch_execz .LBB193_79
; %bb.76:                               ;   in Loop: Header=BB193_71 Depth=3
	v_mul_lo_u32 v22, v34, 28
	s_mov_b32 s47, 0
	s_delay_alu instid0(VALU_DEP_1)
	v_add_nc_u32_e32 v23, v21, v22
	ds_load_b64 v[21:22], v23 offset:2072
.LBB193_77:                             ;   Parent Loop BB193_18 Depth=1
                                        ;     Parent Loop BB193_21 Depth=2
                                        ;       Parent Loop BB193_71 Depth=3
                                        ; =>      This Inner Loop Header: Depth=4
	s_waitcnt lgkmcnt(0)
	v_add_f64 v[24:25], v[21:22], v[19:20]
	ds_cmpstore_rtn_b64 v[24:25], v23, v[24:25], v[21:22] offset:2072
	s_waitcnt lgkmcnt(0)
	v_cmp_eq_u64_e32 vcc_lo, v[24:25], v[21:22]
	v_dual_mov_b32 v21, v24 :: v_dual_mov_b32 v22, v25
	s_or_b32 s47, vcc_lo, s47
	s_delay_alu instid0(SALU_CYCLE_1)
	s_and_not1_b32 exec_lo, exec_lo, s47
	s_cbranch_execnz .LBB193_77
; %bb.78:                               ;   in Loop: Header=BB193_71 Depth=3
	s_or_b32 exec_lo, exec_lo, s47
	s_delay_alu instid0(SALU_CYCLE_1)
	s_xor_b32 s47, exec_lo, -1
.LBB193_79:                             ;   in Loop: Header=BB193_71 Depth=3
	s_or_b32 exec_lo, exec_lo, s46
	s_delay_alu instid0(SALU_CYCLE_1) | instskip(SKIP_1) | instid1(SALU_CYCLE_1)
	s_and_not1_b32 s44, s44, exec_lo
	s_and_b32 s46, s47, exec_lo
	s_or_b32 s44, s44, s46
.LBB193_80:                             ;   in Loop: Header=BB193_71 Depth=3
	s_or_b32 exec_lo, exec_lo, s45
	s_delay_alu instid0(SALU_CYCLE_1)
	s_and_b32 s44, s44, exec_lo
                                        ; implicit-def: $vgpr21
.LBB193_81:                             ;   in Loop: Header=BB193_71 Depth=3
	s_and_not1_saveexec_b32 s43, s43
	s_cbranch_execz .LBB193_70
; %bb.82:                               ;   in Loop: Header=BB193_71 Depth=3
	v_mul_lo_u32 v22, v34, 28
	s_mov_b32 s45, 0
	s_delay_alu instid0(VALU_DEP_1)
	v_add_nc_u32_e32 v23, v21, v22
	ds_load_b64 v[21:22], v23 offset:2072
.LBB193_83:                             ;   Parent Loop BB193_18 Depth=1
                                        ;     Parent Loop BB193_21 Depth=2
                                        ;       Parent Loop BB193_71 Depth=3
                                        ; =>      This Inner Loop Header: Depth=4
	s_waitcnt lgkmcnt(0)
	v_add_f64 v[24:25], v[21:22], v[19:20]
	ds_cmpstore_rtn_b64 v[24:25], v23, v[24:25], v[21:22] offset:2072
	s_waitcnt lgkmcnt(0)
	v_cmp_eq_u64_e32 vcc_lo, v[24:25], v[21:22]
	v_dual_mov_b32 v21, v24 :: v_dual_mov_b32 v22, v25
	s_or_b32 s45, vcc_lo, s45
	s_delay_alu instid0(SALU_CYCLE_1)
	s_and_not1_b32 exec_lo, exec_lo, s45
	s_cbranch_execnz .LBB193_83
; %bb.84:                               ;   in Loop: Header=BB193_71 Depth=3
	s_or_b32 exec_lo, exec_lo, s45
	s_delay_alu instid0(SALU_CYCLE_1)
	s_and_not1_b32 s44, s44, exec_lo
	s_branch .LBB193_70
.LBB193_85:
	s_or_b32 exec_lo, exec_lo, s3
.LBB193_86:
	s_delay_alu instid0(SALU_CYCLE_1)
	s_and_not1_b32 vcc_lo, exec_lo, s40
	s_barrier
	buffer_gl0_inv
	s_cbranch_vccnz .LBB193_155
; %bb.87:
	s_lshl_b64 s[0:1], s[34:35], 3
	s_mov_b32 s3, exec_lo
	s_add_u32 s0, s4, s0
	s_addc_u32 s1, s5, s1
	s_mov_b32 s4, 0
	s_load_b128 s[12:15], s[0:1], 0x0
	v_sub_co_u32 v3, s0, v0, s23
	s_delay_alu instid0(VALU_DEP_1) | instskip(SKIP_1) | instid1(VALU_DEP_2)
	v_sub_co_ci_u32_e64 v4, null, 0, 0, s0
	s_waitcnt lgkmcnt(0)
	v_add_co_u32 v3, vcc_lo, s12, v3
	s_delay_alu instid0(VALU_DEP_2)
	v_add_co_ci_u32_e32 v4, vcc_lo, s13, v4, vcc_lo
	s_sub_u32 s0, s14, s23
	s_subb_u32 s1, s15, 0
	s_delay_alu instid0(VALU_DEP_1) | instid1(SALU_CYCLE_1)
	v_cmpx_gt_i64_e64 s[0:1], v[3:4]
	s_cbranch_execz .LBB193_154
; %bb.88:
	s_cmp_eq_u32 s36, 0
	s_cselect_b32 s5, 1, 2
	s_cselect_b32 s12, 2, 1
	s_branch .LBB193_90
.LBB193_89:                             ;   in Loop: Header=BB193_90 Depth=1
	s_or_b32 exec_lo, exec_lo, s13
	v_add_co_u32 v3, vcc_lo, 0x100, v3
	v_add_co_ci_u32_e32 v4, vcc_lo, 0, v4, vcc_lo
	s_delay_alu instid0(VALU_DEP_1) | instskip(SKIP_1) | instid1(SALU_CYCLE_1)
	v_cmp_le_i64_e32 vcc_lo, s[0:1], v[3:4]
	s_or_b32 s4, vcc_lo, s4
	s_and_not1_b32 exec_lo, exec_lo, s4
	s_cbranch_execz .LBB193_154
.LBB193_90:                             ; =>This Loop Header: Depth=1
                                        ;     Child Loop BB193_92 Depth 2
                                        ;       Child Loop BB193_98 Depth 3
                                        ;       Child Loop BB193_104 Depth 3
                                        ;     Child Loop BB193_108 Depth 2
                                        ;       Child Loop BB193_114 Depth 3
                                        ;       Child Loop BB193_120 Depth 3
	;; [unrolled: 3-line block ×4, first 2 shown]
	v_lshlrev_b64 v[5:6], 5, v[3:4]
	v_lshlrev_b64 v[7:8], 2, v[3:4]
	s_mov_b32 s13, 0
	s_delay_alu instid0(VALU_DEP_2) | instskip(NEXT) | instid1(VALU_DEP_3)
	v_add_co_u32 v5, vcc_lo, s8, v5
	v_add_co_ci_u32_e32 v6, vcc_lo, s9, v6, vcc_lo
	s_delay_alu instid0(VALU_DEP_3) | instskip(NEXT) | instid1(VALU_DEP_4)
	v_add_co_u32 v9, vcc_lo, s6, v7
	v_add_co_ci_u32_e32 v10, vcc_lo, s7, v8, vcc_lo
	global_load_b64 v[11:12], v[5:6], off
	v_or_b32_e32 v14, 0, v8
	v_or_b32_e32 v13, s12, v7
	global_load_b32 v15, v[9:10], off
	v_or_b32_e32 v8, 0, v8
	v_or_b32_e32 v7, s5, v7
	v_lshlrev_b64 v[9:10], 3, v[13:14]
	s_delay_alu instid0(VALU_DEP_2) | instskip(NEXT) | instid1(VALU_DEP_2)
	v_lshlrev_b64 v[7:8], 3, v[7:8]
	v_add_co_u32 v9, vcc_lo, s8, v9
	s_delay_alu instid0(VALU_DEP_3) | instskip(NEXT) | instid1(VALU_DEP_3)
	v_add_co_ci_u32_e32 v10, vcc_lo, s9, v10, vcc_lo
	v_add_co_u32 v13, vcc_lo, s8, v7
	s_delay_alu instid0(VALU_DEP_4)
	v_add_co_ci_u32_e32 v14, vcc_lo, s9, v8, vcc_lo
	s_clause 0x2
	global_load_b64 v[7:8], v[9:10], off
	global_load_b64 v[9:10], v[13:14], off
	global_load_b64 v[5:6], v[5:6], off offset:24
	s_waitcnt vmcnt(4)
	v_mul_f64 v[11:12], v[1:2], v[11:12]
	s_waitcnt vmcnt(3)
	v_subrev_nc_u32_e32 v15, s23, v15
	s_delay_alu instid0(VALU_DEP_1) | instskip(NEXT) | instid1(VALU_DEP_1)
	v_mul_lo_u32 v13, 0x89, v15
	v_and_b32_e32 v16, 0x1ff, v13
	s_delay_alu instid0(VALU_DEP_1)
	v_mov_b32_e32 v17, v16
	s_branch .LBB193_92
.LBB193_91:                             ;   in Loop: Header=BB193_92 Depth=2
	s_or_b32 exec_lo, exec_lo, s14
	s_xor_b32 s14, s15, -1
	s_delay_alu instid0(SALU_CYCLE_1) | instskip(NEXT) | instid1(SALU_CYCLE_1)
	s_and_b32 s14, exec_lo, s14
	s_or_b32 s13, s14, s13
	s_delay_alu instid0(SALU_CYCLE_1)
	s_and_not1_b32 exec_lo, exec_lo, s13
	s_cbranch_execz .LBB193_106
.LBB193_92:                             ;   Parent Loop BB193_90 Depth=1
                                        ; =>  This Loop Header: Depth=2
                                        ;       Child Loop BB193_98 Depth 3
                                        ;       Child Loop BB193_104 Depth 3
	s_delay_alu instid0(VALU_DEP_1)
	v_lshl_add_u32 v13, v17, 2, 0
	s_mov_b32 s14, exec_lo
                                        ; implicit-def: $sgpr15
	ds_load_b32 v14, v13
	s_waitcnt lgkmcnt(0)
	v_cmpx_ne_u32_e64 v14, v15
	s_xor_b32 s14, exec_lo, s14
	s_cbranch_execz .LBB193_102
; %bb.93:                               ;   in Loop: Header=BB193_92 Depth=2
	s_mov_b32 s16, exec_lo
                                        ; implicit-def: $sgpr15
	v_cmpx_ne_u32_e64 s33, v14
	s_xor_b32 s16, exec_lo, s16
; %bb.94:                               ;   in Loop: Header=BB193_92 Depth=2
	v_add_nc_u32_e32 v13, 1, v17
	s_mov_b32 s15, -1
	s_delay_alu instid0(VALU_DEP_1)
	v_and_b32_e32 v17, 0x1ff, v13
                                        ; implicit-def: $vgpr13
; %bb.95:                               ;   in Loop: Header=BB193_92 Depth=2
	s_and_not1_saveexec_b32 s16, s16
	s_cbranch_execz .LBB193_101
; %bb.96:                               ;   in Loop: Header=BB193_92 Depth=2
	v_mov_b32_e32 v14, s33
	s_mov_b32 s18, -1
	s_mov_b32 s17, exec_lo
	ds_cmpstore_rtn_b32 v14, v13, v15, v14
	s_waitcnt lgkmcnt(0)
	v_cmpx_eq_u32_e64 s33, v14
	s_cbranch_execz .LBB193_100
; %bb.97:                               ;   in Loop: Header=BB193_92 Depth=2
	v_mul_lo_u32 v14, v17, 28
	s_mov_b32 s18, 0
	s_delay_alu instid0(VALU_DEP_1)
	v_add_nc_u32_e32 v18, v13, v14
	ds_load_b64 v[13:14], v18 offset:2048
.LBB193_98:                             ;   Parent Loop BB193_90 Depth=1
                                        ;     Parent Loop BB193_92 Depth=2
                                        ; =>    This Inner Loop Header: Depth=3
	s_waitcnt lgkmcnt(0)
	v_add_f64 v[19:20], v[13:14], v[11:12]
	ds_cmpstore_rtn_b64 v[19:20], v18, v[19:20], v[13:14] offset:2048
	s_waitcnt lgkmcnt(0)
	v_cmp_eq_u64_e32 vcc_lo, v[19:20], v[13:14]
	v_dual_mov_b32 v13, v19 :: v_dual_mov_b32 v14, v20
	s_or_b32 s18, vcc_lo, s18
	s_delay_alu instid0(SALU_CYCLE_1)
	s_and_not1_b32 exec_lo, exec_lo, s18
	s_cbranch_execnz .LBB193_98
; %bb.99:                               ;   in Loop: Header=BB193_92 Depth=2
	s_or_b32 exec_lo, exec_lo, s18
	s_delay_alu instid0(SALU_CYCLE_1)
	s_xor_b32 s18, exec_lo, -1
.LBB193_100:                            ;   in Loop: Header=BB193_92 Depth=2
	s_or_b32 exec_lo, exec_lo, s17
	s_delay_alu instid0(SALU_CYCLE_1) | instskip(SKIP_1) | instid1(SALU_CYCLE_1)
	s_and_not1_b32 s15, s15, exec_lo
	s_and_b32 s17, s18, exec_lo
	s_or_b32 s15, s15, s17
.LBB193_101:                            ;   in Loop: Header=BB193_92 Depth=2
	s_or_b32 exec_lo, exec_lo, s16
	s_delay_alu instid0(SALU_CYCLE_1)
	s_and_b32 s15, s15, exec_lo
                                        ; implicit-def: $vgpr13
.LBB193_102:                            ;   in Loop: Header=BB193_92 Depth=2
	s_and_not1_saveexec_b32 s14, s14
	s_cbranch_execz .LBB193_91
; %bb.103:                              ;   in Loop: Header=BB193_92 Depth=2
	v_mul_lo_u32 v14, v17, 28
	s_mov_b32 s16, 0
	s_delay_alu instid0(VALU_DEP_1)
	v_add_nc_u32_e32 v18, v13, v14
	ds_load_b64 v[13:14], v18 offset:2048
.LBB193_104:                            ;   Parent Loop BB193_90 Depth=1
                                        ;     Parent Loop BB193_92 Depth=2
                                        ; =>    This Inner Loop Header: Depth=3
	s_waitcnt lgkmcnt(0)
	v_add_f64 v[19:20], v[13:14], v[11:12]
	ds_cmpstore_rtn_b64 v[19:20], v18, v[19:20], v[13:14] offset:2048
	s_waitcnt lgkmcnt(0)
	v_cmp_eq_u64_e32 vcc_lo, v[19:20], v[13:14]
	v_dual_mov_b32 v13, v19 :: v_dual_mov_b32 v14, v20
	s_or_b32 s16, vcc_lo, s16
	s_delay_alu instid0(SALU_CYCLE_1)
	s_and_not1_b32 exec_lo, exec_lo, s16
	s_cbranch_execnz .LBB193_104
; %bb.105:                              ;   in Loop: Header=BB193_92 Depth=2
	s_or_b32 exec_lo, exec_lo, s16
	s_delay_alu instid0(SALU_CYCLE_1)
	s_and_not1_b32 s15, s15, exec_lo
	s_branch .LBB193_91
.LBB193_106:                            ;   in Loop: Header=BB193_90 Depth=1
	s_or_b32 exec_lo, exec_lo, s13
	s_waitcnt vmcnt(1)
	v_mul_f64 v[9:10], v[1:2], v[9:10]
	v_mov_b32_e32 v13, v16
	s_mov_b32 s13, 0
	s_branch .LBB193_108
.LBB193_107:                            ;   in Loop: Header=BB193_108 Depth=2
	s_or_b32 exec_lo, exec_lo, s14
	s_xor_b32 s14, s15, -1
	s_delay_alu instid0(SALU_CYCLE_1) | instskip(NEXT) | instid1(SALU_CYCLE_1)
	s_and_b32 s14, exec_lo, s14
	s_or_b32 s13, s14, s13
	s_delay_alu instid0(SALU_CYCLE_1)
	s_and_not1_b32 exec_lo, exec_lo, s13
	s_cbranch_execz .LBB193_122
.LBB193_108:                            ;   Parent Loop BB193_90 Depth=1
                                        ; =>  This Loop Header: Depth=2
                                        ;       Child Loop BB193_114 Depth 3
                                        ;       Child Loop BB193_120 Depth 3
	s_delay_alu instid0(VALU_DEP_1)
	v_lshl_add_u32 v11, v13, 2, 0
	s_mov_b32 s14, exec_lo
                                        ; implicit-def: $sgpr15
	ds_load_b32 v12, v11
	s_waitcnt lgkmcnt(0)
	v_cmpx_ne_u32_e64 v12, v15
	s_xor_b32 s14, exec_lo, s14
	s_cbranch_execz .LBB193_118
; %bb.109:                              ;   in Loop: Header=BB193_108 Depth=2
	s_mov_b32 s16, exec_lo
                                        ; implicit-def: $sgpr15
	v_cmpx_ne_u32_e64 s33, v12
	s_xor_b32 s16, exec_lo, s16
; %bb.110:                              ;   in Loop: Header=BB193_108 Depth=2
	v_add_nc_u32_e32 v11, 1, v13
	s_mov_b32 s15, -1
	s_delay_alu instid0(VALU_DEP_1)
	v_and_b32_e32 v13, 0x1ff, v11
                                        ; implicit-def: $vgpr11
; %bb.111:                              ;   in Loop: Header=BB193_108 Depth=2
	s_and_not1_saveexec_b32 s16, s16
	s_cbranch_execz .LBB193_117
; %bb.112:                              ;   in Loop: Header=BB193_108 Depth=2
	v_mov_b32_e32 v12, s33
	s_mov_b32 s18, -1
	s_mov_b32 s17, exec_lo
	ds_cmpstore_rtn_b32 v12, v11, v15, v12
	s_waitcnt lgkmcnt(0)
	v_cmpx_eq_u32_e64 s33, v12
	s_cbranch_execz .LBB193_116
; %bb.113:                              ;   in Loop: Header=BB193_108 Depth=2
	v_mul_lo_u32 v12, v13, 28
	s_mov_b32 s18, 0
	s_delay_alu instid0(VALU_DEP_1)
	v_add_nc_u32_e32 v14, v11, v12
	ds_load_b64 v[11:12], v14 offset:2056
.LBB193_114:                            ;   Parent Loop BB193_90 Depth=1
                                        ;     Parent Loop BB193_108 Depth=2
                                        ; =>    This Inner Loop Header: Depth=3
	s_waitcnt lgkmcnt(0)
	v_add_f64 v[17:18], v[11:12], v[9:10]
	ds_cmpstore_rtn_b64 v[17:18], v14, v[17:18], v[11:12] offset:2056
	s_waitcnt lgkmcnt(0)
	v_cmp_eq_u64_e32 vcc_lo, v[17:18], v[11:12]
	v_dual_mov_b32 v11, v17 :: v_dual_mov_b32 v12, v18
	s_or_b32 s18, vcc_lo, s18
	s_delay_alu instid0(SALU_CYCLE_1)
	s_and_not1_b32 exec_lo, exec_lo, s18
	s_cbranch_execnz .LBB193_114
; %bb.115:                              ;   in Loop: Header=BB193_108 Depth=2
	s_or_b32 exec_lo, exec_lo, s18
	s_delay_alu instid0(SALU_CYCLE_1)
	s_xor_b32 s18, exec_lo, -1
.LBB193_116:                            ;   in Loop: Header=BB193_108 Depth=2
	s_or_b32 exec_lo, exec_lo, s17
	s_delay_alu instid0(SALU_CYCLE_1) | instskip(SKIP_1) | instid1(SALU_CYCLE_1)
	s_and_not1_b32 s15, s15, exec_lo
	s_and_b32 s17, s18, exec_lo
	s_or_b32 s15, s15, s17
.LBB193_117:                            ;   in Loop: Header=BB193_108 Depth=2
	s_or_b32 exec_lo, exec_lo, s16
	s_delay_alu instid0(SALU_CYCLE_1)
	s_and_b32 s15, s15, exec_lo
                                        ; implicit-def: $vgpr11
.LBB193_118:                            ;   in Loop: Header=BB193_108 Depth=2
	s_and_not1_saveexec_b32 s14, s14
	s_cbranch_execz .LBB193_107
; %bb.119:                              ;   in Loop: Header=BB193_108 Depth=2
	v_mul_lo_u32 v12, v13, 28
	s_mov_b32 s16, 0
	s_delay_alu instid0(VALU_DEP_1)
	v_add_nc_u32_e32 v14, v11, v12
	ds_load_b64 v[11:12], v14 offset:2056
.LBB193_120:                            ;   Parent Loop BB193_90 Depth=1
                                        ;     Parent Loop BB193_108 Depth=2
                                        ; =>    This Inner Loop Header: Depth=3
	s_waitcnt lgkmcnt(0)
	v_add_f64 v[17:18], v[11:12], v[9:10]
	ds_cmpstore_rtn_b64 v[17:18], v14, v[17:18], v[11:12] offset:2056
	s_waitcnt lgkmcnt(0)
	v_cmp_eq_u64_e32 vcc_lo, v[17:18], v[11:12]
	v_dual_mov_b32 v11, v17 :: v_dual_mov_b32 v12, v18
	s_or_b32 s16, vcc_lo, s16
	s_delay_alu instid0(SALU_CYCLE_1)
	s_and_not1_b32 exec_lo, exec_lo, s16
	s_cbranch_execnz .LBB193_120
; %bb.121:                              ;   in Loop: Header=BB193_108 Depth=2
	s_or_b32 exec_lo, exec_lo, s16
	s_delay_alu instid0(SALU_CYCLE_1)
	s_and_not1_b32 s15, s15, exec_lo
	s_branch .LBB193_107
.LBB193_122:                            ;   in Loop: Header=BB193_90 Depth=1
	s_or_b32 exec_lo, exec_lo, s13
	v_mul_f64 v[7:8], v[1:2], v[7:8]
	v_mov_b32_e32 v11, v16
	s_mov_b32 s13, 0
	s_branch .LBB193_124
.LBB193_123:                            ;   in Loop: Header=BB193_124 Depth=2
	s_or_b32 exec_lo, exec_lo, s14
	s_xor_b32 s14, s15, -1
	s_delay_alu instid0(SALU_CYCLE_1) | instskip(NEXT) | instid1(SALU_CYCLE_1)
	s_and_b32 s14, exec_lo, s14
	s_or_b32 s13, s14, s13
	s_delay_alu instid0(SALU_CYCLE_1)
	s_and_not1_b32 exec_lo, exec_lo, s13
	s_cbranch_execz .LBB193_138
.LBB193_124:                            ;   Parent Loop BB193_90 Depth=1
                                        ; =>  This Loop Header: Depth=2
                                        ;       Child Loop BB193_130 Depth 3
                                        ;       Child Loop BB193_136 Depth 3
	s_delay_alu instid0(VALU_DEP_1)
	v_lshl_add_u32 v9, v11, 2, 0
	s_mov_b32 s14, exec_lo
                                        ; implicit-def: $sgpr15
	ds_load_b32 v10, v9
	s_waitcnt lgkmcnt(0)
	v_cmpx_ne_u32_e64 v10, v15
	s_xor_b32 s14, exec_lo, s14
	s_cbranch_execz .LBB193_134
; %bb.125:                              ;   in Loop: Header=BB193_124 Depth=2
	s_mov_b32 s16, exec_lo
                                        ; implicit-def: $sgpr15
	v_cmpx_ne_u32_e64 s33, v10
	s_xor_b32 s16, exec_lo, s16
; %bb.126:                              ;   in Loop: Header=BB193_124 Depth=2
	v_add_nc_u32_e32 v9, 1, v11
	s_mov_b32 s15, -1
	s_delay_alu instid0(VALU_DEP_1)
	v_and_b32_e32 v11, 0x1ff, v9
                                        ; implicit-def: $vgpr9
; %bb.127:                              ;   in Loop: Header=BB193_124 Depth=2
	s_and_not1_saveexec_b32 s16, s16
	s_cbranch_execz .LBB193_133
; %bb.128:                              ;   in Loop: Header=BB193_124 Depth=2
	v_mov_b32_e32 v10, s33
	s_mov_b32 s18, -1
	s_mov_b32 s17, exec_lo
	ds_cmpstore_rtn_b32 v10, v9, v15, v10
	s_waitcnt lgkmcnt(0)
	v_cmpx_eq_u32_e64 s33, v10
	s_cbranch_execz .LBB193_132
; %bb.129:                              ;   in Loop: Header=BB193_124 Depth=2
	v_mul_lo_u32 v10, v11, 28
	s_mov_b32 s18, 0
	s_delay_alu instid0(VALU_DEP_1)
	v_add_nc_u32_e32 v12, v9, v10
	ds_load_b64 v[9:10], v12 offset:2064
.LBB193_130:                            ;   Parent Loop BB193_90 Depth=1
                                        ;     Parent Loop BB193_124 Depth=2
                                        ; =>    This Inner Loop Header: Depth=3
	s_waitcnt lgkmcnt(0)
	v_add_f64 v[13:14], v[9:10], v[7:8]
	ds_cmpstore_rtn_b64 v[13:14], v12, v[13:14], v[9:10] offset:2064
	s_waitcnt lgkmcnt(0)
	v_cmp_eq_u64_e32 vcc_lo, v[13:14], v[9:10]
	v_dual_mov_b32 v9, v13 :: v_dual_mov_b32 v10, v14
	s_or_b32 s18, vcc_lo, s18
	s_delay_alu instid0(SALU_CYCLE_1)
	s_and_not1_b32 exec_lo, exec_lo, s18
	s_cbranch_execnz .LBB193_130
; %bb.131:                              ;   in Loop: Header=BB193_124 Depth=2
	s_or_b32 exec_lo, exec_lo, s18
	s_delay_alu instid0(SALU_CYCLE_1)
	s_xor_b32 s18, exec_lo, -1
.LBB193_132:                            ;   in Loop: Header=BB193_124 Depth=2
	s_or_b32 exec_lo, exec_lo, s17
	s_delay_alu instid0(SALU_CYCLE_1) | instskip(SKIP_1) | instid1(SALU_CYCLE_1)
	s_and_not1_b32 s15, s15, exec_lo
	s_and_b32 s17, s18, exec_lo
	s_or_b32 s15, s15, s17
.LBB193_133:                            ;   in Loop: Header=BB193_124 Depth=2
	s_or_b32 exec_lo, exec_lo, s16
	s_delay_alu instid0(SALU_CYCLE_1)
	s_and_b32 s15, s15, exec_lo
                                        ; implicit-def: $vgpr9
.LBB193_134:                            ;   in Loop: Header=BB193_124 Depth=2
	s_and_not1_saveexec_b32 s14, s14
	s_cbranch_execz .LBB193_123
; %bb.135:                              ;   in Loop: Header=BB193_124 Depth=2
	v_mul_lo_u32 v10, v11, 28
	s_mov_b32 s16, 0
	s_delay_alu instid0(VALU_DEP_1)
	v_add_nc_u32_e32 v12, v9, v10
	ds_load_b64 v[9:10], v12 offset:2064
.LBB193_136:                            ;   Parent Loop BB193_90 Depth=1
                                        ;     Parent Loop BB193_124 Depth=2
                                        ; =>    This Inner Loop Header: Depth=3
	s_waitcnt lgkmcnt(0)
	v_add_f64 v[13:14], v[9:10], v[7:8]
	ds_cmpstore_rtn_b64 v[13:14], v12, v[13:14], v[9:10] offset:2064
	s_waitcnt lgkmcnt(0)
	v_cmp_eq_u64_e32 vcc_lo, v[13:14], v[9:10]
	v_dual_mov_b32 v9, v13 :: v_dual_mov_b32 v10, v14
	s_or_b32 s16, vcc_lo, s16
	s_delay_alu instid0(SALU_CYCLE_1)
	s_and_not1_b32 exec_lo, exec_lo, s16
	s_cbranch_execnz .LBB193_136
; %bb.137:                              ;   in Loop: Header=BB193_124 Depth=2
	s_or_b32 exec_lo, exec_lo, s16
	s_delay_alu instid0(SALU_CYCLE_1)
	s_and_not1_b32 s15, s15, exec_lo
	s_branch .LBB193_123
.LBB193_138:                            ;   in Loop: Header=BB193_90 Depth=1
	s_or_b32 exec_lo, exec_lo, s13
	s_waitcnt vmcnt(0)
	v_mul_f64 v[5:6], v[1:2], v[5:6]
	s_mov_b32 s13, 0
	s_branch .LBB193_140
.LBB193_139:                            ;   in Loop: Header=BB193_140 Depth=2
	s_or_b32 exec_lo, exec_lo, s14
	s_xor_b32 s14, s15, -1
	s_delay_alu instid0(SALU_CYCLE_1) | instskip(NEXT) | instid1(SALU_CYCLE_1)
	s_and_b32 s14, exec_lo, s14
	s_or_b32 s13, s14, s13
	s_delay_alu instid0(SALU_CYCLE_1)
	s_and_not1_b32 exec_lo, exec_lo, s13
	s_cbranch_execz .LBB193_89
.LBB193_140:                            ;   Parent Loop BB193_90 Depth=1
                                        ; =>  This Loop Header: Depth=2
                                        ;       Child Loop BB193_146 Depth 3
                                        ;       Child Loop BB193_152 Depth 3
	v_lshl_add_u32 v7, v16, 2, 0
	s_mov_b32 s14, exec_lo
                                        ; implicit-def: $sgpr15
	ds_load_b32 v8, v7
	s_waitcnt lgkmcnt(0)
	v_cmpx_ne_u32_e64 v8, v15
	s_xor_b32 s14, exec_lo, s14
	s_cbranch_execz .LBB193_150
; %bb.141:                              ;   in Loop: Header=BB193_140 Depth=2
	s_mov_b32 s16, exec_lo
                                        ; implicit-def: $sgpr15
	v_cmpx_ne_u32_e64 s33, v8
	s_xor_b32 s16, exec_lo, s16
; %bb.142:                              ;   in Loop: Header=BB193_140 Depth=2
	v_add_nc_u32_e32 v7, 1, v16
	s_mov_b32 s15, -1
	s_delay_alu instid0(VALU_DEP_1)
	v_and_b32_e32 v16, 0x1ff, v7
                                        ; implicit-def: $vgpr7
; %bb.143:                              ;   in Loop: Header=BB193_140 Depth=2
	s_and_not1_saveexec_b32 s16, s16
	s_cbranch_execz .LBB193_149
; %bb.144:                              ;   in Loop: Header=BB193_140 Depth=2
	v_mov_b32_e32 v8, s33
	s_mov_b32 s18, -1
	s_mov_b32 s17, exec_lo
	ds_cmpstore_rtn_b32 v8, v7, v15, v8
	s_waitcnt lgkmcnt(0)
	v_cmpx_eq_u32_e64 s33, v8
	s_cbranch_execz .LBB193_148
; %bb.145:                              ;   in Loop: Header=BB193_140 Depth=2
	v_mul_lo_u32 v8, v16, 28
	s_mov_b32 s18, 0
	s_delay_alu instid0(VALU_DEP_1)
	v_add_nc_u32_e32 v9, v7, v8
	ds_load_b64 v[7:8], v9 offset:2072
.LBB193_146:                            ;   Parent Loop BB193_90 Depth=1
                                        ;     Parent Loop BB193_140 Depth=2
                                        ; =>    This Inner Loop Header: Depth=3
	s_waitcnt lgkmcnt(0)
	v_add_f64 v[10:11], v[7:8], v[5:6]
	ds_cmpstore_rtn_b64 v[10:11], v9, v[10:11], v[7:8] offset:2072
	s_waitcnt lgkmcnt(0)
	v_cmp_eq_u64_e32 vcc_lo, v[10:11], v[7:8]
	v_dual_mov_b32 v7, v10 :: v_dual_mov_b32 v8, v11
	s_or_b32 s18, vcc_lo, s18
	s_delay_alu instid0(SALU_CYCLE_1)
	s_and_not1_b32 exec_lo, exec_lo, s18
	s_cbranch_execnz .LBB193_146
; %bb.147:                              ;   in Loop: Header=BB193_140 Depth=2
	s_or_b32 exec_lo, exec_lo, s18
	s_delay_alu instid0(SALU_CYCLE_1)
	s_xor_b32 s18, exec_lo, -1
.LBB193_148:                            ;   in Loop: Header=BB193_140 Depth=2
	s_or_b32 exec_lo, exec_lo, s17
	s_delay_alu instid0(SALU_CYCLE_1) | instskip(SKIP_1) | instid1(SALU_CYCLE_1)
	s_and_not1_b32 s15, s15, exec_lo
	s_and_b32 s17, s18, exec_lo
	s_or_b32 s15, s15, s17
.LBB193_149:                            ;   in Loop: Header=BB193_140 Depth=2
	s_or_b32 exec_lo, exec_lo, s16
	s_delay_alu instid0(SALU_CYCLE_1)
	s_and_b32 s15, s15, exec_lo
                                        ; implicit-def: $vgpr7
.LBB193_150:                            ;   in Loop: Header=BB193_140 Depth=2
	s_and_not1_saveexec_b32 s14, s14
	s_cbranch_execz .LBB193_139
; %bb.151:                              ;   in Loop: Header=BB193_140 Depth=2
	v_mul_lo_u32 v8, v16, 28
	s_mov_b32 s16, 0
	s_delay_alu instid0(VALU_DEP_1)
	v_add_nc_u32_e32 v9, v7, v8
	ds_load_b64 v[7:8], v9 offset:2072
.LBB193_152:                            ;   Parent Loop BB193_90 Depth=1
                                        ;     Parent Loop BB193_140 Depth=2
                                        ; =>    This Inner Loop Header: Depth=3
	s_waitcnt lgkmcnt(0)
	v_add_f64 v[10:11], v[7:8], v[5:6]
	ds_cmpstore_rtn_b64 v[10:11], v9, v[10:11], v[7:8] offset:2072
	s_waitcnt lgkmcnt(0)
	v_cmp_eq_u64_e32 vcc_lo, v[10:11], v[7:8]
	v_dual_mov_b32 v7, v10 :: v_dual_mov_b32 v8, v11
	s_or_b32 s16, vcc_lo, s16
	s_delay_alu instid0(SALU_CYCLE_1)
	s_and_not1_b32 exec_lo, exec_lo, s16
	s_cbranch_execnz .LBB193_152
; %bb.153:                              ;   in Loop: Header=BB193_140 Depth=2
	s_or_b32 exec_lo, exec_lo, s16
	s_delay_alu instid0(SALU_CYCLE_1)
	s_and_not1_b32 s15, s15, exec_lo
	s_branch .LBB193_139
.LBB193_154:
	s_or_b32 exec_lo, exec_lo, s3
.LBB193_155:
	s_barrier
	buffer_gl0_inv
	s_and_saveexec_b32 s0, s2
	s_cbranch_execz .LBB193_162
; %bb.156:
	s_lshl_b64 s[0:1], s[34:35], 3
	s_delay_alu instid0(SALU_CYCLE_1)
	s_add_u32 s0, s10, s0
	s_addc_u32 s1, s11, s1
	s_load_b64 s[0:1], s[0:1], 0x0
	s_waitcnt lgkmcnt(0)
	s_sub_u32 s2, s0, s22
	s_subb_u32 s3, s1, 0
	s_cmp_eq_u32 s36, 0
	s_mov_b32 s1, 0
	s_cselect_b32 s4, 1, 2
	s_cselect_b32 s5, 2, 1
	s_add_i32 s6, 0, 0x800
	s_branch .LBB193_158
.LBB193_157:                            ;   in Loop: Header=BB193_158 Depth=1
	s_or_b32 exec_lo, exec_lo, s7
	v_add_nc_u32_e32 v1, 0x100, v0
	v_cmp_lt_u32_e32 vcc_lo, 0xff, v0
	s_delay_alu instid0(VALU_DEP_2) | instskip(SKIP_1) | instid1(SALU_CYCLE_1)
	v_mov_b32_e32 v0, v1
	s_or_b32 s1, vcc_lo, s1
	s_and_not1_b32 exec_lo, exec_lo, s1
	s_cbranch_execz .LBB193_162
.LBB193_158:                            ; =>This Loop Header: Depth=1
                                        ;     Child Loop BB193_160 Depth 2
	s_delay_alu instid0(VALU_DEP_1)
	v_lshl_add_u32 v1, v0, 2, 0
	s_mov_b32 s7, exec_lo
	ds_load_b32 v3, v1
	s_waitcnt lgkmcnt(0)
	v_cmpx_gt_i32_e64 s33, v3
	s_cbranch_execz .LBB193_157
; %bb.159:                              ;   in Loop: Header=BB193_158 Depth=1
	v_dual_mov_b32 v1, s2 :: v_dual_mov_b32 v2, s3
	s_mov_b32 s8, 0
.LBB193_160:                            ;   Parent Loop BB193_158 Depth=1
                                        ; =>  This Inner Loop Header: Depth=2
	s_delay_alu instid0(SALU_CYCLE_1)
	s_add_i32 s0, s8, 0
	s_add_i32 s8, s8, 64
	v_mov_b32_e32 v18, s0
	s_cmpk_lg_i32 s8, 0x800
	ds_load_2addr_b32 v[4:5], v18 offset1:1
	ds_load_2addr_b32 v[6:7], v18 offset0:2 offset1:3
	ds_load_2addr_b32 v[8:9], v18 offset0:4 offset1:5
	;; [unrolled: 1-line block ×7, first 2 shown]
	s_waitcnt lgkmcnt(7)
	v_cmp_gt_i32_e32 vcc_lo, v3, v4
	v_cndmask_b32_e64 v4, 0, 1, vcc_lo
	v_cmp_gt_i32_e32 vcc_lo, v3, v5
	v_cndmask_b32_e64 v5, 0, 1, vcc_lo
	s_waitcnt lgkmcnt(6)
	v_cmp_gt_i32_e32 vcc_lo, v3, v6
	v_cndmask_b32_e64 v6, 0, 1, vcc_lo
	v_cmp_gt_i32_e32 vcc_lo, v3, v7
	v_cndmask_b32_e64 v7, 0, 1, vcc_lo
	;; [unrolled: 5-line block ×4, first 2 shown]
	s_waitcnt lgkmcnt(3)
	v_cmp_gt_i32_e32 vcc_lo, v3, v12
	v_cndmask_b32_e64 v12, 0, 1, vcc_lo
	v_add_co_u32 v1, vcc_lo, v1, v4
	v_add_co_ci_u32_e32 v2, vcc_lo, 0, v2, vcc_lo
	v_cmp_gt_i32_e32 vcc_lo, v3, v13
	s_delay_alu instid0(VALU_DEP_3) | instskip(NEXT) | instid1(VALU_DEP_1)
	v_add_co_u32 v1, s0, v1, v5
	v_add_co_ci_u32_e64 v2, s0, 0, v2, s0
	v_cndmask_b32_e64 v4, 0, 1, vcc_lo
	s_delay_alu instid0(VALU_DEP_3) | instskip(NEXT) | instid1(VALU_DEP_3)
	v_add_co_u32 v1, vcc_lo, v1, v6
	v_add_co_ci_u32_e32 v2, vcc_lo, 0, v2, vcc_lo
	s_waitcnt lgkmcnt(2)
	v_cmp_gt_i32_e32 vcc_lo, v3, v14
	s_delay_alu instid0(VALU_DEP_3) | instskip(NEXT) | instid1(VALU_DEP_1)
	v_add_co_u32 v1, s0, v1, v7
	v_add_co_ci_u32_e64 v2, s0, 0, v2, s0
	v_cndmask_b32_e64 v5, 0, 1, vcc_lo
	s_delay_alu instid0(VALU_DEP_3) | instskip(NEXT) | instid1(VALU_DEP_3)
	v_add_co_u32 v1, vcc_lo, v1, v8
	v_add_co_ci_u32_e32 v2, vcc_lo, 0, v2, vcc_lo
	v_cmp_gt_i32_e32 vcc_lo, v3, v15
	s_delay_alu instid0(VALU_DEP_3) | instskip(NEXT) | instid1(VALU_DEP_1)
	v_add_co_u32 v1, s0, v1, v9
	v_add_co_ci_u32_e64 v2, s0, 0, v2, s0
	v_cndmask_b32_e64 v6, 0, 1, vcc_lo
	s_delay_alu instid0(VALU_DEP_3) | instskip(NEXT) | instid1(VALU_DEP_3)
	v_add_co_u32 v1, vcc_lo, v1, v10
	v_add_co_ci_u32_e32 v2, vcc_lo, 0, v2, vcc_lo
	s_waitcnt lgkmcnt(1)
	v_cmp_gt_i32_e32 vcc_lo, v3, v16
	s_delay_alu instid0(VALU_DEP_3) | instskip(NEXT) | instid1(VALU_DEP_1)
	v_add_co_u32 v1, s0, v1, v11
	v_add_co_ci_u32_e64 v2, s0, 0, v2, s0
	v_cndmask_b32_e64 v7, 0, 1, vcc_lo
	s_delay_alu instid0(VALU_DEP_3) | instskip(NEXT) | instid1(VALU_DEP_3)
	;; [unrolled: 17-line block ×3, first 2 shown]
	v_add_co_u32 v1, vcc_lo, v1, v7
	v_add_co_ci_u32_e32 v2, vcc_lo, 0, v2, vcc_lo
	v_cmp_gt_i32_e32 vcc_lo, v3, v19
	s_delay_alu instid0(VALU_DEP_3) | instskip(NEXT) | instid1(VALU_DEP_1)
	v_add_co_u32 v1, s0, v1, v4
	v_add_co_ci_u32_e64 v2, s0, 0, v2, s0
	v_cndmask_b32_e64 v4, 0, 1, vcc_lo
	s_delay_alu instid0(VALU_DEP_3) | instskip(NEXT) | instid1(VALU_DEP_3)
	v_add_co_u32 v1, vcc_lo, v1, v5
	v_add_co_ci_u32_e32 v2, vcc_lo, 0, v2, vcc_lo
	s_delay_alu instid0(VALU_DEP_2) | instskip(NEXT) | instid1(VALU_DEP_2)
	v_add_co_u32 v1, vcc_lo, v1, v4
	v_add_co_ci_u32_e32 v2, vcc_lo, 0, v2, vcc_lo
	s_cbranch_scc1 .LBB193_160
; %bb.161:                              ;   in Loop: Header=BB193_158 Depth=1
	v_lshl_add_u32 v4, v0, 5, s6
	v_add_nc_u32_e32 v3, s22, v3
	ds_load_2addr_b64 v[4:7], v4 offset1:3
	v_lshlrev_b32_e32 v8, 2, v0
	s_delay_alu instid0(VALU_DEP_1) | instskip(NEXT) | instid1(VALU_DEP_1)
	v_or_b32_e32 v9, s4, v8
	v_lshl_add_u32 v10, v9, 3, s6
	s_waitcnt lgkmcnt(0)
	v_mov_b32_e32 v9, v5
	v_or_b32_e32 v8, s5, v8
	s_delay_alu instid0(VALU_DEP_1)
	v_lshl_add_u32 v12, v8, 3, s6
	v_mov_b32_e32 v8, v4
	ds_load_b64 v[10:11], v10
	ds_load_b64 v[4:5], v12
	v_lshlrev_b64 v[12:13], 2, v[1:2]
	v_lshlrev_b64 v[1:2], 5, v[1:2]
	s_delay_alu instid0(VALU_DEP_2) | instskip(NEXT) | instid1(VALU_DEP_3)
	v_add_co_u32 v12, vcc_lo, s24, v12
	v_add_co_ci_u32_e32 v13, vcc_lo, s25, v13, vcc_lo
	s_delay_alu instid0(VALU_DEP_3) | instskip(NEXT) | instid1(VALU_DEP_4)
	v_add_co_u32 v1, vcc_lo, s26, v1
	v_add_co_ci_u32_e32 v2, vcc_lo, s27, v2, vcc_lo
	global_store_b32 v[12:13], v3, off
	s_waitcnt lgkmcnt(1)
	global_store_b128 v[1:2], v[8:11], off
	s_waitcnt lgkmcnt(0)
	global_store_b128 v[1:2], v[4:7], off offset:16
	s_branch .LBB193_157
.LBB193_162:
	s_nop 0
	s_sendmsg sendmsg(MSG_DEALLOC_VGPRS)
	s_endpgm
	.section	.rodata,"a",@progbits
	.p2align	6, 0x0
	.amdhsa_kernel _ZN9rocsparseL30bsrgemm_fill_block_per_row_2x2ILj256ELj16ELj512ELj137ElidEEv20rocsparse_direction_T4_S2_PKS2_S4_NS_24const_host_device_scalarIT5_EEPKT3_S4_PKS6_SA_S4_SC_S7_SA_S4_SC_SA_PS2_PS6_21rocsparse_index_base_SF_SF_SF_bbb
		.amdhsa_group_segment_fixed_size 0
		.amdhsa_private_segment_fixed_size 0
		.amdhsa_kernarg_size 164
		.amdhsa_user_sgpr_count 15
		.amdhsa_user_sgpr_dispatch_ptr 0
		.amdhsa_user_sgpr_queue_ptr 0
		.amdhsa_user_sgpr_kernarg_segment_ptr 1
		.amdhsa_user_sgpr_dispatch_id 0
		.amdhsa_user_sgpr_private_segment_size 0
		.amdhsa_wavefront_size32 1
		.amdhsa_uses_dynamic_stack 0
		.amdhsa_enable_private_segment 0
		.amdhsa_system_sgpr_workgroup_id_x 1
		.amdhsa_system_sgpr_workgroup_id_y 0
		.amdhsa_system_sgpr_workgroup_id_z 0
		.amdhsa_system_sgpr_workgroup_info 0
		.amdhsa_system_vgpr_workitem_id 0
		.amdhsa_next_free_vgpr 39
		.amdhsa_next_free_sgpr 48
		.amdhsa_reserve_vcc 1
		.amdhsa_float_round_mode_32 0
		.amdhsa_float_round_mode_16_64 0
		.amdhsa_float_denorm_mode_32 3
		.amdhsa_float_denorm_mode_16_64 3
		.amdhsa_dx10_clamp 1
		.amdhsa_ieee_mode 1
		.amdhsa_fp16_overflow 0
		.amdhsa_workgroup_processor_mode 1
		.amdhsa_memory_ordered 1
		.amdhsa_forward_progress 0
		.amdhsa_shared_vgpr_count 0
		.amdhsa_exception_fp_ieee_invalid_op 0
		.amdhsa_exception_fp_denorm_src 0
		.amdhsa_exception_fp_ieee_div_zero 0
		.amdhsa_exception_fp_ieee_overflow 0
		.amdhsa_exception_fp_ieee_underflow 0
		.amdhsa_exception_fp_ieee_inexact 0
		.amdhsa_exception_int_div_zero 0
	.end_amdhsa_kernel
	.section	.text._ZN9rocsparseL30bsrgemm_fill_block_per_row_2x2ILj256ELj16ELj512ELj137ElidEEv20rocsparse_direction_T4_S2_PKS2_S4_NS_24const_host_device_scalarIT5_EEPKT3_S4_PKS6_SA_S4_SC_S7_SA_S4_SC_SA_PS2_PS6_21rocsparse_index_base_SF_SF_SF_bbb,"axG",@progbits,_ZN9rocsparseL30bsrgemm_fill_block_per_row_2x2ILj256ELj16ELj512ELj137ElidEEv20rocsparse_direction_T4_S2_PKS2_S4_NS_24const_host_device_scalarIT5_EEPKT3_S4_PKS6_SA_S4_SC_S7_SA_S4_SC_SA_PS2_PS6_21rocsparse_index_base_SF_SF_SF_bbb,comdat
.Lfunc_end193:
	.size	_ZN9rocsparseL30bsrgemm_fill_block_per_row_2x2ILj256ELj16ELj512ELj137ElidEEv20rocsparse_direction_T4_S2_PKS2_S4_NS_24const_host_device_scalarIT5_EEPKT3_S4_PKS6_SA_S4_SC_S7_SA_S4_SC_SA_PS2_PS6_21rocsparse_index_base_SF_SF_SF_bbb, .Lfunc_end193-_ZN9rocsparseL30bsrgemm_fill_block_per_row_2x2ILj256ELj16ELj512ELj137ElidEEv20rocsparse_direction_T4_S2_PKS2_S4_NS_24const_host_device_scalarIT5_EEPKT3_S4_PKS6_SA_S4_SC_S7_SA_S4_SC_SA_PS2_PS6_21rocsparse_index_base_SF_SF_SF_bbb
                                        ; -- End function
	.section	.AMDGPU.csdata,"",@progbits
; Kernel info:
; codeLenInByte = 5916
; NumSgprs: 50
; NumVgprs: 39
; ScratchSize: 0
; MemoryBound: 0
; FloatMode: 240
; IeeeMode: 1
; LDSByteSize: 0 bytes/workgroup (compile time only)
; SGPRBlocks: 6
; VGPRBlocks: 4
; NumSGPRsForWavesPerEU: 50
; NumVGPRsForWavesPerEU: 39
; Occupancy: 16
; WaveLimiterHint : 1
; COMPUTE_PGM_RSRC2:SCRATCH_EN: 0
; COMPUTE_PGM_RSRC2:USER_SGPR: 15
; COMPUTE_PGM_RSRC2:TRAP_HANDLER: 0
; COMPUTE_PGM_RSRC2:TGID_X_EN: 1
; COMPUTE_PGM_RSRC2:TGID_Y_EN: 0
; COMPUTE_PGM_RSRC2:TGID_Z_EN: 0
; COMPUTE_PGM_RSRC2:TIDIG_COMP_CNT: 0
	.section	.text._ZN9rocsparseL38bsrgemm_block_per_row_atomic_multipassILj256ELj256ELj2ElidEEv20rocsparse_direction_T3_S2_PKS2_S4_NS_24const_host_device_scalarIT4_EEPKT2_S4_PKS6_SA_S4_SC_S7_SA_S4_SC_SA_PS2_PS6_PS8_21rocsparse_index_base_SG_SG_SG_bbb,"axG",@progbits,_ZN9rocsparseL38bsrgemm_block_per_row_atomic_multipassILj256ELj256ELj2ElidEEv20rocsparse_direction_T3_S2_PKS2_S4_NS_24const_host_device_scalarIT4_EEPKT2_S4_PKS6_SA_S4_SC_S7_SA_S4_SC_SA_PS2_PS6_PS8_21rocsparse_index_base_SG_SG_SG_bbb,comdat
	.globl	_ZN9rocsparseL38bsrgemm_block_per_row_atomic_multipassILj256ELj256ELj2ElidEEv20rocsparse_direction_T3_S2_PKS2_S4_NS_24const_host_device_scalarIT4_EEPKT2_S4_PKS6_SA_S4_SC_S7_SA_S4_SC_SA_PS2_PS6_PS8_21rocsparse_index_base_SG_SG_SG_bbb ; -- Begin function _ZN9rocsparseL38bsrgemm_block_per_row_atomic_multipassILj256ELj256ELj2ElidEEv20rocsparse_direction_T3_S2_PKS2_S4_NS_24const_host_device_scalarIT4_EEPKT2_S4_PKS6_SA_S4_SC_S7_SA_S4_SC_SA_PS2_PS6_PS8_21rocsparse_index_base_SG_SG_SG_bbb
	.p2align	8
	.type	_ZN9rocsparseL38bsrgemm_block_per_row_atomic_multipassILj256ELj256ELj2ElidEEv20rocsparse_direction_T3_S2_PKS2_S4_NS_24const_host_device_scalarIT4_EEPKT2_S4_PKS6_SA_S4_SC_S7_SA_S4_SC_SA_PS2_PS6_PS8_21rocsparse_index_base_SG_SG_SG_bbb,@function
_ZN9rocsparseL38bsrgemm_block_per_row_atomic_multipassILj256ELj256ELj2ElidEEv20rocsparse_direction_T3_S2_PKS2_S4_NS_24const_host_device_scalarIT4_EEPKT2_S4_PKS6_SA_S4_SC_S7_SA_S4_SC_SA_PS2_PS6_PS8_21rocsparse_index_base_SG_SG_SG_bbb: ; @_ZN9rocsparseL38bsrgemm_block_per_row_atomic_multipassILj256ELj256ELj2ElidEEv20rocsparse_direction_T3_S2_PKS2_S4_NS_24const_host_device_scalarIT4_EEPKT2_S4_PKS6_SA_S4_SC_S7_SA_S4_SC_SA_PS2_PS6_PS8_21rocsparse_index_base_SG_SG_SG_bbb
; %bb.0:
	s_clause 0x3
	s_load_b32 s3, s[0:1], 0xa8
	s_load_b64 s[6:7], s[0:1], 0x20
	s_load_b128 s[36:39], s[0:1], 0x98
	s_load_b64 s[4:5], s[0:1], 0x58
	s_mov_b32 s2, s15
	s_waitcnt lgkmcnt(0)
	s_and_b32 s8, 1, s3
	s_bitcmp1_b32 s3, 16
	s_cselect_b32 s9, -1, 0
	s_cmp_eq_u32 s8, 1
	s_cselect_b32 s8, -1, 0
	s_delay_alu instid0(SALU_CYCLE_1)
	s_and_b32 s10, s8, exec_lo
	s_cselect_b32 s11, s7, 0
	s_cselect_b32 s10, s6, 0
	s_xor_b32 s12, s8, -1
	v_dual_mov_b32 v1, s10 :: v_dual_mov_b32 v2, s11
	s_or_b32 s12, s12, s9
	s_delay_alu instid0(SALU_CYCLE_1)
	s_and_b32 vcc_lo, exec_lo, s12
	s_cbranch_vccnz .LBB194_2
; %bb.1:
	v_dual_mov_b32 v1, s6 :: v_dual_mov_b32 v2, s7
	flat_load_b64 v[1:2], v[1:2]
.LBB194_2:
	s_load_b64 s[6:7], s[0:1], 0x18
	s_bitcmp1_b32 s3, 8
	s_cselect_b32 s33, -1, 0
	s_delay_alu instid0(SALU_CYCLE_1)
	s_and_b32 s3, s33, exec_lo
	s_cselect_b32 s11, s5, 0
	s_cselect_b32 s10, s4, 0
	s_xor_b32 s3, s33, -1
	v_dual_mov_b32 v3, s10 :: v_dual_mov_b32 v4, s11
	s_or_b32 s3, s3, s9
	s_delay_alu instid0(SALU_CYCLE_1)
	s_and_b32 vcc_lo, exec_lo, s3
	s_cbranch_vccnz .LBB194_4
; %bb.3:
	v_dual_mov_b32 v3, s4 :: v_dual_mov_b32 v4, s5
	flat_load_b64 v[3:4], v[3:4]
.LBB194_4:
	s_load_b64 s[4:5], s[0:1], 0x28
	s_waitcnt lgkmcnt(0)
	s_cmp_eq_u64 s[6:7], 0
	s_mov_b64 s[34:35], 0
	s_cbranch_scc1 .LBB194_6
; %bb.5:
	s_load_b64 s[10:11], s[0:1], 0x10
	s_waitcnt lgkmcnt(0)
	s_load_b32 s3, s[10:11], 0x0
	s_waitcnt lgkmcnt(0)
	s_add_i32 s2, s3, s2
	s_mov_b32 s3, 0
	s_delay_alu instid0(SALU_CYCLE_1) | instskip(NEXT) | instid1(SALU_CYCLE_1)
	s_lshl_b64 s[2:3], s[2:3], 2
	s_add_u32 s2, s6, s2
	s_addc_u32 s3, s7, s3
	s_load_b32 s2, s[2:3], 0x0
.LBB194_6:
	s_and_not1_b32 vcc_lo, exec_lo, s8
	s_cbranch_vccz .LBB194_9
; %bb.7:
	s_and_not1_b32 vcc_lo, exec_lo, s8
	s_mov_b64 s[44:45], 0
	s_cbranch_vccz .LBB194_10
.LBB194_8:
	s_load_b128 s[40:43], s[0:1], 0x0
	s_waitcnt lgkmcnt(0)
	s_cmp_lt_i32 s41, 1
	s_cbranch_scc0 .LBB194_11
	s_branch .LBB194_99
.LBB194_9:
	s_waitcnt lgkmcnt(0)
	s_ashr_i32 s3, s2, 31
	s_delay_alu instid0(SALU_CYCLE_1) | instskip(NEXT) | instid1(SALU_CYCLE_1)
	s_lshl_b64 s[6:7], s[2:3], 3
	s_add_u32 s6, s4, s6
	s_addc_u32 s7, s5, s7
	s_load_b64 s[6:7], s[6:7], 0x0
	s_waitcnt lgkmcnt(0)
	s_sub_u32 s34, s6, s36
	s_subb_u32 s35, s7, 0
	s_and_not1_b32 vcc_lo, exec_lo, s8
	s_mov_b64 s[44:45], 0
	s_cbranch_vccnz .LBB194_8
.LBB194_10:
	s_waitcnt lgkmcnt(0)
	s_ashr_i32 s3, s2, 31
	s_delay_alu instid0(SALU_CYCLE_1) | instskip(NEXT) | instid1(SALU_CYCLE_1)
	s_lshl_b64 s[6:7], s[2:3], 3
	s_add_u32 s4, s4, s6
	s_addc_u32 s5, s5, s7
	s_load_b64 s[4:5], s[4:5], 0x8
	s_waitcnt lgkmcnt(0)
	s_sub_u32 s44, s4, s36
	s_subb_u32 s45, s5, 0
	s_load_b128 s[40:43], s[0:1], 0x0
	s_waitcnt lgkmcnt(0)
	s_cmp_lt_i32 s41, 1
	s_cbranch_scc1 .LBB194_99
.LBB194_11:
	s_clause 0x4
	s_load_b256 s[16:23], s[0:1], 0x60
	s_load_b64 s[46:47], s[0:1], 0x90
	s_load_b128 s[12:15], s[0:1], 0x80
	s_load_b64 s[50:51], s[0:1], 0x50
	s_load_b256 s[24:31], s[0:1], 0x30
	s_ashr_i32 s3, s2, 31
	v_bfe_u32 v11, v0, 1, 1
	s_lshl_b64 s[4:5], s[2:3], 3
	v_dual_mov_b32 v5, 0 :: v_dual_and_b32 v10, 3, v0
	v_and_b32_e32 v30, 1, v0
	s_delay_alu instid0(VALU_DEP_3)
	v_mul_lo_u32 v6, v11, s42
	v_lshlrev_b32_e32 v19, 2, v0
	v_lshrrev_b32_e32 v29, 2, v0
	v_mov_b32_e32 v56, v5
	v_mov_b32_e32 v7, v5
	v_mul_lo_u32 v8, v30, s42
	v_max_i32_e32 v12, v30, v11
	v_dual_mov_b32 v9, v5 :: v_dual_add_nc_u32 v40, 0x27f8, v19
	s_waitcnt lgkmcnt(0)
	s_add_u32 s2, s22, s4
	s_addc_u32 s3, s23, s5
	v_lshlrev_b64 v[6:7], 3, v[6:7]
	s_load_b64 s[6:7], s[2:3], 0x0
	v_cmp_gt_i32_e64 s2, s42, v12
	v_lshlrev_b64 v[8:9], 3, v[8:9]
	v_lshlrev_b32_e32 v11, 3, v11
	v_and_b32_e32 v35, 2, v0
	v_add_co_u32 v12, vcc_lo, s26, v6
	v_add_co_ci_u32_e32 v14, vcc_lo, s27, v7, vcc_lo
	v_add_co_u32 v15, vcc_lo, s14, v8
	v_add_co_ci_u32_e32 v16, vcc_lo, s15, v9, vcc_lo
	;; [unrolled: 2-line block ×3, first 2 shown]
	s_delay_alu instid0(VALU_DEP_4) | instskip(NEXT) | instid1(VALU_DEP_4)
	v_add_co_u32 v15, vcc_lo, v15, v11
	v_add_co_ci_u32_e32 v16, vcc_lo, 0, v16, vcc_lo
	s_waitcnt lgkmcnt(0)
	s_sub_u32 s22, s6, s38
	s_subb_u32 s23, s7, 0
	v_lshlrev_b32_e32 v13, 3, v30
	s_cmp_eq_u32 s40, 0
	v_cmp_lt_i64_e64 s9, s[34:35], s[44:45]
	v_add_co_u32 v20, s55, v0, -1
	s_delay_alu instid0(VALU_DEP_3) | instskip(NEXT) | instid1(VALU_DEP_1)
	v_add_co_u32 v33, s3, v12, v13
	v_add_co_ci_u32_e64 v34, s3, 0, v14, s3
	v_add_co_u32 v12, s3, s20, v8
	s_delay_alu instid0(VALU_DEP_1) | instskip(SKIP_1) | instid1(VALU_DEP_1)
	v_add_co_ci_u32_e64 v14, s3, s21, v9, s3
	v_sub_co_u32 v36, s3, v29, s39
	v_sub_co_ci_u32_e64 v37, null, 0, 0, s3
	s_delay_alu instid0(VALU_DEP_4) | instskip(NEXT) | instid1(VALU_DEP_1)
	v_add_co_u32 v12, s3, v12, v11
	v_add_co_ci_u32_e64 v14, s3, 0, v14, s3
	v_add_co_u32 v6, s3, s20, v6
	s_delay_alu instid0(VALU_DEP_1) | instskip(SKIP_1) | instid1(VALU_DEP_3)
	v_add_co_ci_u32_e64 v7, s3, s21, v7, s3
	v_add_co_u32 v17, vcc_lo, v17, v13
	v_add_co_u32 v6, s3, v6, v13
	s_delay_alu instid0(VALU_DEP_1) | instskip(SKIP_3) | instid1(VALU_DEP_2)
	v_add_co_ci_u32_e64 v7, s3, 0, v7, s3
	v_add_co_ci_u32_e32 v18, vcc_lo, 0, v18, vcc_lo
	s_cselect_b32 vcc_lo, -1, 0
	s_cmp_lg_u32 s40, 0
	v_dual_cndmask_b32 v49, v14, v7 :: v_dual_cndmask_b32 v50, v12, v6
	v_lshlrev_b32_e32 v6, 5, v29
	s_cselect_b32 s40, -1, 0
	s_cmp_gt_i32 s42, 0
	v_dual_cndmask_b32 v48, v15, v17 :: v_dual_lshlrev_b32 v31, 3, v0
	s_delay_alu instid0(VALU_DEP_2)
	v_or3_b32 v52, v6, v11, 0x2000
	v_and_b32_e32 v6, 0xfc, v0
	s_cselect_b32 s53, -1, 0
	s_add_u32 s16, s16, s4
	s_addc_u32 s17, s17, s5
	s_and_b32 s56, s8, s9
	v_or3_b32 v11, v6, v35, v30
	s_add_u32 s57, s28, 8
	v_dual_cndmask_b32 v47, v16, v18 :: v_dual_add_nc_u32 v42, 0x27e0, v19
	s_addc_u32 s58, s29, 0
	v_add_co_u32 v7, vcc_lo, s50, v8
	v_add_nc_u32_e32 v44, 0x2780, v19
	s_add_u32 s59, s12, -4
	v_lshlrev_b32_e32 v53, 3, v11
	v_mov_b32_e32 v11, s22
	s_addc_u32 s60, s13, -1
	v_add_co_ci_u32_e32 v8, vcc_lo, s51, v9, vcc_lo
	s_movk_i32 s12, 0x7f0
	v_mov_b32_e32 v12, s23
	v_add_co_u32 v9, s13, s50, v13
	s_mov_b32 s49, 0
	v_cmp_gt_u32_e64 s0, 0x100, v0
	v_cmp_eq_u32_e64 s1, 0, v0
	v_or_b32_e32 v32, 0x2000, v31
	v_cmp_eq_u32_e64 s3, 3, v10
	v_or_b32_e32 v38, 0x2800, v19
	v_lshl_add_u32 v39, v20, 2, 0x2800
	v_cmp_ne_u32_e64 s4, 0, v0
	v_cmp_lt_u32_e64 s5, 1, v0
	v_cmp_lt_u32_e64 s6, 3, v0
	v_add_nc_u32_e32 v41, 0x27f0, v19
	v_cmp_lt_u32_e64 s7, 7, v0
	v_cmp_lt_u32_e64 s8, 15, v0
	v_add_nc_u32_e32 v43, 0x27c0, v19
	;; [unrolled: 3-line block ×3, first 2 shown]
	v_cmp_lt_u32_e64 s11, 0x7f, v0
	v_dual_mov_b32 v55, 1 :: v_dual_add_nc_u32 v46, 0x2600, v19
	v_or_b32_e32 v51, 0xffffff00, v0
	v_add_co_ci_u32_e64 v10, null, s51, 0, s13
	v_and_or_b32 v0, v31, s12, 0x2000
	v_or_b32_e32 v54, 0x2800, v6
	v_dual_mov_b32 v57, 0x100 :: v_dual_mov_b32 v6, v5
	s_mul_i32 s48, s42, s42
	s_mov_b32 s43, s49
	s_mov_b32 s52, s37
	;; [unrolled: 1-line block ×3, first 2 shown]
	s_lshl_b64 s[20:21], s[48:49], 3
	s_lshl_b64 s[22:23], s[42:43], 3
	s_branch .LBB194_13
.LBB194_12:                             ;   in Loop: Header=BB194_13 Depth=1
	s_or_b32 exec_lo, exec_lo, s12
	s_waitcnt_vscnt null, 0x0
	s_barrier
	buffer_gl0_inv
	ds_load_b32 v56, v5 offset:11264
	v_ashrrev_i32_e32 v13, 31, v14
	v_add_co_u32 v11, s12, v11, v14
	s_waitcnt lgkmcnt(0)
	s_barrier
	s_delay_alu instid0(VALU_DEP_2)
	v_add_co_ci_u32_e64 v12, s12, v12, v13, s12
	buffer_gl0_inv
	v_cmp_le_i32_e32 vcc_lo, s41, v56
	v_add_nc_u32_e32 v57, 0x100, v56
	s_cbranch_vccnz .LBB194_99
.LBB194_13:                             ; =>This Loop Header: Depth=1
                                        ;     Child Loop BB194_16 Depth 2
                                        ;     Child Loop BB194_22 Depth 2
                                        ;       Child Loop BB194_34 Depth 3
                                        ;         Child Loop BB194_43 Depth 4
                                        ;         Child Loop BB194_48 Depth 4
	;; [unrolled: 1-line block ×3, first 2 shown]
                                        ;     Child Loop BB194_61 Depth 2
                                        ;       Child Loop BB194_66 Depth 3
                                        ;     Child Loop BB194_71 Depth 2
                                        ;     Child Loop BB194_96 Depth 2
	s_and_saveexec_b32 s12, s0
	s_cbranch_execz .LBB194_15
; %bb.14:                               ;   in Loop: Header=BB194_13 Depth=1
	ds_store_b32 v38, v5
.LBB194_15:                             ;   in Loop: Header=BB194_13 Depth=1
	s_or_b32 exec_lo, exec_lo, s12
	v_mov_b32_e32 v13, v31
	v_mov_b32_e32 v14, v51
	s_mov_b32 s12, 0
.LBB194_16:                             ;   Parent Loop BB194_13 Depth=1
                                        ; =>  This Inner Loop Header: Depth=2
	s_delay_alu instid0(VALU_DEP_1) | instskip(SKIP_4) | instid1(SALU_CYCLE_1)
	v_add_nc_u32_e32 v14, 0x100, v14
	ds_store_b64 v13, v[5:6]
	v_add_nc_u32_e32 v13, 0x800, v13
	v_cmp_lt_u32_e32 vcc_lo, 0x2ff, v14
	s_or_b32 s12, vcc_lo, s12
	s_and_not1_b32 exec_lo, exec_lo, s12
	s_cbranch_execnz .LBB194_16
; %bb.17:                               ;   in Loop: Header=BB194_13 Depth=1
	s_or_b32 exec_lo, exec_lo, s12
	s_and_saveexec_b32 s12, s1
	s_cbranch_execz .LBB194_19
; %bb.18:                               ;   in Loop: Header=BB194_13 Depth=1
	v_mov_b32_e32 v13, s41
	ds_store_b32 v5, v13 offset:11264
.LBB194_19:                             ;   in Loop: Header=BB194_13 Depth=1
	s_or_b32 exec_lo, exec_lo, s12
	v_mov_b32_e32 v58, s41
	s_and_not1_b32 vcc_lo, exec_lo, s56
	s_waitcnt vmcnt(0) lgkmcnt(0)
	s_barrier
	buffer_gl0_inv
	s_cbranch_vccnz .LBB194_56
; %bb.20:                               ;   in Loop: Header=BB194_13 Depth=1
	v_cmp_ne_u32_e64 s12, 0, v56
	v_mov_b32_e32 v58, s41
	s_mov_b64 s[26:27], s[34:35]
	s_branch .LBB194_22
.LBB194_21:                             ;   in Loop: Header=BB194_22 Depth=2
	s_or_b32 exec_lo, exec_lo, s14
	s_add_u32 s26, s26, 64
	s_addc_u32 s27, s27, 0
	s_delay_alu instid0(SALU_CYCLE_1) | instskip(NEXT) | instid1(VALU_DEP_1)
	v_cmp_lt_i64_e64 s13, s[26:27], s[44:45]
	s_and_b32 vcc_lo, exec_lo, s13
	s_cbranch_vccz .LBB194_56
.LBB194_22:                             ;   Parent Loop BB194_13 Depth=1
                                        ; =>  This Loop Header: Depth=2
                                        ;       Child Loop BB194_34 Depth 3
                                        ;         Child Loop BB194_43 Depth 4
                                        ;         Child Loop BB194_48 Depth 4
                                        ;         Child Loop BB194_50 Depth 4
	v_add_co_u32 v13, s13, s26, v29
	s_delay_alu instid0(VALU_DEP_1) | instskip(NEXT) | instid1(VALU_DEP_1)
	v_add_co_ci_u32_e64 v14, null, s27, 0, s13
	s_waitcnt_vscnt null, 0x0
	s_barrier
	buffer_gl0_inv
	v_cmp_gt_i64_e64 s13, s[44:45], v[13:14]
	s_delay_alu instid0(VALU_DEP_1)
	s_and_saveexec_b32 s14, s13
	s_cbranch_execz .LBB194_26
; %bb.23:                               ;   in Loop: Header=BB194_22 Depth=2
	v_mov_b32_e32 v15, 0
	v_mov_b32_e32 v16, 0
	s_and_saveexec_b32 s15, s2
	s_cbranch_execz .LBB194_25
; %bb.24:                               ;   in Loop: Header=BB194_22 Depth=2
	v_mad_u64_u32 v[15:16], null, v13, s48, 0
	s_delay_alu instid0(VALU_DEP_1) | instskip(NEXT) | instid1(VALU_DEP_1)
	v_mad_u64_u32 v[17:18], null, v14, s48, v[16:17]
	v_mov_b32_e32 v16, v17
	s_delay_alu instid0(VALU_DEP_1) | instskip(NEXT) | instid1(VALU_DEP_1)
	v_lshlrev_b64 v[15:16], 3, v[15:16]
	v_add_co_u32 v15, vcc_lo, v33, v15
	s_delay_alu instid0(VALU_DEP_2)
	v_add_co_ci_u32_e32 v16, vcc_lo, v34, v16, vcc_lo
	global_load_b64 v[15:16], v[15:16], off
.LBB194_25:                             ;   in Loop: Header=BB194_22 Depth=2
	s_or_b32 exec_lo, exec_lo, s15
	s_waitcnt vmcnt(0)
	ds_store_b64 v32, v[15:16]
.LBB194_26:                             ;   in Loop: Header=BB194_22 Depth=2
	s_or_b32 exec_lo, exec_lo, s14
	v_mov_b32_e32 v15, 0
	v_mov_b32_e32 v16, 0
	s_waitcnt lgkmcnt(0)
	s_barrier
	buffer_gl0_inv
	s_and_saveexec_b32 s15, s13
	s_cbranch_execz .LBB194_53
; %bb.27:                               ;   in Loop: Header=BB194_22 Depth=2
	v_lshlrev_b64 v[15:16], 2, v[13:14]
	s_delay_alu instid0(VALU_DEP_1) | instskip(NEXT) | instid1(VALU_DEP_2)
	v_add_co_u32 v15, vcc_lo, s24, v15
	v_add_co_ci_u32_e32 v16, vcc_lo, s25, v16, vcc_lo
	s_and_b32 vcc_lo, exec_lo, s12
	global_load_b32 v15, v[15:16], off
	s_waitcnt vmcnt(0)
	v_subrev_nc_u32_e32 v17, s36, v15
	s_delay_alu instid0(VALU_DEP_1)
	v_ashrrev_i32_e32 v18, 31, v17
	s_cbranch_vccz .LBB194_55
; %bb.28:                               ;   in Loop: Header=BB194_22 Depth=2
	v_lshlrev_b64 v[15:16], 3, v[13:14]
	s_delay_alu instid0(VALU_DEP_1) | instskip(NEXT) | instid1(VALU_DEP_2)
	v_add_co_u32 v15, vcc_lo, s46, v15
	v_add_co_ci_u32_e32 v16, vcc_lo, s47, v16, vcc_lo
	global_load_b64 v[15:16], v[15:16], off
	s_cbranch_execnz .LBB194_30
.LBB194_29:                             ;   in Loop: Header=BB194_22 Depth=2
	s_waitcnt vmcnt(0)
	s_delay_alu instid0(VALU_DEP_1) | instskip(NEXT) | instid1(VALU_DEP_1)
	v_lshlrev_b64 v[15:16], 3, v[17:18]
	v_add_co_u32 v15, vcc_lo, s28, v15
	s_delay_alu instid0(VALU_DEP_2)
	v_add_co_ci_u32_e32 v16, vcc_lo, s29, v16, vcc_lo
	global_load_b64 v[15:16], v[15:16], off
	s_waitcnt vmcnt(0)
	v_sub_co_u32 v15, vcc_lo, v15, s52
	v_subrev_co_ci_u32_e32 v16, vcc_lo, 0, v16, vcc_lo
.LBB194_30:                             ;   in Loop: Header=BB194_22 Depth=2
	v_lshlrev_b64 v[17:18], 3, v[17:18]
	s_mov_b32 s43, exec_lo
	s_delay_alu instid0(VALU_DEP_1) | instskip(NEXT) | instid1(VALU_DEP_2)
	v_add_co_u32 v17, vcc_lo, s57, v17
	v_add_co_ci_u32_e32 v18, vcc_lo, s58, v18, vcc_lo
	global_load_b64 v[17:18], v[17:18], off
	s_waitcnt vmcnt(0)
	v_sub_co_u32 v17, vcc_lo, v17, s52
	v_subrev_co_ci_u32_e32 v18, vcc_lo, 0, v18, vcc_lo
	s_delay_alu instid0(VALU_DEP_1)
	v_cmpx_lt_i64_e64 v[15:16], v[17:18]
	s_cbranch_execz .LBB194_52
; %bb.31:                               ;   in Loop: Header=BB194_22 Depth=2
	v_mad_u64_u32 v[19:20], null, s20, v15, v[7:8]
	v_mul_lo_u32 v23, s20, v16
	v_mul_lo_u32 v24, s21, v15
	v_mad_u64_u32 v[21:22], null, s20, v15, v[9:10]
	s_mov_b32 s49, 0
	s_delay_alu instid0(VALU_DEP_2) | instskip(NEXT) | instid1(VALU_DEP_2)
	v_add3_u32 v20, v24, v20, v23
	v_add3_u32 v22, v24, v22, v23
	v_dual_mov_b32 v24, v16 :: v_dual_mov_b32 v23, v15
	s_branch .LBB194_34
.LBB194_32:                             ;   in Loop: Header=BB194_34 Depth=3
	s_or_b32 exec_lo, exec_lo, s61
	s_delay_alu instid0(SALU_CYCLE_1)
	s_or_b32 s50, s50, exec_lo
.LBB194_33:                             ;   in Loop: Header=BB194_34 Depth=3
	s_or_b32 exec_lo, exec_lo, s51
	v_add_co_u32 v15, vcc_lo, v15, 1
	v_add_co_ci_u32_e32 v16, vcc_lo, 0, v16, vcc_lo
	v_add_co_u32 v19, s14, v19, s20
	s_xor_b32 s50, s50, -1
	s_delay_alu instid0(VALU_DEP_2)
	v_cmp_ge_i64_e32 vcc_lo, v[15:16], v[17:18]
	v_add_co_ci_u32_e64 v20, s14, s21, v20, s14
	s_or_b32 s14, s50, vcc_lo
	v_add_co_u32 v21, vcc_lo, v21, s20
	v_add_co_ci_u32_e32 v22, vcc_lo, s21, v22, vcc_lo
	s_and_b32 s14, exec_lo, s14
	s_delay_alu instid0(SALU_CYCLE_1) | instskip(NEXT) | instid1(SALU_CYCLE_1)
	s_or_b32 s49, s14, s49
	s_and_not1_b32 exec_lo, exec_lo, s49
	s_cbranch_execz .LBB194_51
.LBB194_34:                             ;   Parent Loop BB194_13 Depth=1
                                        ;     Parent Loop BB194_22 Depth=2
                                        ; =>    This Loop Header: Depth=3
                                        ;         Child Loop BB194_43 Depth 4
                                        ;         Child Loop BB194_48 Depth 4
	;; [unrolled: 1-line block ×3, first 2 shown]
	v_lshlrev_b64 v[25:26], 2, v[15:16]
                                        ; implicit-def: $sgpr50
	s_delay_alu instid0(VALU_DEP_1) | instskip(NEXT) | instid1(VALU_DEP_2)
	v_add_co_u32 v25, vcc_lo, s30, v25
	v_add_co_ci_u32_e32 v26, vcc_lo, s31, v26, vcc_lo
	global_load_b32 v25, v[25:26], off
	s_waitcnt vmcnt(0)
	v_subrev_nc_u32_e32 v25, s37, v25
	s_delay_alu instid0(VALU_DEP_1) | instskip(SKIP_1) | instid1(VALU_DEP_2)
	v_cmp_lt_i32_e64 s14, v25, v56
	v_cmp_ge_i32_e32 vcc_lo, v25, v57
	s_or_b32 s14, s14, vcc_lo
	s_delay_alu instid0(SALU_CYCLE_1) | instskip(NEXT) | instid1(SALU_CYCLE_1)
	s_and_saveexec_b32 s51, s14
	s_xor_b32 s14, exec_lo, s51
	s_cbranch_execz .LBB194_38
; %bb.35:                               ;   in Loop: Header=BB194_34 Depth=3
	s_mov_b32 s50, -1
	s_and_saveexec_b32 s51, vcc_lo
; %bb.36:                               ;   in Loop: Header=BB194_34 Depth=3
	v_min_i32_e32 v58, v25, v58
	v_dual_mov_b32 v24, v16 :: v_dual_mov_b32 v23, v15
	s_xor_b32 s50, exec_lo, -1
; %bb.37:                               ;   in Loop: Header=BB194_34 Depth=3
	s_or_b32 exec_lo, exec_lo, s51
	s_delay_alu instid0(SALU_CYCLE_1)
	s_and_b32 s50, s50, exec_lo
                                        ; implicit-def: $vgpr25
.LBB194_38:                             ;   in Loop: Header=BB194_34 Depth=3
	s_and_not1_saveexec_b32 s51, s14
	s_cbranch_execz .LBB194_33
; %bb.39:                               ;   in Loop: Header=BB194_34 Depth=3
	v_sub_nc_u32_e32 v25, v25, v56
	s_delay_alu instid0(VALU_DEP_1)
	v_lshlrev_b32_e32 v59, 2, v25
	ds_store_b32 v59, v55 offset:10240
	s_and_saveexec_b32 s61, s2
	s_cbranch_execz .LBB194_32
; %bb.40:                               ;   in Loop: Header=BB194_34 Depth=3
	v_cndmask_b32_e64 v25, 0, 1, s53
	s_and_not1_b32 vcc_lo, exec_lo, s40
	s_delay_alu instid0(VALU_DEP_1)
	v_cmp_ne_u32_e64 s14, 1, v25
	s_cbranch_vccnz .LBB194_45
; %bb.41:                               ;   in Loop: Header=BB194_34 Depth=3
	v_mov_b32_e32 v25, 0
	v_mov_b32_e32 v26, 0
	s_delay_alu instid0(VALU_DEP_3)
	s_and_b32 vcc_lo, exec_lo, s14
	s_cbranch_vccnz .LBB194_44
; %bb.42:                               ;   in Loop: Header=BB194_34 Depth=3
	v_dual_mov_b32 v28, v20 :: v_dual_mov_b32 v27, v19
	v_mov_b32_e32 v60, v52
	s_mov_b32 s14, s42
.LBB194_43:                             ;   Parent Loop BB194_13 Depth=1
                                        ;     Parent Loop BB194_22 Depth=2
                                        ;       Parent Loop BB194_34 Depth=3
                                        ; =>      This Inner Loop Header: Depth=4
	global_load_b64 v[61:62], v[27:28], off
	ds_load_b64 v[63:64], v60
	v_add_co_u32 v27, vcc_lo, v27, 8
	v_add_nc_u32_e32 v60, 16, v60
	v_add_co_ci_u32_e32 v28, vcc_lo, 0, v28, vcc_lo
	s_add_i32 s14, s14, -1
	s_delay_alu instid0(SALU_CYCLE_1)
	s_cmp_lg_u32 s14, 0
	s_waitcnt vmcnt(0) lgkmcnt(0)
	v_fma_f64 v[25:26], v[63:64], v[61:62], v[25:26]
	s_cbranch_scc1 .LBB194_43
.LBB194_44:                             ;   in Loop: Header=BB194_34 Depth=3
	s_cbranch_execz .LBB194_46
	s_branch .LBB194_49
.LBB194_45:                             ;   in Loop: Header=BB194_34 Depth=3
                                        ; implicit-def: $vgpr25_vgpr26
.LBB194_46:                             ;   in Loop: Header=BB194_34 Depth=3
	v_mov_b32_e32 v25, 0
	v_mov_b32_e32 v26, 0
	s_and_not1_b32 vcc_lo, exec_lo, s53
	s_cbranch_vccnz .LBB194_49
; %bb.47:                               ;   in Loop: Header=BB194_34 Depth=3
	v_mov_b32_e32 v28, v22
	v_dual_mov_b32 v60, v0 :: v_dual_mov_b32 v27, v21
	s_mov_b32 s14, s42
.LBB194_48:                             ;   Parent Loop BB194_13 Depth=1
                                        ;     Parent Loop BB194_22 Depth=2
                                        ;       Parent Loop BB194_34 Depth=3
                                        ; =>      This Inner Loop Header: Depth=4
	global_load_b64 v[61:62], v[27:28], off
	ds_load_b64 v[63:64], v60
	v_add_co_u32 v27, vcc_lo, v27, s22
	v_add_co_ci_u32_e32 v28, vcc_lo, s23, v28, vcc_lo
	v_add_nc_u32_e32 v60, 8, v60
	s_add_i32 s14, s14, -1
	s_delay_alu instid0(SALU_CYCLE_1)
	s_cmp_eq_u32 s14, 0
	s_waitcnt vmcnt(0) lgkmcnt(0)
	v_fma_f64 v[25:26], v[63:64], v[61:62], v[25:26]
	s_cbranch_scc0 .LBB194_48
.LBB194_49:                             ;   in Loop: Header=BB194_34 Depth=3
	s_delay_alu instid0(VALU_DEP_1) | instskip(SKIP_2) | instid1(VALU_DEP_1)
	v_mul_f64 v[25:26], v[1:2], v[25:26]
	v_or3_b32 v27, v59, v35, v30
	s_mov_b32 s14, 0
	v_lshlrev_b32_e32 v59, 3, v27
	ds_load_b64 v[27:28], v59
.LBB194_50:                             ;   Parent Loop BB194_13 Depth=1
                                        ;     Parent Loop BB194_22 Depth=2
                                        ;       Parent Loop BB194_34 Depth=3
                                        ; =>      This Inner Loop Header: Depth=4
	s_waitcnt lgkmcnt(0)
	v_add_f64 v[60:61], v[27:28], v[25:26]
	ds_cmpstore_rtn_b64 v[60:61], v59, v[60:61], v[27:28]
	s_waitcnt lgkmcnt(0)
	v_cmp_eq_u64_e32 vcc_lo, v[60:61], v[27:28]
	v_dual_mov_b32 v27, v60 :: v_dual_mov_b32 v28, v61
	s_or_b32 s14, vcc_lo, s14
	s_delay_alu instid0(SALU_CYCLE_1)
	s_and_not1_b32 exec_lo, exec_lo, s14
	s_cbranch_execnz .LBB194_50
	s_branch .LBB194_32
.LBB194_51:                             ;   in Loop: Header=BB194_22 Depth=2
	s_or_b32 exec_lo, exec_lo, s49
	v_dual_mov_b32 v15, v23 :: v_dual_mov_b32 v16, v24
.LBB194_52:                             ;   in Loop: Header=BB194_22 Depth=2
	s_or_b32 exec_lo, exec_lo, s43
.LBB194_53:                             ;   in Loop: Header=BB194_22 Depth=2
	s_delay_alu instid0(SALU_CYCLE_1)
	s_or_b32 exec_lo, exec_lo, s15
	s_waitcnt lgkmcnt(0)
	s_barrier
	buffer_gl0_inv
	s_and_saveexec_b32 s14, s13
	s_cbranch_execz .LBB194_21
; %bb.54:                               ;   in Loop: Header=BB194_22 Depth=2
	v_lshlrev_b64 v[13:14], 3, v[13:14]
	s_delay_alu instid0(VALU_DEP_1) | instskip(NEXT) | instid1(VALU_DEP_2)
	v_add_co_u32 v13, vcc_lo, s46, v13
	v_add_co_ci_u32_e32 v14, vcc_lo, s47, v14, vcc_lo
	global_store_b64 v[13:14], v[15:16], off
	s_branch .LBB194_21
.LBB194_55:                             ;   in Loop: Header=BB194_22 Depth=2
                                        ; implicit-def: $vgpr15_vgpr16
	s_branch .LBB194_29
.LBB194_56:                             ;   in Loop: Header=BB194_13 Depth=1
	s_and_not1_b32 vcc_lo, exec_lo, s33
	s_cbranch_vccnz .LBB194_69
; %bb.57:                               ;   in Loop: Header=BB194_13 Depth=1
	s_load_b128 s[12:15], s[16:17], 0x0
	s_mov_b32 s26, exec_lo
	s_waitcnt lgkmcnt(0)
	v_add_co_u32 v13, vcc_lo, s12, v36
	v_add_co_ci_u32_e32 v14, vcc_lo, s13, v37, vcc_lo
	s_sub_u32 s14, s14, s54
	s_subb_u32 s15, s15, 0
	s_delay_alu instid0(VALU_DEP_1) | instid1(SALU_CYCLE_1)
	v_cmpx_gt_i64_e64 s[14:15], v[13:14]
	s_cbranch_execz .LBB194_68
; %bb.58:                               ;   in Loop: Header=BB194_13 Depth=1
	s_mov_b32 s27, 0
	s_branch .LBB194_61
.LBB194_59:                             ;   in Loop: Header=BB194_61 Depth=2
	s_or_b32 exec_lo, exec_lo, s43
	s_delay_alu instid0(SALU_CYCLE_1)
	s_or_b32 s12, s12, exec_lo
.LBB194_60:                             ;   in Loop: Header=BB194_61 Depth=2
	s_or_b32 exec_lo, exec_lo, s13
	v_add_co_u32 v13, vcc_lo, v13, 64
	v_add_co_ci_u32_e32 v14, vcc_lo, 0, v14, vcc_lo
	s_xor_b32 s12, s12, -1
	s_delay_alu instid0(VALU_DEP_1) | instskip(SKIP_1) | instid1(SALU_CYCLE_1)
	v_cmp_le_i64_e32 vcc_lo, s[14:15], v[13:14]
	s_or_b32 s12, s12, vcc_lo
	s_and_b32 s12, exec_lo, s12
	s_delay_alu instid0(SALU_CYCLE_1) | instskip(NEXT) | instid1(SALU_CYCLE_1)
	s_or_b32 s27, s12, s27
	s_and_not1_b32 exec_lo, exec_lo, s27
	s_cbranch_execz .LBB194_67
.LBB194_61:                             ;   Parent Loop BB194_13 Depth=1
                                        ; =>  This Loop Header: Depth=2
                                        ;       Child Loop BB194_66 Depth 3
	v_lshlrev_b64 v[15:16], 2, v[13:14]
	s_delay_alu instid0(VALU_DEP_1) | instskip(NEXT) | instid1(VALU_DEP_2)
	v_add_co_u32 v15, vcc_lo, s18, v15
	v_add_co_ci_u32_e32 v16, vcc_lo, s19, v16, vcc_lo
	global_load_b32 v15, v[15:16], off
	s_waitcnt vmcnt(0)
	v_subrev_nc_u32_e32 v15, s39, v15
	s_delay_alu instid0(VALU_DEP_1) | instskip(SKIP_2) | instid1(VALU_DEP_2)
	v_cmp_lt_i32_e64 s12, v15, v56
	v_cmp_ge_i32_e64 s13, v15, v57
	v_cmp_lt_i32_e32 vcc_lo, v15, v57
	s_or_b32 s13, s12, s13
                                        ; implicit-def: $sgpr12
	s_delay_alu instid0(SALU_CYCLE_1) | instskip(NEXT) | instid1(SALU_CYCLE_1)
	s_and_saveexec_b32 s43, s13
	s_xor_b32 s13, exec_lo, s43
; %bb.62:                               ;   in Loop: Header=BB194_61 Depth=2
	v_min_i32_e32 v15, v15, v58
	s_and_b32 s12, vcc_lo, exec_lo
	s_delay_alu instid0(VALU_DEP_1)
	v_cndmask_b32_e32 v58, v15, v58, vcc_lo
                                        ; implicit-def: $vgpr15
; %bb.63:                               ;   in Loop: Header=BB194_61 Depth=2
	s_and_not1_saveexec_b32 s13, s13
	s_cbranch_execz .LBB194_60
; %bb.64:                               ;   in Loop: Header=BB194_61 Depth=2
	v_sub_nc_u32_e32 v15, v15, v56
	s_delay_alu instid0(VALU_DEP_1)
	v_lshlrev_b32_e32 v17, 2, v15
	ds_store_b32 v17, v55 offset:10240
	s_and_saveexec_b32 s43, s2
	s_cbranch_execz .LBB194_59
; %bb.65:                               ;   in Loop: Header=BB194_61 Depth=2
	v_mad_u64_u32 v[15:16], null, v13, s48, 0
	s_mov_b32 s49, 0
	s_delay_alu instid0(VALU_DEP_1) | instskip(SKIP_1) | instid1(VALU_DEP_1)
	v_mad_u64_u32 v[18:19], null, v14, s48, v[16:17]
	v_or3_b32 v17, v17, v35, v30
	v_dual_mov_b32 v16, v18 :: v_dual_lshlrev_b32 v19, 3, v17
	ds_load_b64 v[17:18], v19
	v_lshlrev_b64 v[15:16], 3, v[15:16]
	s_delay_alu instid0(VALU_DEP_1) | instskip(NEXT) | instid1(VALU_DEP_2)
	v_add_co_u32 v15, vcc_lo, v50, v15
	v_add_co_ci_u32_e32 v16, vcc_lo, v49, v16, vcc_lo
	global_load_b64 v[15:16], v[15:16], off
	s_waitcnt vmcnt(0)
	v_mul_f64 v[15:16], v[3:4], v[15:16]
.LBB194_66:                             ;   Parent Loop BB194_13 Depth=1
                                        ;     Parent Loop BB194_61 Depth=2
                                        ; =>    This Inner Loop Header: Depth=3
	s_waitcnt lgkmcnt(0)
	s_delay_alu instid0(VALU_DEP_1)
	v_add_f64 v[20:21], v[17:18], v[15:16]
	ds_cmpstore_rtn_b64 v[20:21], v19, v[20:21], v[17:18]
	s_waitcnt lgkmcnt(0)
	v_cmp_eq_u64_e32 vcc_lo, v[20:21], v[17:18]
	v_dual_mov_b32 v17, v20 :: v_dual_mov_b32 v18, v21
	s_or_b32 s49, vcc_lo, s49
	s_delay_alu instid0(SALU_CYCLE_1)
	s_and_not1_b32 exec_lo, exec_lo, s49
	s_cbranch_execnz .LBB194_66
	s_branch .LBB194_59
.LBB194_67:                             ;   in Loop: Header=BB194_13 Depth=1
	s_or_b32 exec_lo, exec_lo, s27
.LBB194_68:                             ;   in Loop: Header=BB194_13 Depth=1
	s_delay_alu instid0(SALU_CYCLE_1)
	s_or_b32 exec_lo, exec_lo, s26
.LBB194_69:                             ;   in Loop: Header=BB194_13 Depth=1
	s_and_saveexec_b32 s12, s3
	s_cbranch_execz .LBB194_74
; %bb.70:                               ;   in Loop: Header=BB194_13 Depth=1
	s_mov_b32 s14, exec_lo
	s_brev_b32 s13, -2
.LBB194_71:                             ;   Parent Loop BB194_13 Depth=1
                                        ; =>  This Inner Loop Header: Depth=2
	s_ctz_i32_b32 s15, s14
	s_delay_alu instid0(SALU_CYCLE_1) | instskip(SKIP_1) | instid1(SALU_CYCLE_1)
	v_readlane_b32 s26, v58, s15
	s_lshl_b32 s15, 1, s15
	s_and_not1_b32 s14, s14, s15
	s_delay_alu instid0(VALU_DEP_1)
	s_min_i32 s13, s13, s26
	s_cmp_lg_u32 s14, 0
	s_cbranch_scc1 .LBB194_71
; %bb.72:                               ;   in Loop: Header=BB194_13 Depth=1
	v_mbcnt_lo_u32_b32 v13, exec_lo, 0
	s_mov_b32 s14, exec_lo
	s_delay_alu instid0(VALU_DEP_1)
	v_cmpx_eq_u32_e32 0, v13
	s_xor_b32 s14, exec_lo, s14
	s_cbranch_execz .LBB194_74
; %bb.73:                               ;   in Loop: Header=BB194_13 Depth=1
	v_mov_b32_e32 v13, s13
	ds_min_i32 v5, v13 offset:11264
.LBB194_74:                             ;   in Loop: Header=BB194_13 Depth=1
	s_or_b32 exec_lo, exec_lo, s12
	s_waitcnt lgkmcnt(0)
	s_waitcnt_vscnt null, 0x0
	s_barrier
	buffer_gl0_inv
	ds_load_b32 v13, v38
	s_waitcnt lgkmcnt(0)
	s_barrier
	buffer_gl0_inv
	s_and_saveexec_b32 s12, s4
	s_cbranch_execz .LBB194_76
; %bb.75:                               ;   in Loop: Header=BB194_13 Depth=1
	ds_load_b32 v14, v39
	s_waitcnt lgkmcnt(0)
	v_add_nc_u32_e32 v13, v14, v13
.LBB194_76:                             ;   in Loop: Header=BB194_13 Depth=1
	s_or_b32 exec_lo, exec_lo, s12
	s_barrier
	buffer_gl0_inv
	ds_store_b32 v38, v13
	s_waitcnt lgkmcnt(0)
	s_barrier
	buffer_gl0_inv
	s_and_saveexec_b32 s12, s5
	s_cbranch_execz .LBB194_78
; %bb.77:                               ;   in Loop: Header=BB194_13 Depth=1
	ds_load_b32 v14, v40
	s_waitcnt lgkmcnt(0)
	v_add_nc_u32_e32 v13, v14, v13
.LBB194_78:                             ;   in Loop: Header=BB194_13 Depth=1
	s_or_b32 exec_lo, exec_lo, s12
	s_barrier
	buffer_gl0_inv
	ds_store_b32 v38, v13
	;; [unrolled: 14-line block ×8, first 2 shown]
	s_waitcnt lgkmcnt(0)
	s_barrier
	buffer_gl0_inv
	ds_load_b32 v14, v5 offset:11260
	v_mov_b32_e32 v15, 0
	s_and_saveexec_b32 s12, s55
	s_cbranch_execz .LBB194_92
; %bb.91:                               ;   in Loop: Header=BB194_13 Depth=1
	ds_load_b32 v15, v39
.LBB194_92:                             ;   in Loop: Header=BB194_13 Depth=1
	s_or_b32 exec_lo, exec_lo, s12
	s_waitcnt lgkmcnt(0)
	v_cmp_eq_u32_e32 vcc_lo, v13, v15
	s_barrier
	buffer_gl0_inv
	s_and_b32 s13, s55, vcc_lo
	s_delay_alu instid0(SALU_CYCLE_1)
	s_and_saveexec_b32 s12, s13
	s_cbranch_execz .LBB194_94
; %bb.93:                               ;   in Loop: Header=BB194_13 Depth=1
	ds_store_b32 v38, v5
.LBB194_94:                             ;   in Loop: Header=BB194_13 Depth=1
	s_or_b32 exec_lo, exec_lo, s12
	v_add_co_u32 v13, vcc_lo, v11, -1
	v_add_co_ci_u32_e32 v15, vcc_lo, -1, v12, vcc_lo
	v_dual_mov_b32 v17, v54 :: v_dual_add_nc_u32 v16, s38, v56
	v_mov_b32_e32 v18, v53
	v_mov_b32_e32 v19, v29
	s_mov_b32 s12, 0
	s_waitcnt lgkmcnt(0)
	s_barrier
	buffer_gl0_inv
	s_branch .LBB194_96
.LBB194_95:                             ;   in Loop: Header=BB194_96 Depth=2
	s_or_b32 exec_lo, exec_lo, s13
	v_add_nc_u32_e32 v20, 64, v19
	v_cmp_lt_u32_e32 vcc_lo, 0xbf, v19
	v_add_nc_u32_e32 v18, 0x800, v18
	v_add_nc_u32_e32 v17, 0x100, v17
	s_delay_alu instid0(VALU_DEP_4) | instskip(SKIP_1) | instid1(SALU_CYCLE_1)
	v_mov_b32_e32 v19, v20
	s_or_b32 s12, vcc_lo, s12
	s_and_not1_b32 exec_lo, exec_lo, s12
	s_cbranch_execz .LBB194_12
.LBB194_96:                             ;   Parent Loop BB194_13 Depth=1
                                        ; =>  This Inner Loop Header: Depth=2
	ds_load_b32 v20, v17
	s_mov_b32 s13, exec_lo
	s_waitcnt lgkmcnt(0)
	v_cmpx_ne_u32_e32 0, v20
	s_cbranch_execz .LBB194_95
; %bb.97:                               ;   in Loop: Header=BB194_96 Depth=2
	v_ashrrev_i32_e32 v21, 31, v20
	v_add_co_u32 v22, vcc_lo, v11, v20
	v_add_nc_u32_e32 v24, v16, v19
	s_delay_alu instid0(VALU_DEP_3) | instskip(NEXT) | instid1(VALU_DEP_1)
	v_add_co_ci_u32_e32 v23, vcc_lo, v12, v21, vcc_lo
	v_lshlrev_b64 v[22:23], 2, v[22:23]
	s_delay_alu instid0(VALU_DEP_1) | instskip(NEXT) | instid1(VALU_DEP_2)
	v_add_co_u32 v22, vcc_lo, s59, v22
	v_add_co_ci_u32_e32 v23, vcc_lo, s60, v23, vcc_lo
	global_store_b32 v[22:23], v24, off
	s_and_b32 exec_lo, exec_lo, s2
	s_cbranch_execz .LBB194_95
; %bb.98:                               ;   in Loop: Header=BB194_96 Depth=2
	v_add_co_u32 v22, vcc_lo, v13, v20
	v_add_co_ci_u32_e32 v24, vcc_lo, v15, v21, vcc_lo
	s_delay_alu instid0(VALU_DEP_2) | instskip(NEXT) | instid1(VALU_DEP_1)
	v_mad_u64_u32 v[20:21], null, v22, s48, 0
	v_mad_u64_u32 v[22:23], null, v24, s48, v[21:22]
	ds_load_b64 v[23:24], v18
	v_mov_b32_e32 v21, v22
	s_delay_alu instid0(VALU_DEP_1) | instskip(NEXT) | instid1(VALU_DEP_1)
	v_lshlrev_b64 v[20:21], 3, v[20:21]
	v_add_co_u32 v20, vcc_lo, v48, v20
	s_delay_alu instid0(VALU_DEP_2)
	v_add_co_ci_u32_e32 v21, vcc_lo, v47, v21, vcc_lo
	s_waitcnt lgkmcnt(0)
	global_store_b64 v[20:21], v[23:24], off
	s_branch .LBB194_95
.LBB194_99:
	s_endpgm
	.section	.rodata,"a",@progbits
	.p2align	6, 0x0
	.amdhsa_kernel _ZN9rocsparseL38bsrgemm_block_per_row_atomic_multipassILj256ELj256ELj2ElidEEv20rocsparse_direction_T3_S2_PKS2_S4_NS_24const_host_device_scalarIT4_EEPKT2_S4_PKS6_SA_S4_SC_S7_SA_S4_SC_SA_PS2_PS6_PS8_21rocsparse_index_base_SG_SG_SG_bbb
		.amdhsa_group_segment_fixed_size 11272
		.amdhsa_private_segment_fixed_size 0
		.amdhsa_kernarg_size 172
		.amdhsa_user_sgpr_count 15
		.amdhsa_user_sgpr_dispatch_ptr 0
		.amdhsa_user_sgpr_queue_ptr 0
		.amdhsa_user_sgpr_kernarg_segment_ptr 1
		.amdhsa_user_sgpr_dispatch_id 0
		.amdhsa_user_sgpr_private_segment_size 0
		.amdhsa_wavefront_size32 1
		.amdhsa_uses_dynamic_stack 0
		.amdhsa_enable_private_segment 0
		.amdhsa_system_sgpr_workgroup_id_x 1
		.amdhsa_system_sgpr_workgroup_id_y 0
		.amdhsa_system_sgpr_workgroup_id_z 0
		.amdhsa_system_sgpr_workgroup_info 0
		.amdhsa_system_vgpr_workitem_id 0
		.amdhsa_next_free_vgpr 65
		.amdhsa_next_free_sgpr 62
		.amdhsa_reserve_vcc 1
		.amdhsa_float_round_mode_32 0
		.amdhsa_float_round_mode_16_64 0
		.amdhsa_float_denorm_mode_32 3
		.amdhsa_float_denorm_mode_16_64 3
		.amdhsa_dx10_clamp 1
		.amdhsa_ieee_mode 1
		.amdhsa_fp16_overflow 0
		.amdhsa_workgroup_processor_mode 1
		.amdhsa_memory_ordered 1
		.amdhsa_forward_progress 0
		.amdhsa_shared_vgpr_count 0
		.amdhsa_exception_fp_ieee_invalid_op 0
		.amdhsa_exception_fp_denorm_src 0
		.amdhsa_exception_fp_ieee_div_zero 0
		.amdhsa_exception_fp_ieee_overflow 0
		.amdhsa_exception_fp_ieee_underflow 0
		.amdhsa_exception_fp_ieee_inexact 0
		.amdhsa_exception_int_div_zero 0
	.end_amdhsa_kernel
	.section	.text._ZN9rocsparseL38bsrgemm_block_per_row_atomic_multipassILj256ELj256ELj2ElidEEv20rocsparse_direction_T3_S2_PKS2_S4_NS_24const_host_device_scalarIT4_EEPKT2_S4_PKS6_SA_S4_SC_S7_SA_S4_SC_SA_PS2_PS6_PS8_21rocsparse_index_base_SG_SG_SG_bbb,"axG",@progbits,_ZN9rocsparseL38bsrgemm_block_per_row_atomic_multipassILj256ELj256ELj2ElidEEv20rocsparse_direction_T3_S2_PKS2_S4_NS_24const_host_device_scalarIT4_EEPKT2_S4_PKS6_SA_S4_SC_S7_SA_S4_SC_SA_PS2_PS6_PS8_21rocsparse_index_base_SG_SG_SG_bbb,comdat
.Lfunc_end194:
	.size	_ZN9rocsparseL38bsrgemm_block_per_row_atomic_multipassILj256ELj256ELj2ElidEEv20rocsparse_direction_T3_S2_PKS2_S4_NS_24const_host_device_scalarIT4_EEPKT2_S4_PKS6_SA_S4_SC_S7_SA_S4_SC_SA_PS2_PS6_PS8_21rocsparse_index_base_SG_SG_SG_bbb, .Lfunc_end194-_ZN9rocsparseL38bsrgemm_block_per_row_atomic_multipassILj256ELj256ELj2ElidEEv20rocsparse_direction_T3_S2_PKS2_S4_NS_24const_host_device_scalarIT4_EEPKT2_S4_PKS6_SA_S4_SC_S7_SA_S4_SC_SA_PS2_PS6_PS8_21rocsparse_index_base_SG_SG_SG_bbb
                                        ; -- End function
	.section	.AMDGPU.csdata,"",@progbits
; Kernel info:
; codeLenInByte = 4064
; NumSgprs: 64
; NumVgprs: 65
; ScratchSize: 0
; MemoryBound: 0
; FloatMode: 240
; IeeeMode: 1
; LDSByteSize: 11272 bytes/workgroup (compile time only)
; SGPRBlocks: 7
; VGPRBlocks: 8
; NumSGPRsForWavesPerEU: 64
; NumVGPRsForWavesPerEU: 65
; Occupancy: 16
; WaveLimiterHint : 1
; COMPUTE_PGM_RSRC2:SCRATCH_EN: 0
; COMPUTE_PGM_RSRC2:USER_SGPR: 15
; COMPUTE_PGM_RSRC2:TRAP_HANDLER: 0
; COMPUTE_PGM_RSRC2:TGID_X_EN: 1
; COMPUTE_PGM_RSRC2:TGID_Y_EN: 0
; COMPUTE_PGM_RSRC2:TGID_Z_EN: 0
; COMPUTE_PGM_RSRC2:TIDIG_COMP_CNT: 0
	.section	.text._ZN9rocsparseL23bsrgemm_fill_wf_per_rowILj256ELj64ELj8ELj137ELj4ElidEEv20rocsparse_direction_T5_S2_S2_PKS2_S4_NS_24const_host_device_scalarIT6_EEPKT4_S4_PKS6_SA_S4_SC_S7_SA_S4_SC_SA_PS2_PS6_21rocsparse_index_base_SF_SF_SF_bbb,"axG",@progbits,_ZN9rocsparseL23bsrgemm_fill_wf_per_rowILj256ELj64ELj8ELj137ELj4ElidEEv20rocsparse_direction_T5_S2_S2_PKS2_S4_NS_24const_host_device_scalarIT6_EEPKT4_S4_PKS6_SA_S4_SC_S7_SA_S4_SC_SA_PS2_PS6_21rocsparse_index_base_SF_SF_SF_bbb,comdat
	.globl	_ZN9rocsparseL23bsrgemm_fill_wf_per_rowILj256ELj64ELj8ELj137ELj4ElidEEv20rocsparse_direction_T5_S2_S2_PKS2_S4_NS_24const_host_device_scalarIT6_EEPKT4_S4_PKS6_SA_S4_SC_S7_SA_S4_SC_SA_PS2_PS6_21rocsparse_index_base_SF_SF_SF_bbb ; -- Begin function _ZN9rocsparseL23bsrgemm_fill_wf_per_rowILj256ELj64ELj8ELj137ELj4ElidEEv20rocsparse_direction_T5_S2_S2_PKS2_S4_NS_24const_host_device_scalarIT6_EEPKT4_S4_PKS6_SA_S4_SC_S7_SA_S4_SC_SA_PS2_PS6_21rocsparse_index_base_SF_SF_SF_bbb
	.p2align	8
	.type	_ZN9rocsparseL23bsrgemm_fill_wf_per_rowILj256ELj64ELj8ELj137ELj4ElidEEv20rocsparse_direction_T5_S2_S2_PKS2_S4_NS_24const_host_device_scalarIT6_EEPKT4_S4_PKS6_SA_S4_SC_S7_SA_S4_SC_SA_PS2_PS6_21rocsparse_index_base_SF_SF_SF_bbb,@function
_ZN9rocsparseL23bsrgemm_fill_wf_per_rowILj256ELj64ELj8ELj137ELj4ElidEEv20rocsparse_direction_T5_S2_S2_PKS2_S4_NS_24const_host_device_scalarIT6_EEPKT4_S4_PKS6_SA_S4_SC_S7_SA_S4_SC_SA_PS2_PS6_21rocsparse_index_base_SF_SF_SF_bbb: ; @_ZN9rocsparseL23bsrgemm_fill_wf_per_rowILj256ELj64ELj8ELj137ELj4ElidEEv20rocsparse_direction_T5_S2_S2_PKS2_S4_NS_24const_host_device_scalarIT6_EEPKT4_S4_PKS6_SA_S4_SC_S7_SA_S4_SC_SA_PS2_PS6_21rocsparse_index_base_SF_SF_SF_bbb
; %bb.0:
	s_clause 0x2
	s_load_b32 s6, s[0:1], 0xa0
	s_load_b64 s[4:5], s[0:1], 0x20
	s_load_b64 s[2:3], s[0:1], 0x58
	s_waitcnt lgkmcnt(0)
	s_and_b32 s8, 1, s6
	s_bitcmp1_b32 s6, 16
	s_cselect_b32 s7, -1, 0
	s_cmp_eq_u32 s8, 1
	s_cselect_b32 s12, -1, 0
	s_delay_alu instid0(SALU_CYCLE_1)
	s_and_b32 s8, s12, exec_lo
	s_cselect_b32 s9, s5, 0
	s_cselect_b32 s8, s4, 0
	s_xor_b32 s10, s12, -1
	v_dual_mov_b32 v10, s9 :: v_dual_mov_b32 v9, s8
	s_or_b32 s10, s10, s7
	s_delay_alu instid0(SALU_CYCLE_1)
	s_and_b32 vcc_lo, exec_lo, s10
	s_cbranch_vccnz .LBB195_2
; %bb.1:
	v_dual_mov_b32 v1, s4 :: v_dual_mov_b32 v2, s5
	flat_load_b64 v[9:10], v[1:2]
.LBB195_2:
	s_load_b128 s[36:39], s[0:1], 0x90
	s_bitcmp1_b32 s6, 8
	s_cselect_b32 s14, -1, 0
	s_delay_alu instid0(SALU_CYCLE_1)
	s_and_b32 s4, s14, exec_lo
	s_cselect_b32 s5, s3, 0
	s_cselect_b32 s4, s2, 0
	s_xor_b32 s6, s14, -1
	v_dual_mov_b32 v6, s5 :: v_dual_mov_b32 v5, s4
	s_or_b32 s6, s6, s7
	s_delay_alu instid0(SALU_CYCLE_1)
	s_and_b32 vcc_lo, exec_lo, s6
	s_cbranch_vccnz .LBB195_4
; %bb.3:
	v_dual_mov_b32 v1, s2 :: v_dual_mov_b32 v2, s3
	flat_load_b64 v[5:6], v[1:2]
.LBB195_4:
	s_clause 0x4
	s_load_b128 s[40:43], s[0:1], 0x80
	s_load_b256 s[16:23], s[0:1], 0x60
	s_load_b128 s[44:47], s[0:1], 0x48
	s_load_b256 s[4:11], s[0:1], 0x0
	s_load_b256 s[24:31], s[0:1], 0x28
	v_lshrrev_b32_e32 v34, 6, v0
	v_and_b32_e32 v3, 63, v0
	s_mov_b32 s0, exec_lo
	s_delay_alu instid0(VALU_DEP_2) | instskip(NEXT) | instid1(VALU_DEP_2)
	v_lshl_or_b32 v33, v34, 5, 0x1000
	v_cmpx_gt_u32_e32 8, v3
	s_cbranch_execz .LBB195_6
; %bb.5:
	s_delay_alu instid0(VALU_DEP_2)
	v_lshl_add_u32 v1, v3, 2, v33
	s_waitcnt lgkmcnt(0)
	v_mov_b32_e32 v2, s6
	ds_store_b32 v1, v2
.LBB195_6:
	s_or_b32 exec_lo, exec_lo, s0
	v_mov_b32_e32 v1, 0
	v_lshlrev_b32_e32 v35, 10, v34
	v_or_b32_e32 v4, 0xffffffc0, v3
	s_mov_b32 s0, 0
	s_delay_alu instid0(VALU_DEP_3) | instskip(NEXT) | instid1(VALU_DEP_3)
	v_mov_b32_e32 v2, v1
	v_lshl_or_b32 v7, v3, 3, v35
.LBB195_7:                              ; =>This Inner Loop Header: Depth=1
	s_delay_alu instid0(VALU_DEP_3) | instskip(NEXT) | instid1(VALU_DEP_1)
	v_add_co_u32 v4, s1, v4, 64
	s_xor_b32 s1, s1, -1
	ds_store_b64 v7, v[1:2]
	v_add_nc_u32_e32 v7, 0x200, v7
	s_and_b32 s1, exec_lo, s1
	s_delay_alu instid0(SALU_CYCLE_1) | instskip(NEXT) | instid1(SALU_CYCLE_1)
	s_or_b32 s0, s1, s0
	s_and_not1_b32 exec_lo, exec_lo, s0
	s_cbranch_execnz .LBB195_7
; %bb.8:
	s_or_b32 exec_lo, exec_lo, s0
	v_lshl_or_b32 v1, s15, 2, v34
	s_waitcnt vmcnt(0) lgkmcnt(0)
	s_barrier
	buffer_gl0_inv
	s_mov_b32 s0, exec_lo
	v_cmpx_gt_i32_e64 s5, v1
	s_cbranch_execz .LBB195_72
; %bb.9:
	s_cmp_eq_u64 s[10:11], 0
	s_cbranch_scc1 .LBB195_11
; %bb.10:
	s_load_b32 s0, s[8:9], 0x0
	s_waitcnt lgkmcnt(0)
	v_add_nc_u32_e32 v1, s0, v1
	s_delay_alu instid0(VALU_DEP_1) | instskip(NEXT) | instid1(VALU_DEP_1)
	v_ashrrev_i32_e32 v2, 31, v1
	v_lshlrev_b64 v[1:2], 2, v[1:2]
	s_delay_alu instid0(VALU_DEP_1) | instskip(NEXT) | instid1(VALU_DEP_2)
	v_add_co_u32 v1, vcc_lo, s10, v1
	v_add_co_ci_u32_e32 v2, vcc_lo, s11, v2, vcc_lo
	global_load_b32 v1, v[1:2], off
.LBB195_11:
	s_waitcnt vmcnt(0)
	v_ashrrev_i32_e32 v2, 31, v1
	v_lshrrev_b32_e32 v36, 4, v3
	v_and_b32_e32 v37, 3, v0
	v_bfe_u32 v38, v0, 2, 2
	s_and_not1_b32 vcc_lo, exec_lo, s12
	v_lshlrev_b64 v[7:8], 3, v[1:2]
	s_mul_i32 s2, s7, s7
	s_cbranch_vccnz .LBB195_45
; %bb.12:
	s_delay_alu instid0(VALU_DEP_1) | instskip(NEXT) | instid1(VALU_DEP_2)
	v_add_co_u32 v1, vcc_lo, s24, v7
	v_add_co_ci_u32_e32 v2, vcc_lo, s25, v8, vcc_lo
	v_sub_co_u32 v13, s0, v36, s36
	s_delay_alu instid0(VALU_DEP_1)
	v_sub_co_ci_u32_e64 v14, null, 0, 0, s0
	global_load_b128 v[1:4], v[1:2], off
	s_mov_b32 s3, 0
	s_mov_b32 s5, exec_lo
	s_waitcnt vmcnt(0)
	v_sub_co_u32 v11, vcc_lo, v3, s36
	v_subrev_co_ci_u32_e32 v12, vcc_lo, 0, v4, vcc_lo
	v_add_co_u32 v13, vcc_lo, v1, v13
	v_add_co_ci_u32_e32 v14, vcc_lo, v2, v14, vcc_lo
	s_delay_alu instid0(VALU_DEP_1)
	v_cmpx_lt_i64_e64 v[13:14], v[11:12]
	s_cbranch_execz .LBB195_44
; %bb.13:
	v_mad_u64_u32 v[1:2], null, v13, s2, 0
	v_mul_lo_u32 v15, v37, s7
	v_dual_mov_b32 v16, 0 :: v_dual_and_b32 v39, 15, v0
	v_mul_lo_u32 v17, v38, s7
	v_max_i32_e32 v19, v37, v38
	v_lshlrev_b32_e32 v22, 3, v37
	v_mad_u64_u32 v[3:4], null, v14, s2, v[2:3]
	v_dual_mov_b32 v18, v16 :: v_dual_lshlrev_b32 v21, 3, v38
	s_delay_alu instid0(VALU_DEP_4) | instskip(SKIP_3) | instid1(VALU_DEP_3)
	v_cmp_gt_i32_e64 s0, s7, v19
	s_cmp_lg_u32 s4, 0
	s_mov_b32 s12, s7
	s_cselect_b32 s24, -1, 0
	v_mov_b32_e32 v2, v3
	v_lshlrev_b64 v[3:4], 3, v[15:16]
	v_lshlrev_b64 v[19:20], 3, v[17:18]
	s_cmp_gt_i32 s7, 0
	s_mov_b32 s13, s3
	v_lshlrev_b64 v[1:2], 3, v[1:2]
	s_mov_b32 s15, s37
	s_cselect_b32 s25, -1, 0
	s_lshl_b64 s[8:9], s[2:3], 3
	s_lshl_b64 s[10:11], s[2:3], 5
	;; [unrolled: 1-line block ×3, first 2 shown]
	v_add_co_u32 v17, vcc_lo, v1, v21
	v_add_co_ci_u32_e32 v18, vcc_lo, 0, v2, vcc_lo
	v_add_co_u32 v15, vcc_lo, s46, v3
	v_add_co_ci_u32_e32 v16, vcc_lo, s47, v4, vcc_lo
	s_delay_alu instid0(VALU_DEP_4) | instskip(NEXT) | instid1(VALU_DEP_4)
	v_add_co_u32 v17, vcc_lo, s28, v17
	v_add_co_ci_u32_e32 v18, vcc_lo, s29, v18, vcc_lo
	v_add_co_u32 v1, vcc_lo, v1, v19
	v_add_co_ci_u32_e32 v2, vcc_lo, v2, v20, vcc_lo
	v_add_co_u32 v19, s1, s46, v22
	s_delay_alu instid0(VALU_DEP_3) | instskip(SKIP_1) | instid1(VALU_DEP_4)
	v_add_co_u32 v21, vcc_lo, s28, v1
	v_add_co_ci_u32_e64 v20, null, s47, 0, s1
	v_add_co_ci_u32_e32 v22, vcc_lo, s29, v2, vcc_lo
	s_branch .LBB195_15
.LBB195_14:                             ;   in Loop: Header=BB195_15 Depth=1
	s_or_b32 exec_lo, exec_lo, s28
	v_add_co_u32 v13, vcc_lo, v13, 4
	v_add_co_ci_u32_e32 v14, vcc_lo, 0, v14, vcc_lo
	v_add_co_u32 v17, vcc_lo, v17, s10
	v_add_co_ci_u32_e32 v18, vcc_lo, s11, v18, vcc_lo
	s_delay_alu instid0(VALU_DEP_3) | instskip(SKIP_1) | instid1(VALU_DEP_1)
	v_cmp_ge_i64_e32 vcc_lo, v[13:14], v[11:12]
	v_add_co_u32 v21, s1, v21, s10
	v_add_co_ci_u32_e64 v22, s1, s11, v22, s1
	s_or_b32 s3, vcc_lo, s3
	s_delay_alu instid0(SALU_CYCLE_1)
	s_and_not1_b32 exec_lo, exec_lo, s3
	s_cbranch_execz .LBB195_44
.LBB195_15:                             ; =>This Loop Header: Depth=1
                                        ;     Child Loop BB195_18 Depth 2
                                        ;       Child Loop BB195_22 Depth 3
                                        ;       Child Loop BB195_27 Depth 3
	;; [unrolled: 1-line block ×3, first 2 shown]
                                        ;         Child Loop BB195_36 Depth 4
                                        ;         Child Loop BB195_42 Depth 4
	v_lshlrev_b64 v[1:2], 2, v[13:14]
	s_mov_b32 s28, exec_lo
	s_delay_alu instid0(VALU_DEP_1) | instskip(NEXT) | instid1(VALU_DEP_2)
	v_add_co_u32 v1, vcc_lo, s26, v1
	v_add_co_ci_u32_e32 v2, vcc_lo, s27, v2, vcc_lo
	global_load_b32 v1, v[1:2], off
	s_waitcnt vmcnt(0)
	v_subrev_nc_u32_e32 v1, s36, v1
	s_delay_alu instid0(VALU_DEP_1) | instskip(NEXT) | instid1(VALU_DEP_1)
	v_ashrrev_i32_e32 v2, 31, v1
	v_lshlrev_b64 v[1:2], 3, v[1:2]
	s_delay_alu instid0(VALU_DEP_1) | instskip(NEXT) | instid1(VALU_DEP_2)
	v_add_co_u32 v1, vcc_lo, s30, v1
	v_add_co_ci_u32_e32 v2, vcc_lo, s31, v2, vcc_lo
	global_load_b128 v[1:4], v[1:2], off
	s_waitcnt vmcnt(0)
	v_cmpx_lt_i64_e64 v[1:2], v[3:4]
	s_cbranch_execz .LBB195_14
; %bb.16:                               ;   in Loop: Header=BB195_15 Depth=1
	v_sub_co_u32 v1, vcc_lo, v1, s15
	v_subrev_co_ci_u32_e32 v2, vcc_lo, 0, v2, vcc_lo
	v_sub_co_u32 v3, vcc_lo, v3, s15
	s_delay_alu instid0(VALU_DEP_3) | instskip(NEXT) | instid1(VALU_DEP_3)
	v_mad_u64_u32 v[23:24], null, s8, v1, v[15:16]
	v_mul_lo_u32 v27, s8, v2
	v_mul_lo_u32 v28, s9, v1
	v_mad_u64_u32 v[25:26], null, s8, v1, v[19:20]
	v_subrev_co_ci_u32_e32 v4, vcc_lo, 0, v4, vcc_lo
	s_mov_b32 s29, 0
	s_delay_alu instid0(VALU_DEP_3) | instskip(NEXT) | instid1(VALU_DEP_3)
	v_add3_u32 v24, v28, v24, v27
	v_add3_u32 v26, v28, v26, v27
	s_branch .LBB195_18
.LBB195_17:                             ;   in Loop: Header=BB195_18 Depth=2
	s_or_b32 exec_lo, exec_lo, s33
	v_add_co_u32 v1, vcc_lo, v1, 1
	v_add_co_ci_u32_e32 v2, vcc_lo, 0, v2, vcc_lo
	v_add_co_u32 v23, vcc_lo, v23, s8
	v_add_co_ci_u32_e32 v24, vcc_lo, s9, v24, vcc_lo
	s_delay_alu instid0(VALU_DEP_3) | instskip(SKIP_1) | instid1(VALU_DEP_1)
	v_cmp_ge_i64_e32 vcc_lo, v[1:2], v[3:4]
	v_add_co_u32 v25, s1, v25, s8
	v_add_co_ci_u32_e64 v26, s1, s9, v26, s1
	s_or_b32 s29, vcc_lo, s29
	s_delay_alu instid0(SALU_CYCLE_1)
	s_and_not1_b32 exec_lo, exec_lo, s29
	s_cbranch_execz .LBB195_14
.LBB195_18:                             ;   Parent Loop BB195_15 Depth=1
                                        ; =>  This Loop Header: Depth=2
                                        ;       Child Loop BB195_22 Depth 3
                                        ;       Child Loop BB195_27 Depth 3
	;; [unrolled: 1-line block ×3, first 2 shown]
                                        ;         Child Loop BB195_36 Depth 4
                                        ;         Child Loop BB195_42 Depth 4
	s_and_saveexec_b32 s33, s0
	s_cbranch_execz .LBB195_17
; %bb.19:                               ;   in Loop: Header=BB195_18 Depth=2
	v_lshlrev_b64 v[27:28], 2, v[1:2]
	s_delay_alu instid0(VALU_DEP_1) | instskip(NEXT) | instid1(VALU_DEP_2)
	v_add_co_u32 v27, vcc_lo, s44, v27
	v_add_co_ci_u32_e32 v28, vcc_lo, s45, v28, vcc_lo
	s_and_not1_b32 vcc_lo, exec_lo, s24
	global_load_b32 v40, v[27:28], off
	v_cndmask_b32_e64 v27, 0, 1, s25
	s_delay_alu instid0(VALU_DEP_1)
	v_cmp_ne_u32_e64 s1, 1, v27
	s_cbranch_vccnz .LBB195_24
; %bb.20:                               ;   in Loop: Header=BB195_18 Depth=2
	v_mov_b32_e32 v27, 0
	v_mov_b32_e32 v28, 0
	s_delay_alu instid0(VALU_DEP_3)
	s_and_b32 vcc_lo, exec_lo, s1
	s_cbranch_vccnz .LBB195_23
; %bb.21:                               ;   in Loop: Header=BB195_18 Depth=2
	v_dual_mov_b32 v30, v18 :: v_dual_mov_b32 v29, v17
	v_dual_mov_b32 v32, v24 :: v_dual_mov_b32 v31, v23
	s_mov_b32 s1, s7
.LBB195_22:                             ;   Parent Loop BB195_15 Depth=1
                                        ;     Parent Loop BB195_18 Depth=2
                                        ; =>    This Inner Loop Header: Depth=3
	global_load_b64 v[41:42], v[29:30], off
	global_load_b64 v[43:44], v[31:32], off
	v_add_co_u32 v31, vcc_lo, v31, 8
	v_add_co_ci_u32_e32 v32, vcc_lo, 0, v32, vcc_lo
	v_add_co_u32 v29, vcc_lo, v29, s12
	v_add_co_ci_u32_e32 v30, vcc_lo, s13, v30, vcc_lo
	s_add_i32 s1, s1, -1
	s_delay_alu instid0(SALU_CYCLE_1)
	s_cmp_lg_u32 s1, 0
	s_waitcnt vmcnt(0)
	v_fma_f64 v[27:28], v[41:42], v[43:44], v[27:28]
	s_cbranch_scc1 .LBB195_22
.LBB195_23:                             ;   in Loop: Header=BB195_18 Depth=2
	s_cbranch_execz .LBB195_25
	s_branch .LBB195_28
.LBB195_24:                             ;   in Loop: Header=BB195_18 Depth=2
                                        ; implicit-def: $vgpr27_vgpr28
.LBB195_25:                             ;   in Loop: Header=BB195_18 Depth=2
	v_mov_b32_e32 v27, 0
	v_mov_b32_e32 v28, 0
	s_and_not1_b32 vcc_lo, exec_lo, s25
	s_cbranch_vccnz .LBB195_28
; %bb.26:                               ;   in Loop: Header=BB195_18 Depth=2
	v_dual_mov_b32 v30, v22 :: v_dual_mov_b32 v29, v21
	v_dual_mov_b32 v32, v26 :: v_dual_mov_b32 v31, v25
	s_mov_b32 s1, s7
.LBB195_27:                             ;   Parent Loop BB195_15 Depth=1
                                        ;     Parent Loop BB195_18 Depth=2
                                        ; =>    This Inner Loop Header: Depth=3
	global_load_b64 v[41:42], v[29:30], off
	global_load_b64 v[43:44], v[31:32], off
	v_add_co_u32 v31, vcc_lo, v31, s12
	v_add_co_ci_u32_e32 v32, vcc_lo, s13, v32, vcc_lo
	v_add_co_u32 v29, vcc_lo, v29, 8
	v_add_co_ci_u32_e32 v30, vcc_lo, 0, v30, vcc_lo
	s_add_i32 s1, s1, -1
	s_delay_alu instid0(SALU_CYCLE_1)
	s_cmp_eq_u32 s1, 0
	s_waitcnt vmcnt(0)
	v_fma_f64 v[27:28], v[41:42], v[43:44], v[27:28]
	s_cbranch_scc0 .LBB195_27
.LBB195_28:                             ;   in Loop: Header=BB195_18 Depth=2
	s_delay_alu instid0(VALU_DEP_1) | instskip(SKIP_3) | instid1(VALU_DEP_1)
	v_mul_f64 v[27:28], v[9:10], v[27:28]
	s_waitcnt vmcnt(0)
	v_subrev_nc_u32_e32 v31, s37, v40
	s_mov_b32 s1, 0
	v_and_b32_e32 v32, 7, v31
	s_branch .LBB195_30
.LBB195_29:                             ;   in Loop: Header=BB195_30 Depth=3
	s_or_b32 exec_lo, exec_lo, s34
	s_xor_b32 s34, s35, -1
	s_delay_alu instid0(SALU_CYCLE_1) | instskip(NEXT) | instid1(SALU_CYCLE_1)
	s_and_b32 s34, exec_lo, s34
	s_or_b32 s1, s34, s1
	s_delay_alu instid0(SALU_CYCLE_1)
	s_and_not1_b32 exec_lo, exec_lo, s1
	s_cbranch_execz .LBB195_17
.LBB195_30:                             ;   Parent Loop BB195_15 Depth=1
                                        ;     Parent Loop BB195_18 Depth=2
                                        ; =>    This Loop Header: Depth=3
                                        ;         Child Loop BB195_36 Depth 4
                                        ;         Child Loop BB195_42 Depth 4
	s_delay_alu instid0(VALU_DEP_1)
	v_lshl_add_u32 v29, v32, 2, v33
	s_mov_b32 s34, exec_lo
                                        ; implicit-def: $sgpr35
	ds_load_b32 v30, v29
	s_waitcnt lgkmcnt(0)
	v_cmpx_ne_u32_e64 v30, v31
	s_xor_b32 s34, exec_lo, s34
	s_cbranch_execz .LBB195_40
; %bb.31:                               ;   in Loop: Header=BB195_30 Depth=3
	s_mov_b32 s46, exec_lo
                                        ; implicit-def: $sgpr35
	v_cmpx_ne_u32_e64 s6, v30
	s_xor_b32 s46, exec_lo, s46
; %bb.32:                               ;   in Loop: Header=BB195_30 Depth=3
	v_add_nc_u32_e32 v29, 1, v32
	s_mov_b32 s35, -1
	s_delay_alu instid0(VALU_DEP_1)
	v_and_b32_e32 v32, 7, v29
                                        ; implicit-def: $vgpr29
; %bb.33:                               ;   in Loop: Header=BB195_30 Depth=3
	s_and_not1_saveexec_b32 s46, s46
	s_cbranch_execz .LBB195_39
; %bb.34:                               ;   in Loop: Header=BB195_30 Depth=3
	v_mov_b32_e32 v30, s6
	s_mov_b32 s48, -1
	s_mov_b32 s47, exec_lo
	ds_cmpstore_rtn_b32 v29, v29, v31, v30
	s_waitcnt lgkmcnt(0)
	v_cmpx_eq_u32_e64 s6, v29
	s_cbranch_execz .LBB195_38
; %bb.35:                               ;   in Loop: Header=BB195_30 Depth=3
	v_lshlrev_b32_e32 v29, 3, v39
	s_mov_b32 s48, 0
	s_delay_alu instid0(VALU_DEP_1) | instskip(NEXT) | instid1(VALU_DEP_1)
	v_lshl_or_b32 v29, v32, 7, v29
	v_add_nc_u32_e32 v40, v35, v29
	ds_load_b64 v[29:30], v40
.LBB195_36:                             ;   Parent Loop BB195_15 Depth=1
                                        ;     Parent Loop BB195_18 Depth=2
                                        ;       Parent Loop BB195_30 Depth=3
                                        ; =>      This Inner Loop Header: Depth=4
	s_waitcnt lgkmcnt(0)
	v_add_f64 v[41:42], v[29:30], v[27:28]
	ds_cmpstore_rtn_b64 v[41:42], v40, v[41:42], v[29:30]
	s_waitcnt lgkmcnt(0)
	v_cmp_eq_u64_e32 vcc_lo, v[41:42], v[29:30]
	v_dual_mov_b32 v29, v41 :: v_dual_mov_b32 v30, v42
	s_or_b32 s48, vcc_lo, s48
	s_delay_alu instid0(SALU_CYCLE_1)
	s_and_not1_b32 exec_lo, exec_lo, s48
	s_cbranch_execnz .LBB195_36
; %bb.37:                               ;   in Loop: Header=BB195_30 Depth=3
	s_or_b32 exec_lo, exec_lo, s48
	s_delay_alu instid0(SALU_CYCLE_1)
	s_xor_b32 s48, exec_lo, -1
.LBB195_38:                             ;   in Loop: Header=BB195_30 Depth=3
	s_or_b32 exec_lo, exec_lo, s47
	s_delay_alu instid0(SALU_CYCLE_1) | instskip(SKIP_1) | instid1(SALU_CYCLE_1)
	s_and_not1_b32 s35, s35, exec_lo
	s_and_b32 s47, s48, exec_lo
	s_or_b32 s35, s35, s47
.LBB195_39:                             ;   in Loop: Header=BB195_30 Depth=3
	s_or_b32 exec_lo, exec_lo, s46
	s_delay_alu instid0(SALU_CYCLE_1)
	s_and_b32 s35, s35, exec_lo
.LBB195_40:                             ;   in Loop: Header=BB195_30 Depth=3
	s_and_not1_saveexec_b32 s34, s34
	s_cbranch_execz .LBB195_29
; %bb.41:                               ;   in Loop: Header=BB195_30 Depth=3
	v_lshlrev_b32_e32 v29, 3, v39
	s_mov_b32 s46, 0
	s_delay_alu instid0(VALU_DEP_1) | instskip(NEXT) | instid1(VALU_DEP_1)
	v_lshl_or_b32 v29, v32, 7, v29
	v_add_nc_u32_e32 v40, v35, v29
	ds_load_b64 v[29:30], v40
.LBB195_42:                             ;   Parent Loop BB195_15 Depth=1
                                        ;     Parent Loop BB195_18 Depth=2
                                        ;       Parent Loop BB195_30 Depth=3
                                        ; =>      This Inner Loop Header: Depth=4
	s_waitcnt lgkmcnt(0)
	v_add_f64 v[41:42], v[29:30], v[27:28]
	ds_cmpstore_rtn_b64 v[41:42], v40, v[41:42], v[29:30]
	s_waitcnt lgkmcnt(0)
	v_cmp_eq_u64_e32 vcc_lo, v[41:42], v[29:30]
	v_dual_mov_b32 v29, v41 :: v_dual_mov_b32 v30, v42
	s_or_b32 s46, vcc_lo, s46
	s_delay_alu instid0(SALU_CYCLE_1)
	s_and_not1_b32 exec_lo, exec_lo, s46
	s_cbranch_execnz .LBB195_42
; %bb.43:                               ;   in Loop: Header=BB195_30 Depth=3
	s_or_b32 exec_lo, exec_lo, s46
	s_delay_alu instid0(SALU_CYCLE_1)
	s_and_not1_b32 s35, s35, exec_lo
	s_branch .LBB195_29
.LBB195_44:
	s_or_b32 exec_lo, exec_lo, s5
.LBB195_45:
	s_delay_alu instid0(SALU_CYCLE_1)
	s_and_not1_b32 vcc_lo, exec_lo, s14
	s_barrier
	buffer_gl0_inv
	s_cbranch_vccnz .LBB195_67
; %bb.46:
	v_add_co_u32 v1, vcc_lo, s16, v7
	v_add_co_ci_u32_e32 v2, vcc_lo, s17, v8, vcc_lo
	v_sub_co_u32 v3, s0, v36, s39
	s_delay_alu instid0(VALU_DEP_1)
	v_sub_co_ci_u32_e64 v4, null, 0, 0, s0
	global_load_b128 v[9:12], v[1:2], off
	s_mov_b32 s3, 0
	s_mov_b32 s1, exec_lo
	s_waitcnt vmcnt(0)
	v_sub_co_u32 v1, vcc_lo, v11, s39
	v_subrev_co_ci_u32_e32 v2, vcc_lo, 0, v12, vcc_lo
	v_add_co_u32 v3, vcc_lo, v9, v3
	v_add_co_ci_u32_e32 v4, vcc_lo, v10, v4, vcc_lo
	s_delay_alu instid0(VALU_DEP_1)
	v_cmpx_lt_i64_e64 v[3:4], v[1:2]
	s_cbranch_execz .LBB195_66
; %bb.47:
	v_mul_lo_u32 v9, v37, s7
	v_dual_mov_b32 v10, 0 :: v_dual_lshlrev_b32 v15, 3, v37
	v_lshlrev_b32_e32 v14, 3, v38
	v_max_i32_e32 v13, v37, v38
	s_cmp_eq_u32 s4, 0
	s_cselect_b32 s0, -1, 0
	s_delay_alu instid0(VALU_DEP_4) | instskip(SKIP_1) | instid1(VALU_DEP_2)
	v_lshlrev_b64 v[11:12], 3, v[9:10]
	v_mul_lo_u32 v9, v38, s7
	v_add_co_u32 v11, vcc_lo, s20, v11
	s_delay_alu instid0(VALU_DEP_3) | instskip(NEXT) | instid1(VALU_DEP_3)
	v_add_co_ci_u32_e32 v12, vcc_lo, s21, v12, vcc_lo
	v_lshlrev_b64 v[9:10], 3, v[9:10]
	s_delay_alu instid0(VALU_DEP_1) | instskip(NEXT) | instid1(VALU_DEP_2)
	v_add_co_u32 v9, vcc_lo, s20, v9
	v_add_co_ci_u32_e32 v10, vcc_lo, s21, v10, vcc_lo
	v_add_co_u32 v11, vcc_lo, v11, v14
	v_add_co_ci_u32_e32 v12, vcc_lo, 0, v12, vcc_lo
	s_delay_alu instid0(VALU_DEP_4) | instskip(NEXT) | instid1(VALU_DEP_4)
	v_add_co_u32 v9, vcc_lo, v9, v15
	v_add_co_ci_u32_e32 v10, vcc_lo, 0, v10, vcc_lo
	v_and_b32_e32 v14, 15, v0
	v_cmp_gt_i32_e32 vcc_lo, s7, v13
	s_delay_alu instid0(VALU_DEP_4) | instskip(NEXT) | instid1(VALU_DEP_4)
	v_cndmask_b32_e64 v13, v11, v9, s0
	v_cndmask_b32_e64 v0, v12, v10, s0
	s_delay_alu instid0(VALU_DEP_4)
	v_lshlrev_b32_e32 v14, 3, v14
	s_branch .LBB195_49
.LBB195_48:                             ;   in Loop: Header=BB195_49 Depth=1
	s_or_b32 exec_lo, exec_lo, s5
	v_add_co_u32 v3, s0, v3, 4
	s_delay_alu instid0(VALU_DEP_1) | instskip(NEXT) | instid1(VALU_DEP_1)
	v_add_co_ci_u32_e64 v4, s0, 0, v4, s0
	v_cmp_ge_i64_e64 s0, v[3:4], v[1:2]
	s_delay_alu instid0(VALU_DEP_1) | instskip(NEXT) | instid1(SALU_CYCLE_1)
	s_or_b32 s3, s0, s3
	s_and_not1_b32 exec_lo, exec_lo, s3
	s_cbranch_execz .LBB195_66
.LBB195_49:                             ; =>This Loop Header: Depth=1
                                        ;     Child Loop BB195_52 Depth 2
                                        ;       Child Loop BB195_58 Depth 3
                                        ;       Child Loop BB195_64 Depth 3
	s_and_saveexec_b32 s5, vcc_lo
	s_cbranch_execz .LBB195_48
; %bb.50:                               ;   in Loop: Header=BB195_49 Depth=1
	v_mad_u64_u32 v[9:10], null, v3, s2, 0
	s_mov_b32 s8, 0
	s_delay_alu instid0(VALU_DEP_1) | instskip(NEXT) | instid1(VALU_DEP_1)
	v_mad_u64_u32 v[11:12], null, v4, s2, v[10:11]
	v_mov_b32_e32 v10, v11
	v_lshlrev_b64 v[11:12], 2, v[3:4]
	s_delay_alu instid0(VALU_DEP_2) | instskip(NEXT) | instid1(VALU_DEP_1)
	v_lshlrev_b64 v[9:10], 3, v[9:10]
	v_add_co_u32 v9, s0, v13, v9
	s_delay_alu instid0(VALU_DEP_1) | instskip(NEXT) | instid1(VALU_DEP_4)
	v_add_co_ci_u32_e64 v10, s0, v0, v10, s0
	v_add_co_u32 v11, s0, s18, v11
	s_delay_alu instid0(VALU_DEP_1)
	v_add_co_ci_u32_e64 v12, s0, s19, v12, s0
	global_load_b64 v[9:10], v[9:10], off
	global_load_b32 v11, v[11:12], off
	s_waitcnt vmcnt(1)
	v_mul_f64 v[9:10], v[5:6], v[9:10]
	s_waitcnt vmcnt(0)
	v_subrev_nc_u32_e32 v15, s39, v11
	s_delay_alu instid0(VALU_DEP_1)
	v_and_b32_e32 v16, 7, v15
	s_branch .LBB195_52
.LBB195_51:                             ;   in Loop: Header=BB195_52 Depth=2
	s_or_b32 exec_lo, exec_lo, s9
	s_xor_b32 s0, s10, -1
	s_delay_alu instid0(SALU_CYCLE_1) | instskip(NEXT) | instid1(SALU_CYCLE_1)
	s_and_b32 s0, exec_lo, s0
	s_or_b32 s8, s0, s8
	s_delay_alu instid0(SALU_CYCLE_1)
	s_and_not1_b32 exec_lo, exec_lo, s8
	s_cbranch_execz .LBB195_48
.LBB195_52:                             ;   Parent Loop BB195_49 Depth=1
                                        ; =>  This Loop Header: Depth=2
                                        ;       Child Loop BB195_58 Depth 3
                                        ;       Child Loop BB195_64 Depth 3
	s_delay_alu instid0(VALU_DEP_1)
	v_lshl_add_u32 v11, v16, 2, v33
	s_mov_b32 s9, exec_lo
                                        ; implicit-def: $sgpr10
	ds_load_b32 v12, v11
	s_waitcnt lgkmcnt(0)
	v_cmpx_ne_u32_e64 v12, v15
	s_xor_b32 s9, exec_lo, s9
	s_cbranch_execz .LBB195_62
; %bb.53:                               ;   in Loop: Header=BB195_52 Depth=2
	v_cmp_ne_u32_e64 s0, s6, v12
                                        ; implicit-def: $sgpr10
	s_delay_alu instid0(VALU_DEP_1) | instskip(NEXT) | instid1(SALU_CYCLE_1)
	s_and_saveexec_b32 s11, s0
	s_xor_b32 s0, exec_lo, s11
; %bb.54:                               ;   in Loop: Header=BB195_52 Depth=2
	v_add_nc_u32_e32 v11, 1, v16
	s_mov_b32 s10, -1
	s_delay_alu instid0(VALU_DEP_1)
	v_and_b32_e32 v16, 7, v11
                                        ; implicit-def: $vgpr11
; %bb.55:                               ;   in Loop: Header=BB195_52 Depth=2
	s_and_not1_saveexec_b32 s11, s0
	s_cbranch_execz .LBB195_61
; %bb.56:                               ;   in Loop: Header=BB195_52 Depth=2
	v_mov_b32_e32 v12, s6
	s_mov_b32 s13, -1
	s_mov_b32 s12, exec_lo
	ds_cmpstore_rtn_b32 v11, v11, v15, v12
	s_waitcnt lgkmcnt(0)
	v_cmpx_eq_u32_e64 s6, v11
	s_cbranch_execz .LBB195_60
; %bb.57:                               ;   in Loop: Header=BB195_52 Depth=2
	v_lshl_or_b32 v11, v16, 7, v14
	s_mov_b32 s13, 0
	s_delay_alu instid0(VALU_DEP_1)
	v_add_nc_u32_e32 v17, v35, v11
	ds_load_b64 v[11:12], v17
.LBB195_58:                             ;   Parent Loop BB195_49 Depth=1
                                        ;     Parent Loop BB195_52 Depth=2
                                        ; =>    This Inner Loop Header: Depth=3
	s_waitcnt lgkmcnt(0)
	v_add_f64 v[18:19], v[11:12], v[9:10]
	ds_cmpstore_rtn_b64 v[18:19], v17, v[18:19], v[11:12]
	s_waitcnt lgkmcnt(0)
	v_cmp_eq_u64_e64 s0, v[18:19], v[11:12]
	v_dual_mov_b32 v11, v18 :: v_dual_mov_b32 v12, v19
	s_delay_alu instid0(VALU_DEP_2) | instskip(NEXT) | instid1(SALU_CYCLE_1)
	s_or_b32 s13, s0, s13
	s_and_not1_b32 exec_lo, exec_lo, s13
	s_cbranch_execnz .LBB195_58
; %bb.59:                               ;   in Loop: Header=BB195_52 Depth=2
	s_or_b32 exec_lo, exec_lo, s13
	s_delay_alu instid0(SALU_CYCLE_1)
	s_xor_b32 s13, exec_lo, -1
.LBB195_60:                             ;   in Loop: Header=BB195_52 Depth=2
	s_or_b32 exec_lo, exec_lo, s12
	s_delay_alu instid0(SALU_CYCLE_1) | instskip(SKIP_1) | instid1(SALU_CYCLE_1)
	s_and_not1_b32 s0, s10, exec_lo
	s_and_b32 s10, s13, exec_lo
	s_or_b32 s10, s0, s10
.LBB195_61:                             ;   in Loop: Header=BB195_52 Depth=2
	s_or_b32 exec_lo, exec_lo, s11
	s_delay_alu instid0(SALU_CYCLE_1)
	s_and_b32 s10, s10, exec_lo
.LBB195_62:                             ;   in Loop: Header=BB195_52 Depth=2
	s_and_not1_saveexec_b32 s9, s9
	s_cbranch_execz .LBB195_51
; %bb.63:                               ;   in Loop: Header=BB195_52 Depth=2
	v_lshl_or_b32 v11, v16, 7, v14
	s_mov_b32 s11, 0
	s_delay_alu instid0(VALU_DEP_1)
	v_add_nc_u32_e32 v17, v35, v11
	ds_load_b64 v[11:12], v17
.LBB195_64:                             ;   Parent Loop BB195_49 Depth=1
                                        ;     Parent Loop BB195_52 Depth=2
                                        ; =>    This Inner Loop Header: Depth=3
	s_waitcnt lgkmcnt(0)
	v_add_f64 v[18:19], v[11:12], v[9:10]
	ds_cmpstore_rtn_b64 v[18:19], v17, v[18:19], v[11:12]
	s_waitcnt lgkmcnt(0)
	v_cmp_eq_u64_e64 s0, v[18:19], v[11:12]
	v_dual_mov_b32 v11, v18 :: v_dual_mov_b32 v12, v19
	s_delay_alu instid0(VALU_DEP_2) | instskip(NEXT) | instid1(SALU_CYCLE_1)
	s_or_b32 s11, s0, s11
	s_and_not1_b32 exec_lo, exec_lo, s11
	s_cbranch_execnz .LBB195_64
; %bb.65:                               ;   in Loop: Header=BB195_52 Depth=2
	s_or_b32 exec_lo, exec_lo, s11
	s_delay_alu instid0(SALU_CYCLE_1)
	s_and_not1_b32 s10, s10, exec_lo
	s_branch .LBB195_51
.LBB195_66:
	s_or_b32 exec_lo, exec_lo, s1
.LBB195_67:
	v_add_co_u32 v0, vcc_lo, s22, v7
	v_add_co_ci_u32_e32 v1, vcc_lo, s23, v8, vcc_lo
	s_barrier
	buffer_gl0_inv
	global_load_b64 v[0:1], v[0:1], off
	s_cmp_eq_u32 s4, 0
	v_mul_lo_u32 v3, v38, s7
	s_cselect_b32 vcc_lo, -1, 0
	v_dual_mov_b32 v4, 0 :: v_dual_lshlrev_b32 v9, 5, v34
	v_dual_cndmask_b32 v5, v37, v38 :: v_dual_cndmask_b32 v6, v38, v37
	v_lshlrev_b32_e32 v8, 3, v37
	v_max_i32_e32 v7, v37, v38
	s_delay_alu instid0(VALU_DEP_4)
	v_lshlrev_b64 v[3:4], 3, v[3:4]
	v_lshlrev_b32_e32 v10, 2, v36
	v_lshlrev_b32_e32 v6, 3, v6
	v_or_b32_e32 v2, -4, v36
	v_cmp_gt_i32_e32 vcc_lo, s7, v7
	s_mov_b32 s1, 0
	v_add_co_u32 v3, s0, s42, v3
	v_lshl_or_b32 v6, v36, 7, v6
	v_add_co_ci_u32_e64 v4, s0, s43, v4, s0
	s_delay_alu instid0(VALU_DEP_3) | instskip(NEXT) | instid1(VALU_DEP_3)
	v_add_co_u32 v3, s0, v3, v8
	v_lshl_or_b32 v5, v5, 5, v6
	s_delay_alu instid0(VALU_DEP_3) | instskip(SKIP_1) | instid1(VALU_DEP_3)
	v_add_co_ci_u32_e64 v4, s0, 0, v4, s0
	v_or3_b32 v8, v9, v10, 0x1000
	v_add_nc_u32_e32 v5, v35, v5
	s_waitcnt vmcnt(0)
	v_sub_co_u32 v6, s0, v0, s38
	s_delay_alu instid0(VALU_DEP_1)
	v_subrev_co_ci_u32_e64 v7, s0, 0, v1, s0
	s_branch .LBB195_69
.LBB195_68:                             ;   in Loop: Header=BB195_69 Depth=1
	s_or_b32 exec_lo, exec_lo, s3
	v_add_co_u32 v2, s0, v2, 4
	s_delay_alu instid0(VALU_DEP_1) | instskip(SKIP_3) | instid1(SALU_CYCLE_1)
	s_xor_b32 s0, s0, -1
	v_add_nc_u32_e32 v5, 0x200, v5
	v_add_nc_u32_e32 v8, 16, v8
	s_and_b32 s0, exec_lo, s0
	s_or_b32 s1, s0, s1
	s_delay_alu instid0(SALU_CYCLE_1)
	s_and_not1_b32 exec_lo, exec_lo, s1
	s_cbranch_execz .LBB195_72
.LBB195_69:                             ; =>This Inner Loop Header: Depth=1
	ds_load_b32 v9, v8
	s_mov_b32 s3, exec_lo
	s_waitcnt lgkmcnt(0)
	v_cmpx_gt_i32_e64 s6, v9
	s_cbranch_execz .LBB195_68
; %bb.70:                               ;   in Loop: Header=BB195_69 Depth=1
	ds_load_b128 v[10:13], v33
	ds_load_b128 v[14:17], v33 offset:16
	s_waitcnt lgkmcnt(1)
	v_cmp_gt_i32_e64 s0, v9, v10
	s_delay_alu instid0(VALU_DEP_1) | instskip(SKIP_1) | instid1(VALU_DEP_1)
	v_cndmask_b32_e64 v0, 0, 1, s0
	v_cmp_gt_i32_e64 s0, v9, v11
	v_cndmask_b32_e64 v1, 0, 1, s0
	s_delay_alu instid0(VALU_DEP_3) | instskip(NEXT) | instid1(VALU_DEP_1)
	v_add_co_u32 v0, s0, v6, v0
	v_add_co_ci_u32_e64 v10, s0, 0, v7, s0
	v_cmp_gt_i32_e64 s0, v9, v12
	v_add_nc_u32_e32 v12, s38, v9
	s_delay_alu instid0(VALU_DEP_2) | instskip(SKIP_1) | instid1(VALU_DEP_1)
	v_cndmask_b32_e64 v11, 0, 1, s0
	v_add_co_u32 v0, s0, v0, v1
	v_add_co_ci_u32_e64 v1, s0, 0, v10, s0
	v_cmp_gt_i32_e64 s0, v9, v13
	s_delay_alu instid0(VALU_DEP_1) | instskip(NEXT) | instid1(VALU_DEP_4)
	v_cndmask_b32_e64 v10, 0, 1, s0
	v_add_co_u32 v0, s0, v0, v11
	s_delay_alu instid0(VALU_DEP_1) | instskip(SKIP_2) | instid1(VALU_DEP_1)
	v_add_co_ci_u32_e64 v1, s0, 0, v1, s0
	s_waitcnt lgkmcnt(0)
	v_cmp_gt_i32_e64 s0, v9, v14
	v_cndmask_b32_e64 v11, 0, 1, s0
	v_add_co_u32 v0, s0, v0, v10
	s_delay_alu instid0(VALU_DEP_1) | instskip(SKIP_1) | instid1(VALU_DEP_1)
	v_add_co_ci_u32_e64 v1, s0, 0, v1, s0
	v_cmp_gt_i32_e64 s0, v9, v15
	v_cndmask_b32_e64 v10, 0, 1, s0
	s_delay_alu instid0(VALU_DEP_4) | instskip(NEXT) | instid1(VALU_DEP_1)
	v_add_co_u32 v0, s0, v0, v11
	v_add_co_ci_u32_e64 v1, s0, 0, v1, s0
	v_cmp_gt_i32_e64 s0, v9, v16
	s_delay_alu instid0(VALU_DEP_1) | instskip(NEXT) | instid1(VALU_DEP_4)
	v_cndmask_b32_e64 v11, 0, 1, s0
	v_add_co_u32 v0, s0, v0, v10
	s_delay_alu instid0(VALU_DEP_1) | instskip(SKIP_1) | instid1(VALU_DEP_1)
	v_add_co_ci_u32_e64 v1, s0, 0, v1, s0
	v_cmp_gt_i32_e64 s0, v9, v17
	v_cndmask_b32_e64 v10, 0, 1, s0
	s_delay_alu instid0(VALU_DEP_4) | instskip(NEXT) | instid1(VALU_DEP_1)
	v_add_co_u32 v0, s0, v0, v11
	v_add_co_ci_u32_e64 v1, s0, 0, v1, s0
	s_delay_alu instid0(VALU_DEP_2) | instskip(NEXT) | instid1(VALU_DEP_1)
	v_add_co_u32 v0, s0, v0, v10
	v_add_co_ci_u32_e64 v1, s0, 0, v1, s0
	s_delay_alu instid0(VALU_DEP_1) | instskip(NEXT) | instid1(VALU_DEP_1)
	v_lshlrev_b64 v[10:11], 2, v[0:1]
	v_add_co_u32 v9, s0, s40, v10
	s_delay_alu instid0(VALU_DEP_1)
	v_add_co_ci_u32_e64 v10, s0, s41, v11, s0
	global_store_b32 v[9:10], v12, off
	s_and_b32 exec_lo, exec_lo, vcc_lo
	s_cbranch_execz .LBB195_68
; %bb.71:                               ;   in Loop: Header=BB195_69 Depth=1
	v_mad_u64_u32 v[9:10], null, v0, s2, 0
	s_delay_alu instid0(VALU_DEP_1) | instskip(NEXT) | instid1(VALU_DEP_1)
	v_mov_b32_e32 v0, v10
	v_mad_u64_u32 v[10:11], null, v1, s2, v[0:1]
	ds_load_b64 v[0:1], v5
	v_lshlrev_b64 v[9:10], 3, v[9:10]
	s_delay_alu instid0(VALU_DEP_1) | instskip(NEXT) | instid1(VALU_DEP_1)
	v_add_co_u32 v9, s0, v3, v9
	v_add_co_ci_u32_e64 v10, s0, v4, v10, s0
	s_waitcnt lgkmcnt(0)
	global_store_b64 v[9:10], v[0:1], off
	s_branch .LBB195_68
.LBB195_72:
	s_nop 0
	s_sendmsg sendmsg(MSG_DEALLOC_VGPRS)
	s_endpgm
	.section	.rodata,"a",@progbits
	.p2align	6, 0x0
	.amdhsa_kernel _ZN9rocsparseL23bsrgemm_fill_wf_per_rowILj256ELj64ELj8ELj137ELj4ElidEEv20rocsparse_direction_T5_S2_S2_PKS2_S4_NS_24const_host_device_scalarIT6_EEPKT4_S4_PKS6_SA_S4_SC_S7_SA_S4_SC_SA_PS2_PS6_21rocsparse_index_base_SF_SF_SF_bbb
		.amdhsa_group_segment_fixed_size 4224
		.amdhsa_private_segment_fixed_size 0
		.amdhsa_kernarg_size 164
		.amdhsa_user_sgpr_count 15
		.amdhsa_user_sgpr_dispatch_ptr 0
		.amdhsa_user_sgpr_queue_ptr 0
		.amdhsa_user_sgpr_kernarg_segment_ptr 1
		.amdhsa_user_sgpr_dispatch_id 0
		.amdhsa_user_sgpr_private_segment_size 0
		.amdhsa_wavefront_size32 1
		.amdhsa_uses_dynamic_stack 0
		.amdhsa_enable_private_segment 0
		.amdhsa_system_sgpr_workgroup_id_x 1
		.amdhsa_system_sgpr_workgroup_id_y 0
		.amdhsa_system_sgpr_workgroup_id_z 0
		.amdhsa_system_sgpr_workgroup_info 0
		.amdhsa_system_vgpr_workitem_id 0
		.amdhsa_next_free_vgpr 45
		.amdhsa_next_free_sgpr 49
		.amdhsa_reserve_vcc 1
		.amdhsa_float_round_mode_32 0
		.amdhsa_float_round_mode_16_64 0
		.amdhsa_float_denorm_mode_32 3
		.amdhsa_float_denorm_mode_16_64 3
		.amdhsa_dx10_clamp 1
		.amdhsa_ieee_mode 1
		.amdhsa_fp16_overflow 0
		.amdhsa_workgroup_processor_mode 1
		.amdhsa_memory_ordered 1
		.amdhsa_forward_progress 0
		.amdhsa_shared_vgpr_count 0
		.amdhsa_exception_fp_ieee_invalid_op 0
		.amdhsa_exception_fp_denorm_src 0
		.amdhsa_exception_fp_ieee_div_zero 0
		.amdhsa_exception_fp_ieee_overflow 0
		.amdhsa_exception_fp_ieee_underflow 0
		.amdhsa_exception_fp_ieee_inexact 0
		.amdhsa_exception_int_div_zero 0
	.end_amdhsa_kernel
	.section	.text._ZN9rocsparseL23bsrgemm_fill_wf_per_rowILj256ELj64ELj8ELj137ELj4ElidEEv20rocsparse_direction_T5_S2_S2_PKS2_S4_NS_24const_host_device_scalarIT6_EEPKT4_S4_PKS6_SA_S4_SC_S7_SA_S4_SC_SA_PS2_PS6_21rocsparse_index_base_SF_SF_SF_bbb,"axG",@progbits,_ZN9rocsparseL23bsrgemm_fill_wf_per_rowILj256ELj64ELj8ELj137ELj4ElidEEv20rocsparse_direction_T5_S2_S2_PKS2_S4_NS_24const_host_device_scalarIT6_EEPKT4_S4_PKS6_SA_S4_SC_S7_SA_S4_SC_SA_PS2_PS6_21rocsparse_index_base_SF_SF_SF_bbb,comdat
.Lfunc_end195:
	.size	_ZN9rocsparseL23bsrgemm_fill_wf_per_rowILj256ELj64ELj8ELj137ELj4ElidEEv20rocsparse_direction_T5_S2_S2_PKS2_S4_NS_24const_host_device_scalarIT6_EEPKT4_S4_PKS6_SA_S4_SC_S7_SA_S4_SC_SA_PS2_PS6_21rocsparse_index_base_SF_SF_SF_bbb, .Lfunc_end195-_ZN9rocsparseL23bsrgemm_fill_wf_per_rowILj256ELj64ELj8ELj137ELj4ElidEEv20rocsparse_direction_T5_S2_S2_PKS2_S4_NS_24const_host_device_scalarIT6_EEPKT4_S4_PKS6_SA_S4_SC_S7_SA_S4_SC_SA_PS2_PS6_21rocsparse_index_base_SF_SF_SF_bbb
                                        ; -- End function
	.section	.AMDGPU.csdata,"",@progbits
; Kernel info:
; codeLenInByte = 3508
; NumSgprs: 51
; NumVgprs: 45
; ScratchSize: 0
; MemoryBound: 0
; FloatMode: 240
; IeeeMode: 1
; LDSByteSize: 4224 bytes/workgroup (compile time only)
; SGPRBlocks: 6
; VGPRBlocks: 5
; NumSGPRsForWavesPerEU: 51
; NumVGPRsForWavesPerEU: 45
; Occupancy: 16
; WaveLimiterHint : 1
; COMPUTE_PGM_RSRC2:SCRATCH_EN: 0
; COMPUTE_PGM_RSRC2:USER_SGPR: 15
; COMPUTE_PGM_RSRC2:TRAP_HANDLER: 0
; COMPUTE_PGM_RSRC2:TGID_X_EN: 1
; COMPUTE_PGM_RSRC2:TGID_Y_EN: 0
; COMPUTE_PGM_RSRC2:TGID_Z_EN: 0
; COMPUTE_PGM_RSRC2:TIDIG_COMP_CNT: 0
	.section	.text._ZN9rocsparseL23bsrgemm_fill_wf_per_rowILj256ELj64ELj16ELj137ELj4ElidEEv20rocsparse_direction_T5_S2_S2_PKS2_S4_NS_24const_host_device_scalarIT6_EEPKT4_S4_PKS6_SA_S4_SC_S7_SA_S4_SC_SA_PS2_PS6_21rocsparse_index_base_SF_SF_SF_bbb,"axG",@progbits,_ZN9rocsparseL23bsrgemm_fill_wf_per_rowILj256ELj64ELj16ELj137ELj4ElidEEv20rocsparse_direction_T5_S2_S2_PKS2_S4_NS_24const_host_device_scalarIT6_EEPKT4_S4_PKS6_SA_S4_SC_S7_SA_S4_SC_SA_PS2_PS6_21rocsparse_index_base_SF_SF_SF_bbb,comdat
	.globl	_ZN9rocsparseL23bsrgemm_fill_wf_per_rowILj256ELj64ELj16ELj137ELj4ElidEEv20rocsparse_direction_T5_S2_S2_PKS2_S4_NS_24const_host_device_scalarIT6_EEPKT4_S4_PKS6_SA_S4_SC_S7_SA_S4_SC_SA_PS2_PS6_21rocsparse_index_base_SF_SF_SF_bbb ; -- Begin function _ZN9rocsparseL23bsrgemm_fill_wf_per_rowILj256ELj64ELj16ELj137ELj4ElidEEv20rocsparse_direction_T5_S2_S2_PKS2_S4_NS_24const_host_device_scalarIT6_EEPKT4_S4_PKS6_SA_S4_SC_S7_SA_S4_SC_SA_PS2_PS6_21rocsparse_index_base_SF_SF_SF_bbb
	.p2align	8
	.type	_ZN9rocsparseL23bsrgemm_fill_wf_per_rowILj256ELj64ELj16ELj137ELj4ElidEEv20rocsparse_direction_T5_S2_S2_PKS2_S4_NS_24const_host_device_scalarIT6_EEPKT4_S4_PKS6_SA_S4_SC_S7_SA_S4_SC_SA_PS2_PS6_21rocsparse_index_base_SF_SF_SF_bbb,@function
_ZN9rocsparseL23bsrgemm_fill_wf_per_rowILj256ELj64ELj16ELj137ELj4ElidEEv20rocsparse_direction_T5_S2_S2_PKS2_S4_NS_24const_host_device_scalarIT6_EEPKT4_S4_PKS6_SA_S4_SC_S7_SA_S4_SC_SA_PS2_PS6_21rocsparse_index_base_SF_SF_SF_bbb: ; @_ZN9rocsparseL23bsrgemm_fill_wf_per_rowILj256ELj64ELj16ELj137ELj4ElidEEv20rocsparse_direction_T5_S2_S2_PKS2_S4_NS_24const_host_device_scalarIT6_EEPKT4_S4_PKS6_SA_S4_SC_S7_SA_S4_SC_SA_PS2_PS6_21rocsparse_index_base_SF_SF_SF_bbb
; %bb.0:
	s_clause 0x2
	s_load_b32 s6, s[0:1], 0xa0
	s_load_b64 s[4:5], s[0:1], 0x20
	s_load_b64 s[2:3], s[0:1], 0x58
	s_waitcnt lgkmcnt(0)
	s_and_b32 s8, 1, s6
	s_bitcmp1_b32 s6, 16
	s_cselect_b32 s7, -1, 0
	s_cmp_eq_u32 s8, 1
	s_cselect_b32 s12, -1, 0
	s_delay_alu instid0(SALU_CYCLE_1)
	s_and_b32 s8, s12, exec_lo
	s_cselect_b32 s9, s5, 0
	s_cselect_b32 s8, s4, 0
	s_xor_b32 s10, s12, -1
	v_dual_mov_b32 v10, s9 :: v_dual_mov_b32 v9, s8
	s_or_b32 s10, s10, s7
	s_delay_alu instid0(SALU_CYCLE_1)
	s_and_b32 vcc_lo, exec_lo, s10
	s_cbranch_vccnz .LBB196_2
; %bb.1:
	v_dual_mov_b32 v1, s4 :: v_dual_mov_b32 v2, s5
	flat_load_b64 v[9:10], v[1:2]
.LBB196_2:
	s_load_b128 s[36:39], s[0:1], 0x90
	s_bitcmp1_b32 s6, 8
	s_cselect_b32 s14, -1, 0
	s_delay_alu instid0(SALU_CYCLE_1)
	s_and_b32 s4, s14, exec_lo
	s_cselect_b32 s5, s3, 0
	s_cselect_b32 s4, s2, 0
	s_xor_b32 s6, s14, -1
	v_dual_mov_b32 v6, s5 :: v_dual_mov_b32 v5, s4
	s_or_b32 s6, s6, s7
	s_delay_alu instid0(SALU_CYCLE_1)
	s_and_b32 vcc_lo, exec_lo, s6
	s_cbranch_vccnz .LBB196_4
; %bb.3:
	v_dual_mov_b32 v1, s2 :: v_dual_mov_b32 v2, s3
	flat_load_b64 v[5:6], v[1:2]
.LBB196_4:
	s_clause 0x4
	s_load_b128 s[40:43], s[0:1], 0x80
	s_load_b256 s[16:23], s[0:1], 0x60
	s_load_b128 s[44:47], s[0:1], 0x48
	s_load_b256 s[4:11], s[0:1], 0x0
	s_load_b256 s[24:31], s[0:1], 0x28
	s_movk_i32 s0, 0xc0
	v_and_b32_e32 v3, 63, v0
	v_lshrrev_b32_e32 v34, 6, v0
	v_and_or_b32 v33, v0, s0, 0x2000
	s_mov_b32 s0, exec_lo
	s_delay_alu instid0(VALU_DEP_3)
	v_cmpx_gt_u32_e32 16, v3
	s_cbranch_execz .LBB196_6
; %bb.5:
	s_delay_alu instid0(VALU_DEP_2)
	v_lshl_add_u32 v1, v3, 2, v33
	s_waitcnt lgkmcnt(0)
	v_mov_b32_e32 v2, s6
	ds_store_b32 v1, v2
.LBB196_6:
	s_or_b32 exec_lo, exec_lo, s0
	v_mov_b32_e32 v1, 0
	v_lshlrev_b32_e32 v35, 11, v34
	v_or_b32_e32 v4, 0xffffffc0, v3
	s_mov_b32 s0, 0
	s_delay_alu instid0(VALU_DEP_3) | instskip(NEXT) | instid1(VALU_DEP_3)
	v_mov_b32_e32 v2, v1
	v_lshl_or_b32 v7, v3, 3, v35
.LBB196_7:                              ; =>This Inner Loop Header: Depth=1
	s_delay_alu instid0(VALU_DEP_3) | instskip(SKIP_4) | instid1(SALU_CYCLE_1)
	v_add_nc_u32_e32 v4, 64, v4
	ds_store_b64 v7, v[1:2]
	v_add_nc_u32_e32 v7, 0x200, v7
	v_cmp_lt_u32_e32 vcc_lo, 0xbf, v4
	s_or_b32 s0, vcc_lo, s0
	s_and_not1_b32 exec_lo, exec_lo, s0
	s_cbranch_execnz .LBB196_7
; %bb.8:
	s_or_b32 exec_lo, exec_lo, s0
	v_lshl_or_b32 v1, s15, 2, v34
	s_waitcnt vmcnt(0) lgkmcnt(0)
	s_barrier
	buffer_gl0_inv
	s_mov_b32 s0, exec_lo
	v_cmpx_gt_i32_e64 s5, v1
	s_cbranch_execz .LBB196_72
; %bb.9:
	s_cmp_eq_u64 s[10:11], 0
	s_cbranch_scc1 .LBB196_11
; %bb.10:
	s_load_b32 s0, s[8:9], 0x0
	s_waitcnt lgkmcnt(0)
	v_add_nc_u32_e32 v1, s0, v1
	s_delay_alu instid0(VALU_DEP_1) | instskip(NEXT) | instid1(VALU_DEP_1)
	v_ashrrev_i32_e32 v2, 31, v1
	v_lshlrev_b64 v[1:2], 2, v[1:2]
	s_delay_alu instid0(VALU_DEP_1) | instskip(NEXT) | instid1(VALU_DEP_2)
	v_add_co_u32 v1, vcc_lo, s10, v1
	v_add_co_ci_u32_e32 v2, vcc_lo, s11, v2, vcc_lo
	global_load_b32 v1, v[1:2], off
.LBB196_11:
	s_waitcnt vmcnt(0)
	v_ashrrev_i32_e32 v2, 31, v1
	v_lshrrev_b32_e32 v36, 4, v3
	v_and_b32_e32 v37, 3, v0
	v_bfe_u32 v38, v0, 2, 2
	s_and_not1_b32 vcc_lo, exec_lo, s12
	v_lshlrev_b64 v[7:8], 3, v[1:2]
	s_mul_i32 s2, s7, s7
	s_cbranch_vccnz .LBB196_45
; %bb.12:
	s_delay_alu instid0(VALU_DEP_1) | instskip(NEXT) | instid1(VALU_DEP_2)
	v_add_co_u32 v1, vcc_lo, s24, v7
	v_add_co_ci_u32_e32 v2, vcc_lo, s25, v8, vcc_lo
	v_sub_co_u32 v13, s0, v36, s36
	s_delay_alu instid0(VALU_DEP_1)
	v_sub_co_ci_u32_e64 v14, null, 0, 0, s0
	global_load_b128 v[1:4], v[1:2], off
	s_mov_b32 s3, 0
	s_mov_b32 s5, exec_lo
	s_waitcnt vmcnt(0)
	v_sub_co_u32 v11, vcc_lo, v3, s36
	v_subrev_co_ci_u32_e32 v12, vcc_lo, 0, v4, vcc_lo
	v_add_co_u32 v13, vcc_lo, v1, v13
	v_add_co_ci_u32_e32 v14, vcc_lo, v2, v14, vcc_lo
	s_delay_alu instid0(VALU_DEP_1)
	v_cmpx_lt_i64_e64 v[13:14], v[11:12]
	s_cbranch_execz .LBB196_44
; %bb.13:
	v_mad_u64_u32 v[1:2], null, v13, s2, 0
	v_mul_lo_u32 v15, v37, s7
	v_dual_mov_b32 v16, 0 :: v_dual_and_b32 v39, 15, v0
	v_mul_lo_u32 v17, v38, s7
	v_max_i32_e32 v19, v37, v38
	v_lshlrev_b32_e32 v22, 3, v37
	v_mad_u64_u32 v[3:4], null, v14, s2, v[2:3]
	v_dual_mov_b32 v18, v16 :: v_dual_lshlrev_b32 v21, 3, v38
	s_delay_alu instid0(VALU_DEP_4) | instskip(SKIP_3) | instid1(VALU_DEP_3)
	v_cmp_gt_i32_e64 s0, s7, v19
	s_cmp_lg_u32 s4, 0
	s_mov_b32 s12, s7
	s_cselect_b32 s24, -1, 0
	v_mov_b32_e32 v2, v3
	v_lshlrev_b64 v[3:4], 3, v[15:16]
	v_lshlrev_b64 v[19:20], 3, v[17:18]
	s_cmp_gt_i32 s7, 0
	s_mov_b32 s13, s3
	v_lshlrev_b64 v[1:2], 3, v[1:2]
	s_mov_b32 s15, s37
	s_cselect_b32 s25, -1, 0
	s_lshl_b64 s[8:9], s[2:3], 3
	s_lshl_b64 s[10:11], s[2:3], 5
	;; [unrolled: 1-line block ×3, first 2 shown]
	v_add_co_u32 v17, vcc_lo, v1, v21
	v_add_co_ci_u32_e32 v18, vcc_lo, 0, v2, vcc_lo
	v_add_co_u32 v15, vcc_lo, s46, v3
	v_add_co_ci_u32_e32 v16, vcc_lo, s47, v4, vcc_lo
	s_delay_alu instid0(VALU_DEP_4) | instskip(NEXT) | instid1(VALU_DEP_4)
	v_add_co_u32 v17, vcc_lo, s28, v17
	v_add_co_ci_u32_e32 v18, vcc_lo, s29, v18, vcc_lo
	v_add_co_u32 v1, vcc_lo, v1, v19
	v_add_co_ci_u32_e32 v2, vcc_lo, v2, v20, vcc_lo
	v_add_co_u32 v19, s1, s46, v22
	s_delay_alu instid0(VALU_DEP_3) | instskip(SKIP_1) | instid1(VALU_DEP_4)
	v_add_co_u32 v21, vcc_lo, s28, v1
	v_add_co_ci_u32_e64 v20, null, s47, 0, s1
	v_add_co_ci_u32_e32 v22, vcc_lo, s29, v2, vcc_lo
	s_branch .LBB196_15
.LBB196_14:                             ;   in Loop: Header=BB196_15 Depth=1
	s_or_b32 exec_lo, exec_lo, s28
	v_add_co_u32 v13, vcc_lo, v13, 4
	v_add_co_ci_u32_e32 v14, vcc_lo, 0, v14, vcc_lo
	v_add_co_u32 v17, vcc_lo, v17, s10
	v_add_co_ci_u32_e32 v18, vcc_lo, s11, v18, vcc_lo
	s_delay_alu instid0(VALU_DEP_3) | instskip(SKIP_1) | instid1(VALU_DEP_1)
	v_cmp_ge_i64_e32 vcc_lo, v[13:14], v[11:12]
	v_add_co_u32 v21, s1, v21, s10
	v_add_co_ci_u32_e64 v22, s1, s11, v22, s1
	s_or_b32 s3, vcc_lo, s3
	s_delay_alu instid0(SALU_CYCLE_1)
	s_and_not1_b32 exec_lo, exec_lo, s3
	s_cbranch_execz .LBB196_44
.LBB196_15:                             ; =>This Loop Header: Depth=1
                                        ;     Child Loop BB196_18 Depth 2
                                        ;       Child Loop BB196_22 Depth 3
                                        ;       Child Loop BB196_27 Depth 3
	;; [unrolled: 1-line block ×3, first 2 shown]
                                        ;         Child Loop BB196_36 Depth 4
                                        ;         Child Loop BB196_42 Depth 4
	v_lshlrev_b64 v[1:2], 2, v[13:14]
	s_mov_b32 s28, exec_lo
	s_delay_alu instid0(VALU_DEP_1) | instskip(NEXT) | instid1(VALU_DEP_2)
	v_add_co_u32 v1, vcc_lo, s26, v1
	v_add_co_ci_u32_e32 v2, vcc_lo, s27, v2, vcc_lo
	global_load_b32 v1, v[1:2], off
	s_waitcnt vmcnt(0)
	v_subrev_nc_u32_e32 v1, s36, v1
	s_delay_alu instid0(VALU_DEP_1) | instskip(NEXT) | instid1(VALU_DEP_1)
	v_ashrrev_i32_e32 v2, 31, v1
	v_lshlrev_b64 v[1:2], 3, v[1:2]
	s_delay_alu instid0(VALU_DEP_1) | instskip(NEXT) | instid1(VALU_DEP_2)
	v_add_co_u32 v1, vcc_lo, s30, v1
	v_add_co_ci_u32_e32 v2, vcc_lo, s31, v2, vcc_lo
	global_load_b128 v[1:4], v[1:2], off
	s_waitcnt vmcnt(0)
	v_cmpx_lt_i64_e64 v[1:2], v[3:4]
	s_cbranch_execz .LBB196_14
; %bb.16:                               ;   in Loop: Header=BB196_15 Depth=1
	v_sub_co_u32 v1, vcc_lo, v1, s15
	v_subrev_co_ci_u32_e32 v2, vcc_lo, 0, v2, vcc_lo
	v_sub_co_u32 v3, vcc_lo, v3, s15
	s_delay_alu instid0(VALU_DEP_3) | instskip(NEXT) | instid1(VALU_DEP_3)
	v_mad_u64_u32 v[23:24], null, s8, v1, v[15:16]
	v_mul_lo_u32 v27, s8, v2
	v_mul_lo_u32 v28, s9, v1
	v_mad_u64_u32 v[25:26], null, s8, v1, v[19:20]
	v_subrev_co_ci_u32_e32 v4, vcc_lo, 0, v4, vcc_lo
	s_mov_b32 s29, 0
	s_delay_alu instid0(VALU_DEP_3) | instskip(NEXT) | instid1(VALU_DEP_3)
	v_add3_u32 v24, v28, v24, v27
	v_add3_u32 v26, v28, v26, v27
	s_branch .LBB196_18
.LBB196_17:                             ;   in Loop: Header=BB196_18 Depth=2
	s_or_b32 exec_lo, exec_lo, s33
	v_add_co_u32 v1, vcc_lo, v1, 1
	v_add_co_ci_u32_e32 v2, vcc_lo, 0, v2, vcc_lo
	v_add_co_u32 v23, vcc_lo, v23, s8
	v_add_co_ci_u32_e32 v24, vcc_lo, s9, v24, vcc_lo
	s_delay_alu instid0(VALU_DEP_3) | instskip(SKIP_1) | instid1(VALU_DEP_1)
	v_cmp_ge_i64_e32 vcc_lo, v[1:2], v[3:4]
	v_add_co_u32 v25, s1, v25, s8
	v_add_co_ci_u32_e64 v26, s1, s9, v26, s1
	s_or_b32 s29, vcc_lo, s29
	s_delay_alu instid0(SALU_CYCLE_1)
	s_and_not1_b32 exec_lo, exec_lo, s29
	s_cbranch_execz .LBB196_14
.LBB196_18:                             ;   Parent Loop BB196_15 Depth=1
                                        ; =>  This Loop Header: Depth=2
                                        ;       Child Loop BB196_22 Depth 3
                                        ;       Child Loop BB196_27 Depth 3
	;; [unrolled: 1-line block ×3, first 2 shown]
                                        ;         Child Loop BB196_36 Depth 4
                                        ;         Child Loop BB196_42 Depth 4
	s_and_saveexec_b32 s33, s0
	s_cbranch_execz .LBB196_17
; %bb.19:                               ;   in Loop: Header=BB196_18 Depth=2
	v_lshlrev_b64 v[27:28], 2, v[1:2]
	s_delay_alu instid0(VALU_DEP_1) | instskip(NEXT) | instid1(VALU_DEP_2)
	v_add_co_u32 v27, vcc_lo, s44, v27
	v_add_co_ci_u32_e32 v28, vcc_lo, s45, v28, vcc_lo
	s_and_not1_b32 vcc_lo, exec_lo, s24
	global_load_b32 v40, v[27:28], off
	v_cndmask_b32_e64 v27, 0, 1, s25
	s_delay_alu instid0(VALU_DEP_1)
	v_cmp_ne_u32_e64 s1, 1, v27
	s_cbranch_vccnz .LBB196_24
; %bb.20:                               ;   in Loop: Header=BB196_18 Depth=2
	v_mov_b32_e32 v27, 0
	v_mov_b32_e32 v28, 0
	s_delay_alu instid0(VALU_DEP_3)
	s_and_b32 vcc_lo, exec_lo, s1
	s_cbranch_vccnz .LBB196_23
; %bb.21:                               ;   in Loop: Header=BB196_18 Depth=2
	v_dual_mov_b32 v30, v18 :: v_dual_mov_b32 v29, v17
	v_dual_mov_b32 v32, v24 :: v_dual_mov_b32 v31, v23
	s_mov_b32 s1, s7
.LBB196_22:                             ;   Parent Loop BB196_15 Depth=1
                                        ;     Parent Loop BB196_18 Depth=2
                                        ; =>    This Inner Loop Header: Depth=3
	global_load_b64 v[41:42], v[29:30], off
	global_load_b64 v[43:44], v[31:32], off
	v_add_co_u32 v31, vcc_lo, v31, 8
	v_add_co_ci_u32_e32 v32, vcc_lo, 0, v32, vcc_lo
	v_add_co_u32 v29, vcc_lo, v29, s12
	v_add_co_ci_u32_e32 v30, vcc_lo, s13, v30, vcc_lo
	s_add_i32 s1, s1, -1
	s_delay_alu instid0(SALU_CYCLE_1)
	s_cmp_lg_u32 s1, 0
	s_waitcnt vmcnt(0)
	v_fma_f64 v[27:28], v[41:42], v[43:44], v[27:28]
	s_cbranch_scc1 .LBB196_22
.LBB196_23:                             ;   in Loop: Header=BB196_18 Depth=2
	s_cbranch_execz .LBB196_25
	s_branch .LBB196_28
.LBB196_24:                             ;   in Loop: Header=BB196_18 Depth=2
                                        ; implicit-def: $vgpr27_vgpr28
.LBB196_25:                             ;   in Loop: Header=BB196_18 Depth=2
	v_mov_b32_e32 v27, 0
	v_mov_b32_e32 v28, 0
	s_and_not1_b32 vcc_lo, exec_lo, s25
	s_cbranch_vccnz .LBB196_28
; %bb.26:                               ;   in Loop: Header=BB196_18 Depth=2
	v_dual_mov_b32 v30, v22 :: v_dual_mov_b32 v29, v21
	v_dual_mov_b32 v32, v26 :: v_dual_mov_b32 v31, v25
	s_mov_b32 s1, s7
.LBB196_27:                             ;   Parent Loop BB196_15 Depth=1
                                        ;     Parent Loop BB196_18 Depth=2
                                        ; =>    This Inner Loop Header: Depth=3
	global_load_b64 v[41:42], v[29:30], off
	global_load_b64 v[43:44], v[31:32], off
	v_add_co_u32 v31, vcc_lo, v31, s12
	v_add_co_ci_u32_e32 v32, vcc_lo, s13, v32, vcc_lo
	v_add_co_u32 v29, vcc_lo, v29, 8
	v_add_co_ci_u32_e32 v30, vcc_lo, 0, v30, vcc_lo
	s_add_i32 s1, s1, -1
	s_delay_alu instid0(SALU_CYCLE_1)
	s_cmp_eq_u32 s1, 0
	s_waitcnt vmcnt(0)
	v_fma_f64 v[27:28], v[41:42], v[43:44], v[27:28]
	s_cbranch_scc0 .LBB196_27
.LBB196_28:                             ;   in Loop: Header=BB196_18 Depth=2
	s_delay_alu instid0(VALU_DEP_1) | instskip(SKIP_3) | instid1(VALU_DEP_1)
	v_mul_f64 v[27:28], v[9:10], v[27:28]
	s_waitcnt vmcnt(0)
	v_subrev_nc_u32_e32 v31, s37, v40
	s_mov_b32 s1, 0
	v_lshl_add_u32 v29, v31, 3, v31
	s_delay_alu instid0(VALU_DEP_1)
	v_and_b32_e32 v32, 15, v29
	s_branch .LBB196_30
.LBB196_29:                             ;   in Loop: Header=BB196_30 Depth=3
	s_or_b32 exec_lo, exec_lo, s34
	s_xor_b32 s34, s35, -1
	s_delay_alu instid0(SALU_CYCLE_1) | instskip(NEXT) | instid1(SALU_CYCLE_1)
	s_and_b32 s34, exec_lo, s34
	s_or_b32 s1, s34, s1
	s_delay_alu instid0(SALU_CYCLE_1)
	s_and_not1_b32 exec_lo, exec_lo, s1
	s_cbranch_execz .LBB196_17
.LBB196_30:                             ;   Parent Loop BB196_15 Depth=1
                                        ;     Parent Loop BB196_18 Depth=2
                                        ; =>    This Loop Header: Depth=3
                                        ;         Child Loop BB196_36 Depth 4
                                        ;         Child Loop BB196_42 Depth 4
	s_delay_alu instid0(VALU_DEP_1)
	v_lshl_add_u32 v29, v32, 2, v33
	s_mov_b32 s34, exec_lo
                                        ; implicit-def: $sgpr35
	ds_load_b32 v30, v29
	s_waitcnt lgkmcnt(0)
	v_cmpx_ne_u32_e64 v30, v31
	s_xor_b32 s34, exec_lo, s34
	s_cbranch_execz .LBB196_40
; %bb.31:                               ;   in Loop: Header=BB196_30 Depth=3
	s_mov_b32 s46, exec_lo
                                        ; implicit-def: $sgpr35
	v_cmpx_ne_u32_e64 s6, v30
	s_xor_b32 s46, exec_lo, s46
; %bb.32:                               ;   in Loop: Header=BB196_30 Depth=3
	v_add_nc_u32_e32 v29, 1, v32
	s_mov_b32 s35, -1
	s_delay_alu instid0(VALU_DEP_1)
	v_and_b32_e32 v32, 15, v29
                                        ; implicit-def: $vgpr29
; %bb.33:                               ;   in Loop: Header=BB196_30 Depth=3
	s_and_not1_saveexec_b32 s46, s46
	s_cbranch_execz .LBB196_39
; %bb.34:                               ;   in Loop: Header=BB196_30 Depth=3
	v_mov_b32_e32 v30, s6
	s_mov_b32 s48, -1
	s_mov_b32 s47, exec_lo
	ds_cmpstore_rtn_b32 v29, v29, v31, v30
	s_waitcnt lgkmcnt(0)
	v_cmpx_eq_u32_e64 s6, v29
	s_cbranch_execz .LBB196_38
; %bb.35:                               ;   in Loop: Header=BB196_30 Depth=3
	v_lshlrev_b32_e32 v29, 3, v39
	s_mov_b32 s48, 0
	s_delay_alu instid0(VALU_DEP_1) | instskip(NEXT) | instid1(VALU_DEP_1)
	v_lshl_or_b32 v29, v32, 7, v29
	v_add_nc_u32_e32 v40, v35, v29
	ds_load_b64 v[29:30], v40
.LBB196_36:                             ;   Parent Loop BB196_15 Depth=1
                                        ;     Parent Loop BB196_18 Depth=2
                                        ;       Parent Loop BB196_30 Depth=3
                                        ; =>      This Inner Loop Header: Depth=4
	s_waitcnt lgkmcnt(0)
	v_add_f64 v[41:42], v[29:30], v[27:28]
	ds_cmpstore_rtn_b64 v[41:42], v40, v[41:42], v[29:30]
	s_waitcnt lgkmcnt(0)
	v_cmp_eq_u64_e32 vcc_lo, v[41:42], v[29:30]
	v_dual_mov_b32 v29, v41 :: v_dual_mov_b32 v30, v42
	s_or_b32 s48, vcc_lo, s48
	s_delay_alu instid0(SALU_CYCLE_1)
	s_and_not1_b32 exec_lo, exec_lo, s48
	s_cbranch_execnz .LBB196_36
; %bb.37:                               ;   in Loop: Header=BB196_30 Depth=3
	s_or_b32 exec_lo, exec_lo, s48
	s_delay_alu instid0(SALU_CYCLE_1)
	s_xor_b32 s48, exec_lo, -1
.LBB196_38:                             ;   in Loop: Header=BB196_30 Depth=3
	s_or_b32 exec_lo, exec_lo, s47
	s_delay_alu instid0(SALU_CYCLE_1) | instskip(SKIP_1) | instid1(SALU_CYCLE_1)
	s_and_not1_b32 s35, s35, exec_lo
	s_and_b32 s47, s48, exec_lo
	s_or_b32 s35, s35, s47
.LBB196_39:                             ;   in Loop: Header=BB196_30 Depth=3
	s_or_b32 exec_lo, exec_lo, s46
	s_delay_alu instid0(SALU_CYCLE_1)
	s_and_b32 s35, s35, exec_lo
.LBB196_40:                             ;   in Loop: Header=BB196_30 Depth=3
	s_and_not1_saveexec_b32 s34, s34
	s_cbranch_execz .LBB196_29
; %bb.41:                               ;   in Loop: Header=BB196_30 Depth=3
	v_lshlrev_b32_e32 v29, 3, v39
	s_mov_b32 s46, 0
	s_delay_alu instid0(VALU_DEP_1) | instskip(NEXT) | instid1(VALU_DEP_1)
	v_lshl_or_b32 v29, v32, 7, v29
	v_add_nc_u32_e32 v40, v35, v29
	ds_load_b64 v[29:30], v40
.LBB196_42:                             ;   Parent Loop BB196_15 Depth=1
                                        ;     Parent Loop BB196_18 Depth=2
                                        ;       Parent Loop BB196_30 Depth=3
                                        ; =>      This Inner Loop Header: Depth=4
	s_waitcnt lgkmcnt(0)
	v_add_f64 v[41:42], v[29:30], v[27:28]
	ds_cmpstore_rtn_b64 v[41:42], v40, v[41:42], v[29:30]
	s_waitcnt lgkmcnt(0)
	v_cmp_eq_u64_e32 vcc_lo, v[41:42], v[29:30]
	v_dual_mov_b32 v29, v41 :: v_dual_mov_b32 v30, v42
	s_or_b32 s46, vcc_lo, s46
	s_delay_alu instid0(SALU_CYCLE_1)
	s_and_not1_b32 exec_lo, exec_lo, s46
	s_cbranch_execnz .LBB196_42
; %bb.43:                               ;   in Loop: Header=BB196_30 Depth=3
	s_or_b32 exec_lo, exec_lo, s46
	s_delay_alu instid0(SALU_CYCLE_1)
	s_and_not1_b32 s35, s35, exec_lo
	s_branch .LBB196_29
.LBB196_44:
	s_or_b32 exec_lo, exec_lo, s5
.LBB196_45:
	s_delay_alu instid0(SALU_CYCLE_1)
	s_and_not1_b32 vcc_lo, exec_lo, s14
	s_barrier
	buffer_gl0_inv
	s_cbranch_vccnz .LBB196_67
; %bb.46:
	v_add_co_u32 v1, vcc_lo, s16, v7
	v_add_co_ci_u32_e32 v2, vcc_lo, s17, v8, vcc_lo
	v_sub_co_u32 v3, s0, v36, s39
	s_delay_alu instid0(VALU_DEP_1)
	v_sub_co_ci_u32_e64 v4, null, 0, 0, s0
	global_load_b128 v[9:12], v[1:2], off
	s_mov_b32 s3, 0
	s_mov_b32 s1, exec_lo
	s_waitcnt vmcnt(0)
	v_sub_co_u32 v1, vcc_lo, v11, s39
	v_subrev_co_ci_u32_e32 v2, vcc_lo, 0, v12, vcc_lo
	v_add_co_u32 v3, vcc_lo, v9, v3
	v_add_co_ci_u32_e32 v4, vcc_lo, v10, v4, vcc_lo
	s_delay_alu instid0(VALU_DEP_1)
	v_cmpx_lt_i64_e64 v[3:4], v[1:2]
	s_cbranch_execz .LBB196_66
; %bb.47:
	v_mul_lo_u32 v9, v37, s7
	v_dual_mov_b32 v10, 0 :: v_dual_lshlrev_b32 v15, 3, v37
	v_lshlrev_b32_e32 v14, 3, v38
	v_max_i32_e32 v13, v37, v38
	s_cmp_eq_u32 s4, 0
	s_cselect_b32 s0, -1, 0
	s_delay_alu instid0(VALU_DEP_4) | instskip(SKIP_1) | instid1(VALU_DEP_2)
	v_lshlrev_b64 v[11:12], 3, v[9:10]
	v_mul_lo_u32 v9, v38, s7
	v_add_co_u32 v11, vcc_lo, s20, v11
	s_delay_alu instid0(VALU_DEP_3) | instskip(NEXT) | instid1(VALU_DEP_3)
	v_add_co_ci_u32_e32 v12, vcc_lo, s21, v12, vcc_lo
	v_lshlrev_b64 v[9:10], 3, v[9:10]
	s_delay_alu instid0(VALU_DEP_1) | instskip(NEXT) | instid1(VALU_DEP_2)
	v_add_co_u32 v9, vcc_lo, s20, v9
	v_add_co_ci_u32_e32 v10, vcc_lo, s21, v10, vcc_lo
	v_add_co_u32 v11, vcc_lo, v11, v14
	v_add_co_ci_u32_e32 v12, vcc_lo, 0, v12, vcc_lo
	s_delay_alu instid0(VALU_DEP_4) | instskip(NEXT) | instid1(VALU_DEP_4)
	v_add_co_u32 v9, vcc_lo, v9, v15
	v_add_co_ci_u32_e32 v10, vcc_lo, 0, v10, vcc_lo
	v_and_b32_e32 v14, 15, v0
	v_cmp_gt_i32_e32 vcc_lo, s7, v13
	s_delay_alu instid0(VALU_DEP_4) | instskip(NEXT) | instid1(VALU_DEP_4)
	v_cndmask_b32_e64 v13, v11, v9, s0
	v_cndmask_b32_e64 v0, v12, v10, s0
	s_delay_alu instid0(VALU_DEP_4)
	v_lshlrev_b32_e32 v14, 3, v14
	s_branch .LBB196_49
.LBB196_48:                             ;   in Loop: Header=BB196_49 Depth=1
	s_or_b32 exec_lo, exec_lo, s5
	v_add_co_u32 v3, s0, v3, 4
	s_delay_alu instid0(VALU_DEP_1) | instskip(NEXT) | instid1(VALU_DEP_1)
	v_add_co_ci_u32_e64 v4, s0, 0, v4, s0
	v_cmp_ge_i64_e64 s0, v[3:4], v[1:2]
	s_delay_alu instid0(VALU_DEP_1) | instskip(NEXT) | instid1(SALU_CYCLE_1)
	s_or_b32 s3, s0, s3
	s_and_not1_b32 exec_lo, exec_lo, s3
	s_cbranch_execz .LBB196_66
.LBB196_49:                             ; =>This Loop Header: Depth=1
                                        ;     Child Loop BB196_52 Depth 2
                                        ;       Child Loop BB196_58 Depth 3
                                        ;       Child Loop BB196_64 Depth 3
	s_and_saveexec_b32 s5, vcc_lo
	s_cbranch_execz .LBB196_48
; %bb.50:                               ;   in Loop: Header=BB196_49 Depth=1
	v_mad_u64_u32 v[9:10], null, v3, s2, 0
	s_mov_b32 s8, 0
	s_delay_alu instid0(VALU_DEP_1) | instskip(NEXT) | instid1(VALU_DEP_1)
	v_mad_u64_u32 v[11:12], null, v4, s2, v[10:11]
	v_mov_b32_e32 v10, v11
	v_lshlrev_b64 v[11:12], 2, v[3:4]
	s_delay_alu instid0(VALU_DEP_2) | instskip(NEXT) | instid1(VALU_DEP_1)
	v_lshlrev_b64 v[9:10], 3, v[9:10]
	v_add_co_u32 v9, s0, v13, v9
	s_delay_alu instid0(VALU_DEP_1) | instskip(NEXT) | instid1(VALU_DEP_4)
	v_add_co_ci_u32_e64 v10, s0, v0, v10, s0
	v_add_co_u32 v11, s0, s18, v11
	s_delay_alu instid0(VALU_DEP_1)
	v_add_co_ci_u32_e64 v12, s0, s19, v12, s0
	global_load_b64 v[9:10], v[9:10], off
	global_load_b32 v11, v[11:12], off
	s_waitcnt vmcnt(1)
	v_mul_f64 v[9:10], v[5:6], v[9:10]
	s_waitcnt vmcnt(0)
	v_subrev_nc_u32_e32 v15, s39, v11
	s_delay_alu instid0(VALU_DEP_1) | instskip(NEXT) | instid1(VALU_DEP_1)
	v_lshl_add_u32 v11, v15, 3, v15
	v_and_b32_e32 v16, 15, v11
	s_branch .LBB196_52
.LBB196_51:                             ;   in Loop: Header=BB196_52 Depth=2
	s_or_b32 exec_lo, exec_lo, s9
	s_xor_b32 s0, s10, -1
	s_delay_alu instid0(SALU_CYCLE_1) | instskip(NEXT) | instid1(SALU_CYCLE_1)
	s_and_b32 s0, exec_lo, s0
	s_or_b32 s8, s0, s8
	s_delay_alu instid0(SALU_CYCLE_1)
	s_and_not1_b32 exec_lo, exec_lo, s8
	s_cbranch_execz .LBB196_48
.LBB196_52:                             ;   Parent Loop BB196_49 Depth=1
                                        ; =>  This Loop Header: Depth=2
                                        ;       Child Loop BB196_58 Depth 3
                                        ;       Child Loop BB196_64 Depth 3
	s_delay_alu instid0(VALU_DEP_1)
	v_lshl_add_u32 v11, v16, 2, v33
	s_mov_b32 s9, exec_lo
                                        ; implicit-def: $sgpr10
	ds_load_b32 v12, v11
	s_waitcnt lgkmcnt(0)
	v_cmpx_ne_u32_e64 v12, v15
	s_xor_b32 s9, exec_lo, s9
	s_cbranch_execz .LBB196_62
; %bb.53:                               ;   in Loop: Header=BB196_52 Depth=2
	v_cmp_ne_u32_e64 s0, s6, v12
                                        ; implicit-def: $sgpr10
	s_delay_alu instid0(VALU_DEP_1) | instskip(NEXT) | instid1(SALU_CYCLE_1)
	s_and_saveexec_b32 s11, s0
	s_xor_b32 s0, exec_lo, s11
; %bb.54:                               ;   in Loop: Header=BB196_52 Depth=2
	v_add_nc_u32_e32 v11, 1, v16
	s_mov_b32 s10, -1
	s_delay_alu instid0(VALU_DEP_1)
	v_and_b32_e32 v16, 15, v11
                                        ; implicit-def: $vgpr11
; %bb.55:                               ;   in Loop: Header=BB196_52 Depth=2
	s_and_not1_saveexec_b32 s11, s0
	s_cbranch_execz .LBB196_61
; %bb.56:                               ;   in Loop: Header=BB196_52 Depth=2
	v_mov_b32_e32 v12, s6
	s_mov_b32 s13, -1
	s_mov_b32 s12, exec_lo
	ds_cmpstore_rtn_b32 v11, v11, v15, v12
	s_waitcnt lgkmcnt(0)
	v_cmpx_eq_u32_e64 s6, v11
	s_cbranch_execz .LBB196_60
; %bb.57:                               ;   in Loop: Header=BB196_52 Depth=2
	v_lshl_or_b32 v11, v16, 7, v14
	s_mov_b32 s13, 0
	s_delay_alu instid0(VALU_DEP_1)
	v_add_nc_u32_e32 v17, v35, v11
	ds_load_b64 v[11:12], v17
.LBB196_58:                             ;   Parent Loop BB196_49 Depth=1
                                        ;     Parent Loop BB196_52 Depth=2
                                        ; =>    This Inner Loop Header: Depth=3
	s_waitcnt lgkmcnt(0)
	v_add_f64 v[18:19], v[11:12], v[9:10]
	ds_cmpstore_rtn_b64 v[18:19], v17, v[18:19], v[11:12]
	s_waitcnt lgkmcnt(0)
	v_cmp_eq_u64_e64 s0, v[18:19], v[11:12]
	v_dual_mov_b32 v11, v18 :: v_dual_mov_b32 v12, v19
	s_delay_alu instid0(VALU_DEP_2) | instskip(NEXT) | instid1(SALU_CYCLE_1)
	s_or_b32 s13, s0, s13
	s_and_not1_b32 exec_lo, exec_lo, s13
	s_cbranch_execnz .LBB196_58
; %bb.59:                               ;   in Loop: Header=BB196_52 Depth=2
	s_or_b32 exec_lo, exec_lo, s13
	s_delay_alu instid0(SALU_CYCLE_1)
	s_xor_b32 s13, exec_lo, -1
.LBB196_60:                             ;   in Loop: Header=BB196_52 Depth=2
	s_or_b32 exec_lo, exec_lo, s12
	s_delay_alu instid0(SALU_CYCLE_1) | instskip(SKIP_1) | instid1(SALU_CYCLE_1)
	s_and_not1_b32 s0, s10, exec_lo
	s_and_b32 s10, s13, exec_lo
	s_or_b32 s10, s0, s10
.LBB196_61:                             ;   in Loop: Header=BB196_52 Depth=2
	s_or_b32 exec_lo, exec_lo, s11
	s_delay_alu instid0(SALU_CYCLE_1)
	s_and_b32 s10, s10, exec_lo
.LBB196_62:                             ;   in Loop: Header=BB196_52 Depth=2
	s_and_not1_saveexec_b32 s9, s9
	s_cbranch_execz .LBB196_51
; %bb.63:                               ;   in Loop: Header=BB196_52 Depth=2
	v_lshl_or_b32 v11, v16, 7, v14
	s_mov_b32 s11, 0
	s_delay_alu instid0(VALU_DEP_1)
	v_add_nc_u32_e32 v17, v35, v11
	ds_load_b64 v[11:12], v17
.LBB196_64:                             ;   Parent Loop BB196_49 Depth=1
                                        ;     Parent Loop BB196_52 Depth=2
                                        ; =>    This Inner Loop Header: Depth=3
	s_waitcnt lgkmcnt(0)
	v_add_f64 v[18:19], v[11:12], v[9:10]
	ds_cmpstore_rtn_b64 v[18:19], v17, v[18:19], v[11:12]
	s_waitcnt lgkmcnt(0)
	v_cmp_eq_u64_e64 s0, v[18:19], v[11:12]
	v_dual_mov_b32 v11, v18 :: v_dual_mov_b32 v12, v19
	s_delay_alu instid0(VALU_DEP_2) | instskip(NEXT) | instid1(SALU_CYCLE_1)
	s_or_b32 s11, s0, s11
	s_and_not1_b32 exec_lo, exec_lo, s11
	s_cbranch_execnz .LBB196_64
; %bb.65:                               ;   in Loop: Header=BB196_52 Depth=2
	s_or_b32 exec_lo, exec_lo, s11
	s_delay_alu instid0(SALU_CYCLE_1)
	s_and_not1_b32 s10, s10, exec_lo
	s_branch .LBB196_51
.LBB196_66:
	s_or_b32 exec_lo, exec_lo, s1
.LBB196_67:
	v_add_co_u32 v0, vcc_lo, s22, v7
	v_add_co_ci_u32_e32 v1, vcc_lo, s23, v8, vcc_lo
	s_barrier
	buffer_gl0_inv
	global_load_b64 v[0:1], v[0:1], off
	s_cmp_eq_u32 s4, 0
	v_mul_lo_u32 v3, v38, s7
	s_cselect_b32 vcc_lo, -1, 0
	v_dual_mov_b32 v4, 0 :: v_dual_lshlrev_b32 v9, 6, v34
	v_dual_cndmask_b32 v5, v37, v38 :: v_dual_cndmask_b32 v6, v38, v37
	v_lshlrev_b32_e32 v8, 3, v37
	v_max_i32_e32 v7, v37, v38
	s_delay_alu instid0(VALU_DEP_4)
	v_lshlrev_b64 v[3:4], 3, v[3:4]
	v_lshlrev_b32_e32 v10, 2, v36
	v_lshlrev_b32_e32 v6, 3, v6
	v_or_b32_e32 v2, -4, v36
	v_cmp_gt_i32_e32 vcc_lo, s7, v7
	s_mov_b32 s1, 0
	v_add_co_u32 v3, s0, s42, v3
	v_lshl_or_b32 v6, v36, 7, v6
	v_add_co_ci_u32_e64 v4, s0, s43, v4, s0
	s_delay_alu instid0(VALU_DEP_3) | instskip(NEXT) | instid1(VALU_DEP_3)
	v_add_co_u32 v3, s0, v3, v8
	v_lshl_or_b32 v5, v5, 5, v6
	s_delay_alu instid0(VALU_DEP_3) | instskip(SKIP_1) | instid1(VALU_DEP_3)
	v_add_co_ci_u32_e64 v4, s0, 0, v4, s0
	v_or3_b32 v8, v9, v10, 0x2000
	v_add_nc_u32_e32 v5, v35, v5
	s_waitcnt vmcnt(0)
	v_sub_co_u32 v6, s0, v0, s38
	s_delay_alu instid0(VALU_DEP_1)
	v_subrev_co_ci_u32_e64 v7, s0, 0, v1, s0
	s_branch .LBB196_69
.LBB196_68:                             ;   in Loop: Header=BB196_69 Depth=1
	s_or_b32 exec_lo, exec_lo, s3
	v_add_nc_u32_e32 v2, 4, v2
	v_add_nc_u32_e32 v5, 0x200, v5
	;; [unrolled: 1-line block ×3, first 2 shown]
	s_delay_alu instid0(VALU_DEP_3) | instskip(NEXT) | instid1(VALU_DEP_1)
	v_cmp_lt_u32_e64 s0, 11, v2
	s_or_b32 s1, s0, s1
	s_delay_alu instid0(SALU_CYCLE_1)
	s_and_not1_b32 exec_lo, exec_lo, s1
	s_cbranch_execz .LBB196_72
.LBB196_69:                             ; =>This Inner Loop Header: Depth=1
	ds_load_b32 v9, v8
	s_mov_b32 s3, exec_lo
	s_waitcnt lgkmcnt(0)
	v_cmpx_gt_i32_e64 s6, v9
	s_cbranch_execz .LBB196_68
; %bb.70:                               ;   in Loop: Header=BB196_69 Depth=1
	ds_load_b128 v[10:13], v33
	ds_load_b128 v[14:17], v33 offset:16
	ds_load_b128 v[18:21], v33 offset:32
	;; [unrolled: 1-line block ×3, first 2 shown]
	s_waitcnt lgkmcnt(3)
	v_cmp_gt_i32_e64 s0, v9, v10
	s_delay_alu instid0(VALU_DEP_1) | instskip(SKIP_1) | instid1(VALU_DEP_1)
	v_cndmask_b32_e64 v0, 0, 1, s0
	v_cmp_gt_i32_e64 s0, v9, v11
	v_cndmask_b32_e64 v1, 0, 1, s0
	s_delay_alu instid0(VALU_DEP_3) | instskip(NEXT) | instid1(VALU_DEP_1)
	v_add_co_u32 v0, s0, v6, v0
	v_add_co_ci_u32_e64 v10, s0, 0, v7, s0
	v_cmp_gt_i32_e64 s0, v9, v12
	v_add_nc_u32_e32 v12, s38, v9
	s_delay_alu instid0(VALU_DEP_2) | instskip(SKIP_1) | instid1(VALU_DEP_1)
	v_cndmask_b32_e64 v11, 0, 1, s0
	v_add_co_u32 v0, s0, v0, v1
	v_add_co_ci_u32_e64 v1, s0, 0, v10, s0
	v_cmp_gt_i32_e64 s0, v9, v13
	s_delay_alu instid0(VALU_DEP_1) | instskip(NEXT) | instid1(VALU_DEP_4)
	v_cndmask_b32_e64 v10, 0, 1, s0
	v_add_co_u32 v0, s0, v0, v11
	s_delay_alu instid0(VALU_DEP_1) | instskip(SKIP_2) | instid1(VALU_DEP_1)
	v_add_co_ci_u32_e64 v1, s0, 0, v1, s0
	s_waitcnt lgkmcnt(2)
	v_cmp_gt_i32_e64 s0, v9, v14
	v_cndmask_b32_e64 v11, 0, 1, s0
	v_add_co_u32 v0, s0, v0, v10
	s_delay_alu instid0(VALU_DEP_1) | instskip(SKIP_1) | instid1(VALU_DEP_1)
	v_add_co_ci_u32_e64 v1, s0, 0, v1, s0
	v_cmp_gt_i32_e64 s0, v9, v15
	v_cndmask_b32_e64 v10, 0, 1, s0
	s_delay_alu instid0(VALU_DEP_4) | instskip(NEXT) | instid1(VALU_DEP_1)
	v_add_co_u32 v0, s0, v0, v11
	v_add_co_ci_u32_e64 v1, s0, 0, v1, s0
	v_cmp_gt_i32_e64 s0, v9, v16
	s_delay_alu instid0(VALU_DEP_1) | instskip(NEXT) | instid1(VALU_DEP_4)
	v_cndmask_b32_e64 v11, 0, 1, s0
	v_add_co_u32 v0, s0, v0, v10
	s_delay_alu instid0(VALU_DEP_1) | instskip(SKIP_1) | instid1(VALU_DEP_1)
	v_add_co_ci_u32_e64 v1, s0, 0, v1, s0
	v_cmp_gt_i32_e64 s0, v9, v17
	v_cndmask_b32_e64 v10, 0, 1, s0
	s_delay_alu instid0(VALU_DEP_4) | instskip(NEXT) | instid1(VALU_DEP_1)
	v_add_co_u32 v0, s0, v0, v11
	v_add_co_ci_u32_e64 v1, s0, 0, v1, s0
	s_waitcnt lgkmcnt(1)
	v_cmp_gt_i32_e64 s0, v9, v18
	s_delay_alu instid0(VALU_DEP_1) | instskip(SKIP_1) | instid1(VALU_DEP_1)
	v_cndmask_b32_e64 v11, 0, 1, s0
	v_add_co_u32 v0, s0, v0, v10
	v_add_co_ci_u32_e64 v1, s0, 0, v1, s0
	v_cmp_gt_i32_e64 s0, v9, v19
	s_delay_alu instid0(VALU_DEP_1) | instskip(NEXT) | instid1(VALU_DEP_4)
	v_cndmask_b32_e64 v10, 0, 1, s0
	v_add_co_u32 v0, s0, v0, v11
	s_delay_alu instid0(VALU_DEP_1) | instskip(SKIP_1) | instid1(VALU_DEP_1)
	v_add_co_ci_u32_e64 v1, s0, 0, v1, s0
	v_cmp_gt_i32_e64 s0, v9, v20
	v_cndmask_b32_e64 v11, 0, 1, s0
	s_delay_alu instid0(VALU_DEP_4) | instskip(NEXT) | instid1(VALU_DEP_1)
	v_add_co_u32 v0, s0, v0, v10
	v_add_co_ci_u32_e64 v1, s0, 0, v1, s0
	v_cmp_gt_i32_e64 s0, v9, v21
	s_delay_alu instid0(VALU_DEP_1) | instskip(NEXT) | instid1(VALU_DEP_4)
	v_cndmask_b32_e64 v10, 0, 1, s0
	v_add_co_u32 v0, s0, v0, v11
	s_delay_alu instid0(VALU_DEP_1) | instskip(SKIP_2) | instid1(VALU_DEP_1)
	v_add_co_ci_u32_e64 v1, s0, 0, v1, s0
	s_waitcnt lgkmcnt(0)
	v_cmp_gt_i32_e64 s0, v9, v22
	v_cndmask_b32_e64 v11, 0, 1, s0
	v_add_co_u32 v0, s0, v0, v10
	s_delay_alu instid0(VALU_DEP_1) | instskip(SKIP_1) | instid1(VALU_DEP_1)
	v_add_co_ci_u32_e64 v1, s0, 0, v1, s0
	v_cmp_gt_i32_e64 s0, v9, v23
	v_cndmask_b32_e64 v10, 0, 1, s0
	s_delay_alu instid0(VALU_DEP_4) | instskip(NEXT) | instid1(VALU_DEP_1)
	v_add_co_u32 v0, s0, v0, v11
	v_add_co_ci_u32_e64 v1, s0, 0, v1, s0
	v_cmp_gt_i32_e64 s0, v9, v24
	s_delay_alu instid0(VALU_DEP_1) | instskip(NEXT) | instid1(VALU_DEP_4)
	v_cndmask_b32_e64 v11, 0, 1, s0
	v_add_co_u32 v0, s0, v0, v10
	s_delay_alu instid0(VALU_DEP_1) | instskip(SKIP_1) | instid1(VALU_DEP_1)
	v_add_co_ci_u32_e64 v1, s0, 0, v1, s0
	v_cmp_gt_i32_e64 s0, v9, v25
	v_cndmask_b32_e64 v10, 0, 1, s0
	s_delay_alu instid0(VALU_DEP_4) | instskip(NEXT) | instid1(VALU_DEP_1)
	v_add_co_u32 v0, s0, v0, v11
	v_add_co_ci_u32_e64 v1, s0, 0, v1, s0
	s_delay_alu instid0(VALU_DEP_2) | instskip(NEXT) | instid1(VALU_DEP_1)
	v_add_co_u32 v0, s0, v0, v10
	v_add_co_ci_u32_e64 v1, s0, 0, v1, s0
	s_delay_alu instid0(VALU_DEP_1) | instskip(NEXT) | instid1(VALU_DEP_1)
	v_lshlrev_b64 v[10:11], 2, v[0:1]
	v_add_co_u32 v9, s0, s40, v10
	s_delay_alu instid0(VALU_DEP_1)
	v_add_co_ci_u32_e64 v10, s0, s41, v11, s0
	global_store_b32 v[9:10], v12, off
	s_and_b32 exec_lo, exec_lo, vcc_lo
	s_cbranch_execz .LBB196_68
; %bb.71:                               ;   in Loop: Header=BB196_69 Depth=1
	v_mad_u64_u32 v[9:10], null, v0, s2, 0
	s_delay_alu instid0(VALU_DEP_1) | instskip(NEXT) | instid1(VALU_DEP_1)
	v_mov_b32_e32 v0, v10
	v_mad_u64_u32 v[10:11], null, v1, s2, v[0:1]
	ds_load_b64 v[0:1], v5
	v_lshlrev_b64 v[9:10], 3, v[9:10]
	s_delay_alu instid0(VALU_DEP_1) | instskip(NEXT) | instid1(VALU_DEP_1)
	v_add_co_u32 v9, s0, v3, v9
	v_add_co_ci_u32_e64 v10, s0, v4, v10, s0
	s_waitcnt lgkmcnt(0)
	global_store_b64 v[9:10], v[0:1], off
	s_branch .LBB196_68
.LBB196_72:
	s_nop 0
	s_sendmsg sendmsg(MSG_DEALLOC_VGPRS)
	s_endpgm
	.section	.rodata,"a",@progbits
	.p2align	6, 0x0
	.amdhsa_kernel _ZN9rocsparseL23bsrgemm_fill_wf_per_rowILj256ELj64ELj16ELj137ELj4ElidEEv20rocsparse_direction_T5_S2_S2_PKS2_S4_NS_24const_host_device_scalarIT6_EEPKT4_S4_PKS6_SA_S4_SC_S7_SA_S4_SC_SA_PS2_PS6_21rocsparse_index_base_SF_SF_SF_bbb
		.amdhsa_group_segment_fixed_size 8448
		.amdhsa_private_segment_fixed_size 0
		.amdhsa_kernarg_size 164
		.amdhsa_user_sgpr_count 15
		.amdhsa_user_sgpr_dispatch_ptr 0
		.amdhsa_user_sgpr_queue_ptr 0
		.amdhsa_user_sgpr_kernarg_segment_ptr 1
		.amdhsa_user_sgpr_dispatch_id 0
		.amdhsa_user_sgpr_private_segment_size 0
		.amdhsa_wavefront_size32 1
		.amdhsa_uses_dynamic_stack 0
		.amdhsa_enable_private_segment 0
		.amdhsa_system_sgpr_workgroup_id_x 1
		.amdhsa_system_sgpr_workgroup_id_y 0
		.amdhsa_system_sgpr_workgroup_id_z 0
		.amdhsa_system_sgpr_workgroup_info 0
		.amdhsa_system_vgpr_workitem_id 0
		.amdhsa_next_free_vgpr 45
		.amdhsa_next_free_sgpr 49
		.amdhsa_reserve_vcc 1
		.amdhsa_float_round_mode_32 0
		.amdhsa_float_round_mode_16_64 0
		.amdhsa_float_denorm_mode_32 3
		.amdhsa_float_denorm_mode_16_64 3
		.amdhsa_dx10_clamp 1
		.amdhsa_ieee_mode 1
		.amdhsa_fp16_overflow 0
		.amdhsa_workgroup_processor_mode 1
		.amdhsa_memory_ordered 1
		.amdhsa_forward_progress 0
		.amdhsa_shared_vgpr_count 0
		.amdhsa_exception_fp_ieee_invalid_op 0
		.amdhsa_exception_fp_denorm_src 0
		.amdhsa_exception_fp_ieee_div_zero 0
		.amdhsa_exception_fp_ieee_overflow 0
		.amdhsa_exception_fp_ieee_underflow 0
		.amdhsa_exception_fp_ieee_inexact 0
		.amdhsa_exception_int_div_zero 0
	.end_amdhsa_kernel
	.section	.text._ZN9rocsparseL23bsrgemm_fill_wf_per_rowILj256ELj64ELj16ELj137ELj4ElidEEv20rocsparse_direction_T5_S2_S2_PKS2_S4_NS_24const_host_device_scalarIT6_EEPKT4_S4_PKS6_SA_S4_SC_S7_SA_S4_SC_SA_PS2_PS6_21rocsparse_index_base_SF_SF_SF_bbb,"axG",@progbits,_ZN9rocsparseL23bsrgemm_fill_wf_per_rowILj256ELj64ELj16ELj137ELj4ElidEEv20rocsparse_direction_T5_S2_S2_PKS2_S4_NS_24const_host_device_scalarIT6_EEPKT4_S4_PKS6_SA_S4_SC_S7_SA_S4_SC_SA_PS2_PS6_21rocsparse_index_base_SF_SF_SF_bbb,comdat
.Lfunc_end196:
	.size	_ZN9rocsparseL23bsrgemm_fill_wf_per_rowILj256ELj64ELj16ELj137ELj4ElidEEv20rocsparse_direction_T5_S2_S2_PKS2_S4_NS_24const_host_device_scalarIT6_EEPKT4_S4_PKS6_SA_S4_SC_S7_SA_S4_SC_SA_PS2_PS6_21rocsparse_index_base_SF_SF_SF_bbb, .Lfunc_end196-_ZN9rocsparseL23bsrgemm_fill_wf_per_rowILj256ELj64ELj16ELj137ELj4ElidEEv20rocsparse_direction_T5_S2_S2_PKS2_S4_NS_24const_host_device_scalarIT6_EEPKT4_S4_PKS6_SA_S4_SC_S7_SA_S4_SC_SA_PS2_PS6_21rocsparse_index_base_SF_SF_SF_bbb
                                        ; -- End function
	.section	.AMDGPU.csdata,"",@progbits
; Kernel info:
; codeLenInByte = 3844
; NumSgprs: 51
; NumVgprs: 45
; ScratchSize: 0
; MemoryBound: 0
; FloatMode: 240
; IeeeMode: 1
; LDSByteSize: 8448 bytes/workgroup (compile time only)
; SGPRBlocks: 6
; VGPRBlocks: 5
; NumSGPRsForWavesPerEU: 51
; NumVGPRsForWavesPerEU: 45
; Occupancy: 16
; WaveLimiterHint : 1
; COMPUTE_PGM_RSRC2:SCRATCH_EN: 0
; COMPUTE_PGM_RSRC2:USER_SGPR: 15
; COMPUTE_PGM_RSRC2:TRAP_HANDLER: 0
; COMPUTE_PGM_RSRC2:TGID_X_EN: 1
; COMPUTE_PGM_RSRC2:TGID_Y_EN: 0
; COMPUTE_PGM_RSRC2:TGID_Z_EN: 0
; COMPUTE_PGM_RSRC2:TIDIG_COMP_CNT: 0
	.section	.text._ZN9rocsparseL38bsrgemm_block_per_row_atomic_multipassILj256ELj32ELj4ElidEEv20rocsparse_direction_T3_S2_PKS2_S4_NS_24const_host_device_scalarIT4_EEPKT2_S4_PKS6_SA_S4_SC_S7_SA_S4_SC_SA_PS2_PS6_PS8_21rocsparse_index_base_SG_SG_SG_bbb,"axG",@progbits,_ZN9rocsparseL38bsrgemm_block_per_row_atomic_multipassILj256ELj32ELj4ElidEEv20rocsparse_direction_T3_S2_PKS2_S4_NS_24const_host_device_scalarIT4_EEPKT2_S4_PKS6_SA_S4_SC_S7_SA_S4_SC_SA_PS2_PS6_PS8_21rocsparse_index_base_SG_SG_SG_bbb,comdat
	.globl	_ZN9rocsparseL38bsrgemm_block_per_row_atomic_multipassILj256ELj32ELj4ElidEEv20rocsparse_direction_T3_S2_PKS2_S4_NS_24const_host_device_scalarIT4_EEPKT2_S4_PKS6_SA_S4_SC_S7_SA_S4_SC_SA_PS2_PS6_PS8_21rocsparse_index_base_SG_SG_SG_bbb ; -- Begin function _ZN9rocsparseL38bsrgemm_block_per_row_atomic_multipassILj256ELj32ELj4ElidEEv20rocsparse_direction_T3_S2_PKS2_S4_NS_24const_host_device_scalarIT4_EEPKT2_S4_PKS6_SA_S4_SC_S7_SA_S4_SC_SA_PS2_PS6_PS8_21rocsparse_index_base_SG_SG_SG_bbb
	.p2align	8
	.type	_ZN9rocsparseL38bsrgemm_block_per_row_atomic_multipassILj256ELj32ELj4ElidEEv20rocsparse_direction_T3_S2_PKS2_S4_NS_24const_host_device_scalarIT4_EEPKT2_S4_PKS6_SA_S4_SC_S7_SA_S4_SC_SA_PS2_PS6_PS8_21rocsparse_index_base_SG_SG_SG_bbb,@function
_ZN9rocsparseL38bsrgemm_block_per_row_atomic_multipassILj256ELj32ELj4ElidEEv20rocsparse_direction_T3_S2_PKS2_S4_NS_24const_host_device_scalarIT4_EEPKT2_S4_PKS6_SA_S4_SC_S7_SA_S4_SC_SA_PS2_PS6_PS8_21rocsparse_index_base_SG_SG_SG_bbb: ; @_ZN9rocsparseL38bsrgemm_block_per_row_atomic_multipassILj256ELj32ELj4ElidEEv20rocsparse_direction_T3_S2_PKS2_S4_NS_24const_host_device_scalarIT4_EEPKT2_S4_PKS6_SA_S4_SC_S7_SA_S4_SC_SA_PS2_PS6_PS8_21rocsparse_index_base_SG_SG_SG_bbb
; %bb.0:
	s_clause 0x3
	s_load_b32 s5, s[0:1], 0xa8
	s_load_b64 s[6:7], s[0:1], 0x20
	s_load_b128 s[28:31], s[0:1], 0x98
	s_load_b64 s[2:3], s[0:1], 0x58
	s_mov_b32 s4, s15
	s_waitcnt lgkmcnt(0)
	s_and_b32 s8, 1, s5
	s_bitcmp1_b32 s5, 16
	s_cselect_b32 s9, -1, 0
	s_cmp_eq_u32 s8, 1
	s_cselect_b32 s8, -1, 0
	s_delay_alu instid0(SALU_CYCLE_1)
	s_and_b32 s10, s8, exec_lo
	s_cselect_b32 s11, s7, 0
	s_cselect_b32 s10, s6, 0
	s_xor_b32 s12, s8, -1
	v_dual_mov_b32 v1, s10 :: v_dual_mov_b32 v2, s11
	s_or_b32 s12, s12, s9
	s_delay_alu instid0(SALU_CYCLE_1)
	s_and_b32 vcc_lo, exec_lo, s12
	s_cbranch_vccnz .LBB197_2
; %bb.1:
	v_dual_mov_b32 v1, s6 :: v_dual_mov_b32 v2, s7
	flat_load_b64 v[1:2], v[1:2]
.LBB197_2:
	s_load_b64 s[6:7], s[0:1], 0x18
	s_bitcmp1_b32 s5, 8
	s_cselect_b32 s33, -1, 0
	s_delay_alu instid0(SALU_CYCLE_1)
	s_and_b32 s5, s33, exec_lo
	s_cselect_b32 s11, s3, 0
	s_cselect_b32 s10, s2, 0
	s_xor_b32 s5, s33, -1
	v_dual_mov_b32 v3, s10 :: v_dual_mov_b32 v4, s11
	s_or_b32 s5, s5, s9
	s_delay_alu instid0(SALU_CYCLE_1)
	s_and_b32 vcc_lo, exec_lo, s5
	s_cbranch_vccnz .LBB197_4
; %bb.3:
	v_dual_mov_b32 v4, s3 :: v_dual_mov_b32 v3, s2
	flat_load_b64 v[3:4], v[3:4]
.LBB197_4:
	s_load_b64 s[2:3], s[0:1], 0x28
	s_waitcnt lgkmcnt(0)
	s_cmp_eq_u64 s[6:7], 0
	s_mov_b64 s[34:35], 0
	s_cbranch_scc1 .LBB197_6
; %bb.5:
	s_load_b64 s[10:11], s[0:1], 0x10
	s_waitcnt lgkmcnt(0)
	s_load_b32 s5, s[10:11], 0x0
	s_waitcnt lgkmcnt(0)
	s_add_i32 s4, s5, s4
	s_mov_b32 s5, 0
	s_delay_alu instid0(SALU_CYCLE_1) | instskip(NEXT) | instid1(SALU_CYCLE_1)
	s_lshl_b64 s[4:5], s[4:5], 2
	s_add_u32 s4, s6, s4
	s_addc_u32 s5, s7, s5
	s_load_b32 s4, s[4:5], 0x0
.LBB197_6:
	s_and_not1_b32 vcc_lo, exec_lo, s8
	s_cbranch_vccz .LBB197_9
; %bb.7:
	s_and_not1_b32 vcc_lo, exec_lo, s8
	s_mov_b64 s[44:45], 0
	s_cbranch_vccz .LBB197_10
.LBB197_8:
	s_load_b128 s[36:39], s[0:1], 0x0
	s_waitcnt lgkmcnt(0)
	s_cmp_lt_i32 s37, 1
	s_cbranch_scc0 .LBB197_11
	s_branch .LBB197_95
.LBB197_9:
	s_waitcnt lgkmcnt(0)
	s_ashr_i32 s5, s4, 31
	s_delay_alu instid0(SALU_CYCLE_1) | instskip(NEXT) | instid1(SALU_CYCLE_1)
	s_lshl_b64 s[6:7], s[4:5], 3
	s_add_u32 s6, s2, s6
	s_addc_u32 s7, s3, s7
	s_load_b64 s[6:7], s[6:7], 0x0
	s_waitcnt lgkmcnt(0)
	s_sub_u32 s34, s6, s28
	s_subb_u32 s35, s7, 0
	s_and_not1_b32 vcc_lo, exec_lo, s8
	s_mov_b64 s[44:45], 0
	s_cbranch_vccnz .LBB197_8
.LBB197_10:
	s_waitcnt lgkmcnt(0)
	s_ashr_i32 s5, s4, 31
	s_delay_alu instid0(SALU_CYCLE_1) | instskip(NEXT) | instid1(SALU_CYCLE_1)
	s_lshl_b64 s[6:7], s[4:5], 3
	s_add_u32 s2, s2, s6
	s_addc_u32 s3, s3, s7
	s_load_b64 s[2:3], s[2:3], 0x8
	s_waitcnt lgkmcnt(0)
	s_sub_u32 s44, s2, s28
	s_subb_u32 s45, s3, 0
	s_load_b128 s[36:39], s[0:1], 0x0
	s_waitcnt lgkmcnt(0)
	s_cmp_lt_i32 s37, 1
	s_cbranch_scc1 .LBB197_95
.LBB197_11:
	s_clause 0x4
	s_load_b256 s[12:19], s[0:1], 0x60
	s_load_b64 s[46:47], s[0:1], 0x90
	s_load_b128 s[40:43], s[0:1], 0x80
	s_load_b64 s[10:11], s[0:1], 0x50
	s_load_b256 s[20:27], s[0:1], 0x30
	s_ashr_i32 s5, s4, 31
	v_bfe_u32 v11, v0, 2, 2
	s_lshl_b64 s[6:7], s[4:5], 3
	v_dual_mov_b32 v5, 0 :: v_dual_and_b32 v10, 15, v0
	v_and_b32_e32 v30, 3, v0
	s_delay_alu instid0(VALU_DEP_3)
	v_mul_lo_u32 v6, v11, s38
	v_mov_b32_e32 v54, 32
	v_lshrrev_b32_e32 v29, 4, v0
	v_mov_b32_e32 v7, v5
	v_max_i32_e32 v12, v30, v11
	v_mul_lo_u32 v8, v30, s38
	v_lshlrev_b32_e32 v13, 3, v30
	v_mov_b32_e32 v9, v5
	v_lshlrev_b64 v[6:7], 3, v[6:7]
	s_waitcnt lgkmcnt(0)
	s_add_u32 s4, s18, s6
	s_addc_u32 s5, s19, s7
	v_cmp_gt_i32_e64 s3, s38, v12
	s_load_b64 s[4:5], s[4:5], 0x0
	v_lshlrev_b32_e32 v11, 3, v11
	v_add_co_u32 v12, vcc_lo, s22, v6
	v_add_co_ci_u32_e32 v14, vcc_lo, s23, v7, vcc_lo
	v_cmp_lt_i64_e64 s9, s[34:35], s[44:45]
	s_mov_b32 s49, 0
	v_cmp_gt_u32_e64 s0, 32, v0
	v_cmp_gt_u32_e64 s1, 0x200, v0
	v_cmp_eq_u32_e64 s2, 0, v0
	v_lshl_or_b32 v40, v0, 2, 0x1800
	v_lshl_or_b32 v51, v29, 2, 0x1800
	s_mul_i32 s48, s38, s38
	s_mov_b32 s39, s49
	s_mov_b32 s50, s29
	;; [unrolled: 1-line block ×3, first 2 shown]
	v_dual_mov_b32 v53, 0 :: v_dual_mov_b32 v52, 1
	s_waitcnt lgkmcnt(0)
	s_sub_u32 s18, s4, s30
	v_add_co_u32 v33, s4, v12, v13
	v_and_b32_e32 v12, 31, v0
	v_lshlrev_b64 v[8:9], 3, v[8:9]
	v_add_co_ci_u32_e64 v34, s4, 0, v14, s4
	v_sub_co_u32 v36, s4, v29, s31
	s_delay_alu instid0(VALU_DEP_4) | instskip(NEXT) | instid1(VALU_DEP_4)
	v_add_co_u32 v19, s53, v12, -1
	v_add_co_u32 v15, vcc_lo, s16, v8
	s_subb_u32 s19, s5, 0
	v_sub_co_ci_u32_e64 v37, null, 0, 0, s4
	v_cmp_eq_u32_e64 s4, 15, v10
	v_add_co_u32 v10, s5, s42, v8
	v_add_co_ci_u32_e32 v16, vcc_lo, s17, v9, vcc_lo
	v_add_co_u32 v17, vcc_lo, s16, v6
	v_lshl_add_u32 v39, v19, 2, 0x1800
	v_add_co_ci_u32_e64 v19, s5, s43, v9, s5
	v_add_co_u32 v6, s5, s42, v6
	v_add_co_ci_u32_e32 v18, vcc_lo, s17, v7, vcc_lo
	v_add_co_u32 v15, vcc_lo, v15, v11
	v_add_co_ci_u32_e64 v7, s5, s43, v7, s5
	v_add_co_u32 v10, s5, v10, v11
	v_add_co_ci_u32_e32 v16, vcc_lo, 0, v16, vcc_lo
	v_add_co_u32 v17, vcc_lo, v17, v13
	v_add_co_ci_u32_e64 v19, s5, 0, v19, s5
	s_cmp_eq_u32 s36, 0
	v_add_co_u32 v6, s5, v6, v13
	v_add_co_ci_u32_e32 v18, vcc_lo, 0, v18, vcc_lo
	s_cselect_b32 vcc_lo, -1, 0
	v_lshlrev_b32_e32 v14, 2, v12
	v_add_co_ci_u32_e64 v7, s5, 0, v7, s5
	s_delay_alu instid0(VALU_DEP_3)
	v_cndmask_b32_e32 v45, v16, v18, vcc_lo
	s_cmp_lg_u32 s36, 0
	v_cndmask_b32_e32 v48, v10, v6, vcc_lo
	v_lshlrev_b32_e32 v6, 7, v29
	v_dual_cndmask_b32 v46, v15, v17 :: v_dual_lshlrev_b32 v31, 3, v0
	s_cselect_b32 s36, -1, 0
	s_cmp_gt_i32 s38, 0
	v_dual_cndmask_b32 v47, v19, v7 :: v_dual_add_nc_u32 v42, 0x17f0, v14
	v_add_co_u32 v7, vcc_lo, s10, v8
	s_cselect_b32 s51, -1, 0
	s_add_u32 s16, s12, s6
	v_add_co_ci_u32_e32 v8, vcc_lo, s11, v9, vcc_lo
	s_movk_i32 s12, 0x7e0
	v_add_co_u32 v9, s10, s10, v13
	s_addc_u32 s17, s13, s7
	s_and_b32 s42, s8, s9
	v_cmp_ne_u32_e64 s5, 0, v12
	v_cmp_lt_u32_e64 s6, 1, v12
	v_cmp_lt_u32_e64 s7, 3, v12
	;; [unrolled: 1-line block ×4, first 2 shown]
	v_add_nc_u32_e32 v44, 0x17c0, v14
	v_or3_b32 v49, v6, v11, 0x1000
	v_mov_b32_e32 v11, s18
	v_or_b32_e32 v32, 0x1000, v31
	v_dual_mov_b32 v12, s19 :: v_dual_and_b32 v35, 12, v0
	v_or_b32_e32 v38, 0x1800, v14
	v_add_nc_u32_e32 v41, 0x17f8, v14
	v_add_nc_u32_e32 v43, 0x17e0, v14
	s_add_u32 s43, s24, 8
	v_or_b32_e32 v0, 0xffffff00, v0
	v_add_co_ci_u32_e64 v10, null, s11, 0, s10
	v_and_or_b32 v50, v31, s12, 0x1000
	s_addc_u32 s54, s25, 0
	s_add_u32 s55, s40, -4
	s_addc_u32 s56, s41, -1
	s_lshl_b64 s[18:19], s[48:49], 3
	s_lshl_b64 s[22:23], s[38:39], 3
	s_branch .LBB197_13
.LBB197_12:                             ;   in Loop: Header=BB197_13 Depth=1
	s_set_inst_prefetch_distance 0x2
	s_or_b32 exec_lo, exec_lo, s10
	s_waitcnt_vscnt null, 0x0
	s_barrier
	buffer_gl0_inv
	ds_load_b32 v53, v5 offset:6272
	v_ashrrev_i32_e32 v13, 31, v6
	v_add_co_u32 v11, s10, v11, v6
	s_waitcnt lgkmcnt(0)
	s_barrier
	s_delay_alu instid0(VALU_DEP_2)
	v_add_co_ci_u32_e64 v12, s10, v12, v13, s10
	buffer_gl0_inv
	v_cmp_le_i32_e32 vcc_lo, s37, v53
	v_add_nc_u32_e32 v54, 32, v53
	s_cbranch_vccnz .LBB197_95
.LBB197_13:                             ; =>This Loop Header: Depth=1
                                        ;     Child Loop BB197_17 Depth 2
                                        ;     Child Loop BB197_23 Depth 2
                                        ;       Child Loop BB197_35 Depth 3
                                        ;         Child Loop BB197_44 Depth 4
                                        ;         Child Loop BB197_49 Depth 4
	;; [unrolled: 1-line block ×3, first 2 shown]
                                        ;     Child Loop BB197_62 Depth 2
                                        ;       Child Loop BB197_67 Depth 3
                                        ;     Child Loop BB197_72 Depth 2
                                        ;     Child Loop BB197_92 Depth 2
	s_and_saveexec_b32 s10, s0
	s_cbranch_execz .LBB197_15
; %bb.14:                               ;   in Loop: Header=BB197_13 Depth=1
	ds_store_b32 v40, v5
.LBB197_15:                             ;   in Loop: Header=BB197_13 Depth=1
	s_or_b32 exec_lo, exec_lo, s10
	s_and_saveexec_b32 s10, s1
	s_cbranch_execz .LBB197_18
; %bb.16:                               ;   in Loop: Header=BB197_13 Depth=1
	v_dual_mov_b32 v13, v31 :: v_dual_mov_b32 v14, v0
	s_mov_b32 s11, 0
.LBB197_17:                             ;   Parent Loop BB197_13 Depth=1
                                        ; =>  This Inner Loop Header: Depth=2
	v_mov_b32_e32 v6, v5
	s_delay_alu instid0(VALU_DEP_2) | instskip(NEXT) | instid1(VALU_DEP_1)
	v_add_co_u32 v14, s12, 0x100, v14
	s_xor_b32 s12, s12, -1
	s_delay_alu instid0(SALU_CYCLE_1) | instskip(SKIP_3) | instid1(SALU_CYCLE_1)
	s_and_b32 s12, exec_lo, s12
	ds_store_b64 v13, v[5:6]
	v_add_nc_u32_e32 v13, 0x800, v13
	s_or_b32 s11, s12, s11
	s_and_not1_b32 exec_lo, exec_lo, s11
	s_cbranch_execnz .LBB197_17
.LBB197_18:                             ;   in Loop: Header=BB197_13 Depth=1
	s_or_b32 exec_lo, exec_lo, s10
	s_and_saveexec_b32 s10, s2
	s_cbranch_execz .LBB197_20
; %bb.19:                               ;   in Loop: Header=BB197_13 Depth=1
	v_mov_b32_e32 v6, s37
	ds_store_b32 v5, v6 offset:6272
.LBB197_20:                             ;   in Loop: Header=BB197_13 Depth=1
	s_or_b32 exec_lo, exec_lo, s10
	v_mov_b32_e32 v6, s37
	s_and_not1_b32 vcc_lo, exec_lo, s42
	s_waitcnt vmcnt(0) lgkmcnt(0)
	s_barrier
	buffer_gl0_inv
	s_cbranch_vccnz .LBB197_57
; %bb.21:                               ;   in Loop: Header=BB197_13 Depth=1
	v_cmp_ne_u32_e64 s10, 0, v53
	v_mov_b32_e32 v6, s37
	s_mov_b64 s[40:41], s[34:35]
	s_branch .LBB197_23
.LBB197_22:                             ;   in Loop: Header=BB197_23 Depth=2
	s_or_b32 exec_lo, exec_lo, s12
	s_add_u32 s40, s40, 16
	s_addc_u32 s41, s41, 0
	s_delay_alu instid0(SALU_CYCLE_1) | instskip(NEXT) | instid1(VALU_DEP_1)
	v_cmp_lt_i64_e64 s11, s[40:41], s[44:45]
	s_and_b32 vcc_lo, exec_lo, s11
	s_cbranch_vccz .LBB197_57
.LBB197_23:                             ;   Parent Loop BB197_13 Depth=1
                                        ; =>  This Loop Header: Depth=2
                                        ;       Child Loop BB197_35 Depth 3
                                        ;         Child Loop BB197_44 Depth 4
                                        ;         Child Loop BB197_49 Depth 4
	;; [unrolled: 1-line block ×3, first 2 shown]
	v_add_co_u32 v13, s11, s40, v29
	s_delay_alu instid0(VALU_DEP_1) | instskip(NEXT) | instid1(VALU_DEP_1)
	v_add_co_ci_u32_e64 v14, null, s41, 0, s11
	s_waitcnt_vscnt null, 0x0
	s_barrier
	buffer_gl0_inv
	v_cmp_gt_i64_e64 s11, s[44:45], v[13:14]
	s_delay_alu instid0(VALU_DEP_1)
	s_and_saveexec_b32 s12, s11
	s_cbranch_execz .LBB197_27
; %bb.24:                               ;   in Loop: Header=BB197_23 Depth=2
	v_mov_b32_e32 v15, 0
	v_mov_b32_e32 v16, 0
	s_and_saveexec_b32 s13, s3
	s_cbranch_execz .LBB197_26
; %bb.25:                               ;   in Loop: Header=BB197_23 Depth=2
	v_mad_u64_u32 v[15:16], null, v13, s48, 0
	s_delay_alu instid0(VALU_DEP_1) | instskip(NEXT) | instid1(VALU_DEP_1)
	v_mad_u64_u32 v[17:18], null, v14, s48, v[16:17]
	v_mov_b32_e32 v16, v17
	s_delay_alu instid0(VALU_DEP_1) | instskip(NEXT) | instid1(VALU_DEP_1)
	v_lshlrev_b64 v[15:16], 3, v[15:16]
	v_add_co_u32 v15, vcc_lo, v33, v15
	s_delay_alu instid0(VALU_DEP_2)
	v_add_co_ci_u32_e32 v16, vcc_lo, v34, v16, vcc_lo
	global_load_b64 v[15:16], v[15:16], off
.LBB197_26:                             ;   in Loop: Header=BB197_23 Depth=2
	s_or_b32 exec_lo, exec_lo, s13
	s_waitcnt vmcnt(0)
	ds_store_b64 v32, v[15:16]
.LBB197_27:                             ;   in Loop: Header=BB197_23 Depth=2
	s_or_b32 exec_lo, exec_lo, s12
	v_mov_b32_e32 v15, 0
	v_mov_b32_e32 v16, 0
	s_waitcnt lgkmcnt(0)
	s_barrier
	buffer_gl0_inv
	s_and_saveexec_b32 s13, s11
	s_cbranch_execz .LBB197_54
; %bb.28:                               ;   in Loop: Header=BB197_23 Depth=2
	v_lshlrev_b64 v[15:16], 2, v[13:14]
	s_delay_alu instid0(VALU_DEP_1) | instskip(NEXT) | instid1(VALU_DEP_2)
	v_add_co_u32 v15, vcc_lo, s20, v15
	v_add_co_ci_u32_e32 v16, vcc_lo, s21, v16, vcc_lo
	s_and_b32 vcc_lo, exec_lo, s10
	global_load_b32 v15, v[15:16], off
	s_waitcnt vmcnt(0)
	v_subrev_nc_u32_e32 v17, s28, v15
	s_delay_alu instid0(VALU_DEP_1)
	v_ashrrev_i32_e32 v18, 31, v17
	s_cbranch_vccz .LBB197_56
; %bb.29:                               ;   in Loop: Header=BB197_23 Depth=2
	v_lshlrev_b64 v[15:16], 3, v[13:14]
	s_delay_alu instid0(VALU_DEP_1) | instskip(NEXT) | instid1(VALU_DEP_2)
	v_add_co_u32 v15, vcc_lo, s46, v15
	v_add_co_ci_u32_e32 v16, vcc_lo, s47, v16, vcc_lo
	global_load_b64 v[15:16], v[15:16], off
	s_cbranch_execnz .LBB197_31
.LBB197_30:                             ;   in Loop: Header=BB197_23 Depth=2
	s_waitcnt vmcnt(0)
	s_delay_alu instid0(VALU_DEP_1) | instskip(NEXT) | instid1(VALU_DEP_1)
	v_lshlrev_b64 v[15:16], 3, v[17:18]
	v_add_co_u32 v15, vcc_lo, s24, v15
	s_delay_alu instid0(VALU_DEP_2)
	v_add_co_ci_u32_e32 v16, vcc_lo, s25, v16, vcc_lo
	global_load_b64 v[15:16], v[15:16], off
	s_waitcnt vmcnt(0)
	v_sub_co_u32 v15, vcc_lo, v15, s50
	v_subrev_co_ci_u32_e32 v16, vcc_lo, 0, v16, vcc_lo
.LBB197_31:                             ;   in Loop: Header=BB197_23 Depth=2
	v_lshlrev_b64 v[17:18], 3, v[17:18]
	s_mov_b32 s39, exec_lo
	s_delay_alu instid0(VALU_DEP_1) | instskip(NEXT) | instid1(VALU_DEP_2)
	v_add_co_u32 v17, vcc_lo, s43, v17
	v_add_co_ci_u32_e32 v18, vcc_lo, s54, v18, vcc_lo
	global_load_b64 v[17:18], v[17:18], off
	s_waitcnt vmcnt(0)
	v_sub_co_u32 v17, vcc_lo, v17, s50
	v_subrev_co_ci_u32_e32 v18, vcc_lo, 0, v18, vcc_lo
	s_delay_alu instid0(VALU_DEP_1)
	v_cmpx_lt_i64_e64 v[15:16], v[17:18]
	s_cbranch_execz .LBB197_53
; %bb.32:                               ;   in Loop: Header=BB197_23 Depth=2
	v_mad_u64_u32 v[19:20], null, s18, v15, v[7:8]
	v_mul_lo_u32 v23, s18, v16
	v_mul_lo_u32 v24, s19, v15
	v_mad_u64_u32 v[21:22], null, s18, v15, v[9:10]
	s_mov_b32 s49, 0
	s_delay_alu instid0(VALU_DEP_2) | instskip(NEXT) | instid1(VALU_DEP_2)
	v_add3_u32 v20, v24, v20, v23
	v_add3_u32 v22, v24, v22, v23
	v_dual_mov_b32 v24, v16 :: v_dual_mov_b32 v23, v15
	s_branch .LBB197_35
.LBB197_33:                             ;   in Loop: Header=BB197_35 Depth=3
	s_or_b32 exec_lo, exec_lo, s59
	s_delay_alu instid0(SALU_CYCLE_1)
	s_or_b32 s57, s57, exec_lo
.LBB197_34:                             ;   in Loop: Header=BB197_35 Depth=3
	s_or_b32 exec_lo, exec_lo, s58
	v_add_co_u32 v15, vcc_lo, v15, 1
	v_add_co_ci_u32_e32 v16, vcc_lo, 0, v16, vcc_lo
	v_add_co_u32 v19, s12, v19, s18
	s_xor_b32 s57, s57, -1
	s_delay_alu instid0(VALU_DEP_2)
	v_cmp_ge_i64_e32 vcc_lo, v[15:16], v[17:18]
	v_add_co_ci_u32_e64 v20, s12, s19, v20, s12
	s_or_b32 s12, s57, vcc_lo
	v_add_co_u32 v21, vcc_lo, v21, s18
	v_add_co_ci_u32_e32 v22, vcc_lo, s19, v22, vcc_lo
	s_and_b32 s12, exec_lo, s12
	s_delay_alu instid0(SALU_CYCLE_1) | instskip(NEXT) | instid1(SALU_CYCLE_1)
	s_or_b32 s49, s12, s49
	s_and_not1_b32 exec_lo, exec_lo, s49
	s_cbranch_execz .LBB197_52
.LBB197_35:                             ;   Parent Loop BB197_13 Depth=1
                                        ;     Parent Loop BB197_23 Depth=2
                                        ; =>    This Loop Header: Depth=3
                                        ;         Child Loop BB197_44 Depth 4
                                        ;         Child Loop BB197_49 Depth 4
                                        ;         Child Loop BB197_51 Depth 4
	v_lshlrev_b64 v[25:26], 2, v[15:16]
                                        ; implicit-def: $sgpr57
	s_delay_alu instid0(VALU_DEP_1) | instskip(NEXT) | instid1(VALU_DEP_2)
	v_add_co_u32 v25, vcc_lo, s26, v25
	v_add_co_ci_u32_e32 v26, vcc_lo, s27, v26, vcc_lo
	global_load_b32 v25, v[25:26], off
	s_waitcnt vmcnt(0)
	v_subrev_nc_u32_e32 v25, s29, v25
	s_delay_alu instid0(VALU_DEP_1) | instskip(SKIP_1) | instid1(VALU_DEP_2)
	v_cmp_lt_i32_e64 s12, v25, v53
	v_cmp_ge_i32_e32 vcc_lo, v25, v54
	s_or_b32 s12, s12, vcc_lo
	s_delay_alu instid0(SALU_CYCLE_1) | instskip(NEXT) | instid1(SALU_CYCLE_1)
	s_and_saveexec_b32 s58, s12
	s_xor_b32 s12, exec_lo, s58
	s_cbranch_execz .LBB197_39
; %bb.36:                               ;   in Loop: Header=BB197_35 Depth=3
	s_mov_b32 s57, -1
	s_and_saveexec_b32 s58, vcc_lo
; %bb.37:                               ;   in Loop: Header=BB197_35 Depth=3
	v_min_i32_e32 v6, v25, v6
	v_dual_mov_b32 v24, v16 :: v_dual_mov_b32 v23, v15
	s_xor_b32 s57, exec_lo, -1
; %bb.38:                               ;   in Loop: Header=BB197_35 Depth=3
	s_or_b32 exec_lo, exec_lo, s58
	s_delay_alu instid0(SALU_CYCLE_1)
	s_and_b32 s57, s57, exec_lo
                                        ; implicit-def: $vgpr25
.LBB197_39:                             ;   in Loop: Header=BB197_35 Depth=3
	s_and_not1_saveexec_b32 s58, s12
	s_cbranch_execz .LBB197_34
; %bb.40:                               ;   in Loop: Header=BB197_35 Depth=3
	v_sub_nc_u32_e32 v55, v25, v53
	s_delay_alu instid0(VALU_DEP_1)
	v_lshlrev_b32_e32 v25, 2, v55
	ds_store_b32 v25, v52 offset:6144
	s_and_saveexec_b32 s59, s3
	s_cbranch_execz .LBB197_33
; %bb.41:                               ;   in Loop: Header=BB197_35 Depth=3
	v_cndmask_b32_e64 v25, 0, 1, s51
	s_and_not1_b32 vcc_lo, exec_lo, s36
	s_delay_alu instid0(VALU_DEP_1)
	v_cmp_ne_u32_e64 s12, 1, v25
	s_cbranch_vccnz .LBB197_46
; %bb.42:                               ;   in Loop: Header=BB197_35 Depth=3
	v_mov_b32_e32 v25, 0
	v_mov_b32_e32 v26, 0
	s_delay_alu instid0(VALU_DEP_3)
	s_and_b32 vcc_lo, exec_lo, s12
	s_cbranch_vccnz .LBB197_45
; %bb.43:                               ;   in Loop: Header=BB197_35 Depth=3
	v_dual_mov_b32 v28, v20 :: v_dual_mov_b32 v27, v19
	v_mov_b32_e32 v56, v49
	s_mov_b32 s12, s38
.LBB197_44:                             ;   Parent Loop BB197_13 Depth=1
                                        ;     Parent Loop BB197_23 Depth=2
                                        ;       Parent Loop BB197_35 Depth=3
                                        ; =>      This Inner Loop Header: Depth=4
	global_load_b64 v[57:58], v[27:28], off
	ds_load_b64 v[59:60], v56
	v_add_co_u32 v27, vcc_lo, v27, 8
	v_add_nc_u32_e32 v56, 32, v56
	v_add_co_ci_u32_e32 v28, vcc_lo, 0, v28, vcc_lo
	s_add_i32 s12, s12, -1
	s_delay_alu instid0(SALU_CYCLE_1)
	s_cmp_lg_u32 s12, 0
	s_waitcnt vmcnt(0) lgkmcnt(0)
	v_fma_f64 v[25:26], v[59:60], v[57:58], v[25:26]
	s_cbranch_scc1 .LBB197_44
.LBB197_45:                             ;   in Loop: Header=BB197_35 Depth=3
	s_cbranch_execz .LBB197_47
	s_branch .LBB197_50
.LBB197_46:                             ;   in Loop: Header=BB197_35 Depth=3
                                        ; implicit-def: $vgpr25_vgpr26
.LBB197_47:                             ;   in Loop: Header=BB197_35 Depth=3
	v_mov_b32_e32 v25, 0
	v_mov_b32_e32 v26, 0
	s_and_not1_b32 vcc_lo, exec_lo, s51
	s_cbranch_vccnz .LBB197_50
; %bb.48:                               ;   in Loop: Header=BB197_35 Depth=3
	v_mov_b32_e32 v28, v22
	v_dual_mov_b32 v56, v50 :: v_dual_mov_b32 v27, v21
	s_mov_b32 s12, s38
.LBB197_49:                             ;   Parent Loop BB197_13 Depth=1
                                        ;     Parent Loop BB197_23 Depth=2
                                        ;       Parent Loop BB197_35 Depth=3
                                        ; =>      This Inner Loop Header: Depth=4
	global_load_b64 v[57:58], v[27:28], off
	ds_load_b64 v[59:60], v56
	v_add_co_u32 v27, vcc_lo, v27, s22
	v_add_co_ci_u32_e32 v28, vcc_lo, s23, v28, vcc_lo
	v_add_nc_u32_e32 v56, 8, v56
	s_add_i32 s12, s12, -1
	s_delay_alu instid0(SALU_CYCLE_1)
	s_cmp_eq_u32 s12, 0
	s_waitcnt vmcnt(0) lgkmcnt(0)
	v_fma_f64 v[25:26], v[59:60], v[57:58], v[25:26]
	s_cbranch_scc0 .LBB197_49
.LBB197_50:                             ;   in Loop: Header=BB197_35 Depth=3
	s_delay_alu instid0(VALU_DEP_1) | instskip(SKIP_2) | instid1(VALU_DEP_1)
	v_mul_f64 v[25:26], v[1:2], v[25:26]
	v_lshlrev_b32_e32 v27, 4, v55
	s_mov_b32 s12, 0
	v_or3_b32 v27, v27, v35, v30
	s_delay_alu instid0(VALU_DEP_1)
	v_lshlrev_b32_e32 v55, 3, v27
	ds_load_b64 v[27:28], v55
.LBB197_51:                             ;   Parent Loop BB197_13 Depth=1
                                        ;     Parent Loop BB197_23 Depth=2
                                        ;       Parent Loop BB197_35 Depth=3
                                        ; =>      This Inner Loop Header: Depth=4
	s_waitcnt lgkmcnt(0)
	v_add_f64 v[56:57], v[27:28], v[25:26]
	ds_cmpstore_rtn_b64 v[56:57], v55, v[56:57], v[27:28]
	s_waitcnt lgkmcnt(0)
	v_cmp_eq_u64_e32 vcc_lo, v[56:57], v[27:28]
	v_dual_mov_b32 v27, v56 :: v_dual_mov_b32 v28, v57
	s_or_b32 s12, vcc_lo, s12
	s_delay_alu instid0(SALU_CYCLE_1)
	s_and_not1_b32 exec_lo, exec_lo, s12
	s_cbranch_execnz .LBB197_51
	s_branch .LBB197_33
.LBB197_52:                             ;   in Loop: Header=BB197_23 Depth=2
	s_or_b32 exec_lo, exec_lo, s49
	v_dual_mov_b32 v15, v23 :: v_dual_mov_b32 v16, v24
.LBB197_53:                             ;   in Loop: Header=BB197_23 Depth=2
	s_or_b32 exec_lo, exec_lo, s39
.LBB197_54:                             ;   in Loop: Header=BB197_23 Depth=2
	s_delay_alu instid0(SALU_CYCLE_1)
	s_or_b32 exec_lo, exec_lo, s13
	s_waitcnt lgkmcnt(0)
	s_barrier
	buffer_gl0_inv
	s_and_saveexec_b32 s12, s11
	s_cbranch_execz .LBB197_22
; %bb.55:                               ;   in Loop: Header=BB197_23 Depth=2
	v_lshlrev_b64 v[13:14], 3, v[13:14]
	s_delay_alu instid0(VALU_DEP_1) | instskip(NEXT) | instid1(VALU_DEP_2)
	v_add_co_u32 v13, vcc_lo, s46, v13
	v_add_co_ci_u32_e32 v14, vcc_lo, s47, v14, vcc_lo
	global_store_b64 v[13:14], v[15:16], off
	s_branch .LBB197_22
.LBB197_56:                             ;   in Loop: Header=BB197_23 Depth=2
                                        ; implicit-def: $vgpr15_vgpr16
	s_branch .LBB197_30
.LBB197_57:                             ;   in Loop: Header=BB197_13 Depth=1
	s_and_not1_b32 vcc_lo, exec_lo, s33
	s_cbranch_vccnz .LBB197_70
; %bb.58:                               ;   in Loop: Header=BB197_13 Depth=1
	s_load_b128 s[60:63], s[16:17], 0x0
	s_mov_b32 s39, exec_lo
	s_waitcnt lgkmcnt(0)
	v_add_co_u32 v13, vcc_lo, s60, v36
	v_add_co_ci_u32_e32 v14, vcc_lo, s61, v37, vcc_lo
	s_sub_u32 s12, s62, s52
	s_subb_u32 s13, s63, 0
	s_delay_alu instid0(VALU_DEP_1) | instid1(SALU_CYCLE_1)
	v_cmpx_gt_i64_e64 s[12:13], v[13:14]
	s_cbranch_execz .LBB197_69
; %bb.59:                               ;   in Loop: Header=BB197_13 Depth=1
	s_mov_b32 s40, 0
	s_branch .LBB197_62
.LBB197_60:                             ;   in Loop: Header=BB197_62 Depth=2
	s_or_b32 exec_lo, exec_lo, s41
	s_delay_alu instid0(SALU_CYCLE_1)
	s_or_b32 s10, s10, exec_lo
.LBB197_61:                             ;   in Loop: Header=BB197_62 Depth=2
	s_or_b32 exec_lo, exec_lo, s11
	v_add_co_u32 v13, vcc_lo, v13, 16
	v_add_co_ci_u32_e32 v14, vcc_lo, 0, v14, vcc_lo
	s_xor_b32 s10, s10, -1
	s_delay_alu instid0(VALU_DEP_1) | instskip(SKIP_1) | instid1(SALU_CYCLE_1)
	v_cmp_le_i64_e32 vcc_lo, s[12:13], v[13:14]
	s_or_b32 s10, s10, vcc_lo
	s_and_b32 s10, exec_lo, s10
	s_delay_alu instid0(SALU_CYCLE_1) | instskip(NEXT) | instid1(SALU_CYCLE_1)
	s_or_b32 s40, s10, s40
	s_and_not1_b32 exec_lo, exec_lo, s40
	s_cbranch_execz .LBB197_68
.LBB197_62:                             ;   Parent Loop BB197_13 Depth=1
                                        ; =>  This Loop Header: Depth=2
                                        ;       Child Loop BB197_67 Depth 3
	v_lshlrev_b64 v[15:16], 2, v[13:14]
	s_delay_alu instid0(VALU_DEP_1) | instskip(NEXT) | instid1(VALU_DEP_2)
	v_add_co_u32 v15, vcc_lo, s14, v15
	v_add_co_ci_u32_e32 v16, vcc_lo, s15, v16, vcc_lo
	global_load_b32 v15, v[15:16], off
	s_waitcnt vmcnt(0)
	v_subrev_nc_u32_e32 v15, s31, v15
	s_delay_alu instid0(VALU_DEP_1) | instskip(SKIP_2) | instid1(VALU_DEP_2)
	v_cmp_lt_i32_e64 s10, v15, v53
	v_cmp_ge_i32_e64 s11, v15, v54
	v_cmp_lt_i32_e32 vcc_lo, v15, v54
	s_or_b32 s11, s10, s11
                                        ; implicit-def: $sgpr10
	s_delay_alu instid0(SALU_CYCLE_1) | instskip(NEXT) | instid1(SALU_CYCLE_1)
	s_and_saveexec_b32 s41, s11
	s_xor_b32 s11, exec_lo, s41
; %bb.63:                               ;   in Loop: Header=BB197_62 Depth=2
	v_min_i32_e32 v15, v15, v6
	s_and_b32 s10, vcc_lo, exec_lo
	s_delay_alu instid0(VALU_DEP_1)
	v_cndmask_b32_e32 v6, v15, v6, vcc_lo
                                        ; implicit-def: $vgpr15
; %bb.64:                               ;   in Loop: Header=BB197_62 Depth=2
	s_and_not1_saveexec_b32 s11, s11
	s_cbranch_execz .LBB197_61
; %bb.65:                               ;   in Loop: Header=BB197_62 Depth=2
	v_sub_nc_u32_e32 v17, v15, v53
	s_delay_alu instid0(VALU_DEP_1)
	v_lshlrev_b32_e32 v15, 2, v17
	ds_store_b32 v15, v52 offset:6144
	s_and_saveexec_b32 s41, s3
	s_cbranch_execz .LBB197_60
; %bb.66:                               ;   in Loop: Header=BB197_62 Depth=2
	v_mad_u64_u32 v[15:16], null, v13, s48, 0
	s_mov_b32 s49, 0
	s_delay_alu instid0(VALU_DEP_1) | instskip(SKIP_1) | instid1(VALU_DEP_1)
	v_mad_u64_u32 v[18:19], null, v14, s48, v[16:17]
	v_lshlrev_b32_e32 v17, 4, v17
	v_or3_b32 v17, v17, v35, v30
	s_delay_alu instid0(VALU_DEP_1) | instskip(NEXT) | instid1(VALU_DEP_1)
	v_dual_mov_b32 v16, v18 :: v_dual_lshlrev_b32 v19, 3, v17
	v_lshlrev_b64 v[15:16], 3, v[15:16]
	ds_load_b64 v[17:18], v19
	v_add_co_u32 v15, vcc_lo, v46, v15
	v_add_co_ci_u32_e32 v16, vcc_lo, v45, v16, vcc_lo
	global_load_b64 v[15:16], v[15:16], off
	s_waitcnt vmcnt(0)
	v_mul_f64 v[15:16], v[3:4], v[15:16]
.LBB197_67:                             ;   Parent Loop BB197_13 Depth=1
                                        ;     Parent Loop BB197_62 Depth=2
                                        ; =>    This Inner Loop Header: Depth=3
	s_waitcnt lgkmcnt(0)
	s_delay_alu instid0(VALU_DEP_1)
	v_add_f64 v[20:21], v[17:18], v[15:16]
	ds_cmpstore_rtn_b64 v[20:21], v19, v[20:21], v[17:18]
	s_waitcnt lgkmcnt(0)
	v_cmp_eq_u64_e32 vcc_lo, v[20:21], v[17:18]
	v_dual_mov_b32 v17, v20 :: v_dual_mov_b32 v18, v21
	s_or_b32 s49, vcc_lo, s49
	s_delay_alu instid0(SALU_CYCLE_1)
	s_and_not1_b32 exec_lo, exec_lo, s49
	s_cbranch_execnz .LBB197_67
	s_branch .LBB197_60
.LBB197_68:                             ;   in Loop: Header=BB197_13 Depth=1
	s_or_b32 exec_lo, exec_lo, s40
.LBB197_69:                             ;   in Loop: Header=BB197_13 Depth=1
	s_delay_alu instid0(SALU_CYCLE_1)
	s_or_b32 exec_lo, exec_lo, s39
.LBB197_70:                             ;   in Loop: Header=BB197_13 Depth=1
	s_and_saveexec_b32 s10, s4
	s_cbranch_execz .LBB197_75
; %bb.71:                               ;   in Loop: Header=BB197_13 Depth=1
	s_mov_b32 s12, exec_lo
	s_brev_b32 s11, -2
.LBB197_72:                             ;   Parent Loop BB197_13 Depth=1
                                        ; =>  This Inner Loop Header: Depth=2
	s_ctz_i32_b32 s13, s12
	s_delay_alu instid0(SALU_CYCLE_1) | instskip(SKIP_1) | instid1(SALU_CYCLE_1)
	v_readlane_b32 s39, v6, s13
	s_lshl_b32 s13, 1, s13
	s_and_not1_b32 s12, s12, s13
	s_delay_alu instid0(VALU_DEP_1)
	s_min_i32 s11, s11, s39
	s_cmp_lg_u32 s12, 0
	s_cbranch_scc1 .LBB197_72
; %bb.73:                               ;   in Loop: Header=BB197_13 Depth=1
	v_mbcnt_lo_u32_b32 v6, exec_lo, 0
	s_mov_b32 s12, exec_lo
	s_delay_alu instid0(VALU_DEP_1)
	v_cmpx_eq_u32_e32 0, v6
	s_xor_b32 s12, exec_lo, s12
	s_cbranch_execz .LBB197_75
; %bb.74:                               ;   in Loop: Header=BB197_13 Depth=1
	v_mov_b32_e32 v6, s11
	ds_min_i32 v5, v6 offset:6272
.LBB197_75:                             ;   in Loop: Header=BB197_13 Depth=1
	s_or_b32 exec_lo, exec_lo, s10
	s_waitcnt lgkmcnt(0)
	s_waitcnt_vscnt null, 0x0
	s_barrier
	buffer_gl0_inv
	ds_load_b32 v13, v38
	s_waitcnt lgkmcnt(0)
	s_barrier
	buffer_gl0_inv
	s_and_saveexec_b32 s10, s5
	s_cbranch_execz .LBB197_77
; %bb.76:                               ;   in Loop: Header=BB197_13 Depth=1
	ds_load_b32 v6, v39
	s_waitcnt lgkmcnt(0)
	v_add_nc_u32_e32 v13, v6, v13
.LBB197_77:                             ;   in Loop: Header=BB197_13 Depth=1
	s_or_b32 exec_lo, exec_lo, s10
	s_barrier
	buffer_gl0_inv
	ds_store_b32 v38, v13
	s_waitcnt lgkmcnt(0)
	s_barrier
	buffer_gl0_inv
	s_and_saveexec_b32 s10, s6
	s_cbranch_execz .LBB197_79
; %bb.78:                               ;   in Loop: Header=BB197_13 Depth=1
	ds_load_b32 v6, v41
	s_waitcnt lgkmcnt(0)
	v_add_nc_u32_e32 v13, v6, v13
.LBB197_79:                             ;   in Loop: Header=BB197_13 Depth=1
	s_or_b32 exec_lo, exec_lo, s10
	s_barrier
	buffer_gl0_inv
	ds_store_b32 v38, v13
	;; [unrolled: 14-line block ×5, first 2 shown]
	s_waitcnt lgkmcnt(0)
	s_barrier
	buffer_gl0_inv
	ds_load_b32 v6, v5 offset:6268
	v_mov_b32_e32 v14, 0
	s_and_saveexec_b32 s10, s53
	s_cbranch_execz .LBB197_87
; %bb.86:                               ;   in Loop: Header=BB197_13 Depth=1
	ds_load_b32 v14, v39
.LBB197_87:                             ;   in Loop: Header=BB197_13 Depth=1
	s_or_b32 exec_lo, exec_lo, s10
	s_waitcnt lgkmcnt(0)
	v_cmp_eq_u32_e32 vcc_lo, v13, v14
	s_barrier
	buffer_gl0_inv
	s_and_b32 s11, s53, vcc_lo
	s_delay_alu instid0(SALU_CYCLE_1)
	s_and_saveexec_b32 s10, s11
	s_cbranch_execz .LBB197_89
; %bb.88:                               ;   in Loop: Header=BB197_13 Depth=1
	ds_store_b32 v38, v5
.LBB197_89:                             ;   in Loop: Header=BB197_13 Depth=1
	s_or_b32 exec_lo, exec_lo, s10
	s_waitcnt lgkmcnt(0)
	s_barrier
	buffer_gl0_inv
	s_and_saveexec_b32 s10, s1
	s_cbranch_execz .LBB197_12
; %bb.90:                               ;   in Loop: Header=BB197_13 Depth=1
	v_add_co_u32 v13, vcc_lo, v11, -1
	v_add_co_ci_u32_e32 v14, vcc_lo, -1, v12, vcc_lo
	v_dual_mov_b32 v16, v51 :: v_dual_add_nc_u32 v15, s30, v53
	v_dual_mov_b32 v17, v31 :: v_dual_mov_b32 v18, v29
	s_mov_b32 s11, 0
	s_set_inst_prefetch_distance 0x1
	s_branch .LBB197_92
	.p2align	6
.LBB197_91:                             ;   in Loop: Header=BB197_92 Depth=2
	s_or_b32 exec_lo, exec_lo, s12
	v_add_nc_u32_e32 v19, 16, v18
	v_cmp_lt_u32_e32 vcc_lo, 15, v18
	v_add_nc_u32_e32 v17, 0x800, v17
	v_add_nc_u32_e32 v16, 64, v16
	s_delay_alu instid0(VALU_DEP_4) | instskip(SKIP_1) | instid1(SALU_CYCLE_1)
	v_mov_b32_e32 v18, v19
	s_or_b32 s11, vcc_lo, s11
	s_and_not1_b32 exec_lo, exec_lo, s11
	s_cbranch_execz .LBB197_12
.LBB197_92:                             ;   Parent Loop BB197_13 Depth=1
                                        ; =>  This Inner Loop Header: Depth=2
	ds_load_b32 v19, v16
	s_mov_b32 s12, exec_lo
	s_waitcnt lgkmcnt(0)
	v_cmpx_ne_u32_e32 0, v19
	s_cbranch_execz .LBB197_91
; %bb.93:                               ;   in Loop: Header=BB197_92 Depth=2
	v_ashrrev_i32_e32 v20, 31, v19
	v_add_co_u32 v21, vcc_lo, v11, v19
	v_add_nc_u32_e32 v23, v15, v18
	s_delay_alu instid0(VALU_DEP_3) | instskip(NEXT) | instid1(VALU_DEP_1)
	v_add_co_ci_u32_e32 v22, vcc_lo, v12, v20, vcc_lo
	v_lshlrev_b64 v[21:22], 2, v[21:22]
	s_delay_alu instid0(VALU_DEP_1) | instskip(NEXT) | instid1(VALU_DEP_2)
	v_add_co_u32 v21, vcc_lo, s55, v21
	v_add_co_ci_u32_e32 v22, vcc_lo, s56, v22, vcc_lo
	global_store_b32 v[21:22], v23, off
	s_and_b32 exec_lo, exec_lo, s3
	s_cbranch_execz .LBB197_91
; %bb.94:                               ;   in Loop: Header=BB197_92 Depth=2
	v_add_co_u32 v21, vcc_lo, v13, v19
	v_add_co_ci_u32_e32 v23, vcc_lo, v14, v20, vcc_lo
	s_delay_alu instid0(VALU_DEP_2) | instskip(NEXT) | instid1(VALU_DEP_1)
	v_mad_u64_u32 v[19:20], null, v21, s48, 0
	v_mad_u64_u32 v[21:22], null, v23, s48, v[20:21]
	ds_load_b64 v[22:23], v17
	v_mov_b32_e32 v20, v21
	s_delay_alu instid0(VALU_DEP_1) | instskip(NEXT) | instid1(VALU_DEP_1)
	v_lshlrev_b64 v[19:20], 3, v[19:20]
	v_add_co_u32 v19, vcc_lo, v48, v19
	s_delay_alu instid0(VALU_DEP_2)
	v_add_co_ci_u32_e32 v20, vcc_lo, v47, v20, vcc_lo
	s_waitcnt lgkmcnt(0)
	global_store_b64 v[19:20], v[22:23], off
	s_branch .LBB197_91
.LBB197_95:
	s_endpgm
	.section	.rodata,"a",@progbits
	.p2align	6, 0x0
	.amdhsa_kernel _ZN9rocsparseL38bsrgemm_block_per_row_atomic_multipassILj256ELj32ELj4ElidEEv20rocsparse_direction_T3_S2_PKS2_S4_NS_24const_host_device_scalarIT4_EEPKT2_S4_PKS6_SA_S4_SC_S7_SA_S4_SC_SA_PS2_PS6_PS8_21rocsparse_index_base_SG_SG_SG_bbb
		.amdhsa_group_segment_fixed_size 6280
		.amdhsa_private_segment_fixed_size 0
		.amdhsa_kernarg_size 172
		.amdhsa_user_sgpr_count 15
		.amdhsa_user_sgpr_dispatch_ptr 0
		.amdhsa_user_sgpr_queue_ptr 0
		.amdhsa_user_sgpr_kernarg_segment_ptr 1
		.amdhsa_user_sgpr_dispatch_id 0
		.amdhsa_user_sgpr_private_segment_size 0
		.amdhsa_wavefront_size32 1
		.amdhsa_uses_dynamic_stack 0
		.amdhsa_enable_private_segment 0
		.amdhsa_system_sgpr_workgroup_id_x 1
		.amdhsa_system_sgpr_workgroup_id_y 0
		.amdhsa_system_sgpr_workgroup_id_z 0
		.amdhsa_system_sgpr_workgroup_info 0
		.amdhsa_system_vgpr_workitem_id 0
		.amdhsa_next_free_vgpr 61
		.amdhsa_next_free_sgpr 64
		.amdhsa_reserve_vcc 1
		.amdhsa_float_round_mode_32 0
		.amdhsa_float_round_mode_16_64 0
		.amdhsa_float_denorm_mode_32 3
		.amdhsa_float_denorm_mode_16_64 3
		.amdhsa_dx10_clamp 1
		.amdhsa_ieee_mode 1
		.amdhsa_fp16_overflow 0
		.amdhsa_workgroup_processor_mode 1
		.amdhsa_memory_ordered 1
		.amdhsa_forward_progress 0
		.amdhsa_shared_vgpr_count 0
		.amdhsa_exception_fp_ieee_invalid_op 0
		.amdhsa_exception_fp_denorm_src 0
		.amdhsa_exception_fp_ieee_div_zero 0
		.amdhsa_exception_fp_ieee_overflow 0
		.amdhsa_exception_fp_ieee_underflow 0
		.amdhsa_exception_fp_ieee_inexact 0
		.amdhsa_exception_int_div_zero 0
	.end_amdhsa_kernel
	.section	.text._ZN9rocsparseL38bsrgemm_block_per_row_atomic_multipassILj256ELj32ELj4ElidEEv20rocsparse_direction_T3_S2_PKS2_S4_NS_24const_host_device_scalarIT4_EEPKT2_S4_PKS6_SA_S4_SC_S7_SA_S4_SC_SA_PS2_PS6_PS8_21rocsparse_index_base_SG_SG_SG_bbb,"axG",@progbits,_ZN9rocsparseL38bsrgemm_block_per_row_atomic_multipassILj256ELj32ELj4ElidEEv20rocsparse_direction_T3_S2_PKS2_S4_NS_24const_host_device_scalarIT4_EEPKT2_S4_PKS6_SA_S4_SC_S7_SA_S4_SC_SA_PS2_PS6_PS8_21rocsparse_index_base_SG_SG_SG_bbb,comdat
.Lfunc_end197:
	.size	_ZN9rocsparseL38bsrgemm_block_per_row_atomic_multipassILj256ELj32ELj4ElidEEv20rocsparse_direction_T3_S2_PKS2_S4_NS_24const_host_device_scalarIT4_EEPKT2_S4_PKS6_SA_S4_SC_S7_SA_S4_SC_SA_PS2_PS6_PS8_21rocsparse_index_base_SG_SG_SG_bbb, .Lfunc_end197-_ZN9rocsparseL38bsrgemm_block_per_row_atomic_multipassILj256ELj32ELj4ElidEEv20rocsparse_direction_T3_S2_PKS2_S4_NS_24const_host_device_scalarIT4_EEPKT2_S4_PKS6_SA_S4_SC_S7_SA_S4_SC_SA_PS2_PS6_PS8_21rocsparse_index_base_SG_SG_SG_bbb
                                        ; -- End function
	.section	.AMDGPU.csdata,"",@progbits
; Kernel info:
; codeLenInByte = 3836
; NumSgprs: 66
; NumVgprs: 61
; ScratchSize: 0
; MemoryBound: 0
; FloatMode: 240
; IeeeMode: 1
; LDSByteSize: 6280 bytes/workgroup (compile time only)
; SGPRBlocks: 8
; VGPRBlocks: 7
; NumSGPRsForWavesPerEU: 66
; NumVGPRsForWavesPerEU: 61
; Occupancy: 16
; WaveLimiterHint : 1
; COMPUTE_PGM_RSRC2:SCRATCH_EN: 0
; COMPUTE_PGM_RSRC2:USER_SGPR: 15
; COMPUTE_PGM_RSRC2:TRAP_HANDLER: 0
; COMPUTE_PGM_RSRC2:TGID_X_EN: 1
; COMPUTE_PGM_RSRC2:TGID_Y_EN: 0
; COMPUTE_PGM_RSRC2:TGID_Z_EN: 0
; COMPUTE_PGM_RSRC2:TIDIG_COMP_CNT: 0
	.section	.text._ZN9rocsparseL38bsrgemm_block_per_row_atomic_multipassILj256ELj64ELj4ElidEEv20rocsparse_direction_T3_S2_PKS2_S4_NS_24const_host_device_scalarIT4_EEPKT2_S4_PKS6_SA_S4_SC_S7_SA_S4_SC_SA_PS2_PS6_PS8_21rocsparse_index_base_SG_SG_SG_bbb,"axG",@progbits,_ZN9rocsparseL38bsrgemm_block_per_row_atomic_multipassILj256ELj64ELj4ElidEEv20rocsparse_direction_T3_S2_PKS2_S4_NS_24const_host_device_scalarIT4_EEPKT2_S4_PKS6_SA_S4_SC_S7_SA_S4_SC_SA_PS2_PS6_PS8_21rocsparse_index_base_SG_SG_SG_bbb,comdat
	.globl	_ZN9rocsparseL38bsrgemm_block_per_row_atomic_multipassILj256ELj64ELj4ElidEEv20rocsparse_direction_T3_S2_PKS2_S4_NS_24const_host_device_scalarIT4_EEPKT2_S4_PKS6_SA_S4_SC_S7_SA_S4_SC_SA_PS2_PS6_PS8_21rocsparse_index_base_SG_SG_SG_bbb ; -- Begin function _ZN9rocsparseL38bsrgemm_block_per_row_atomic_multipassILj256ELj64ELj4ElidEEv20rocsparse_direction_T3_S2_PKS2_S4_NS_24const_host_device_scalarIT4_EEPKT2_S4_PKS6_SA_S4_SC_S7_SA_S4_SC_SA_PS2_PS6_PS8_21rocsparse_index_base_SG_SG_SG_bbb
	.p2align	8
	.type	_ZN9rocsparseL38bsrgemm_block_per_row_atomic_multipassILj256ELj64ELj4ElidEEv20rocsparse_direction_T3_S2_PKS2_S4_NS_24const_host_device_scalarIT4_EEPKT2_S4_PKS6_SA_S4_SC_S7_SA_S4_SC_SA_PS2_PS6_PS8_21rocsparse_index_base_SG_SG_SG_bbb,@function
_ZN9rocsparseL38bsrgemm_block_per_row_atomic_multipassILj256ELj64ELj4ElidEEv20rocsparse_direction_T3_S2_PKS2_S4_NS_24const_host_device_scalarIT4_EEPKT2_S4_PKS6_SA_S4_SC_S7_SA_S4_SC_SA_PS2_PS6_PS8_21rocsparse_index_base_SG_SG_SG_bbb: ; @_ZN9rocsparseL38bsrgemm_block_per_row_atomic_multipassILj256ELj64ELj4ElidEEv20rocsparse_direction_T3_S2_PKS2_S4_NS_24const_host_device_scalarIT4_EEPKT2_S4_PKS6_SA_S4_SC_S7_SA_S4_SC_SA_PS2_PS6_PS8_21rocsparse_index_base_SG_SG_SG_bbb
; %bb.0:
	s_clause 0x3
	s_load_b32 s3, s[0:1], 0xa8
	s_load_b64 s[6:7], s[0:1], 0x20
	s_load_b128 s[28:31], s[0:1], 0x98
	s_load_b64 s[4:5], s[0:1], 0x58
	s_mov_b32 s2, s15
	s_waitcnt lgkmcnt(0)
	s_and_b32 s8, 1, s3
	s_bitcmp1_b32 s3, 16
	s_cselect_b32 s9, -1, 0
	s_cmp_eq_u32 s8, 1
	s_cselect_b32 s8, -1, 0
	s_delay_alu instid0(SALU_CYCLE_1)
	s_and_b32 s10, s8, exec_lo
	s_cselect_b32 s11, s7, 0
	s_cselect_b32 s10, s6, 0
	s_xor_b32 s12, s8, -1
	v_dual_mov_b32 v1, s10 :: v_dual_mov_b32 v2, s11
	s_or_b32 s12, s12, s9
	s_delay_alu instid0(SALU_CYCLE_1)
	s_and_b32 vcc_lo, exec_lo, s12
	s_cbranch_vccnz .LBB198_2
; %bb.1:
	v_dual_mov_b32 v1, s6 :: v_dual_mov_b32 v2, s7
	flat_load_b64 v[1:2], v[1:2]
.LBB198_2:
	s_load_b64 s[6:7], s[0:1], 0x18
	s_bitcmp1_b32 s3, 8
	s_cselect_b32 s33, -1, 0
	s_delay_alu instid0(SALU_CYCLE_1)
	s_and_b32 s3, s33, exec_lo
	s_cselect_b32 s11, s5, 0
	s_cselect_b32 s10, s4, 0
	s_xor_b32 s3, s33, -1
	v_dual_mov_b32 v3, s10 :: v_dual_mov_b32 v4, s11
	s_or_b32 s3, s3, s9
	s_delay_alu instid0(SALU_CYCLE_1)
	s_and_b32 vcc_lo, exec_lo, s3
	s_cbranch_vccnz .LBB198_4
; %bb.3:
	v_dual_mov_b32 v3, s4 :: v_dual_mov_b32 v4, s5
	flat_load_b64 v[3:4], v[3:4]
.LBB198_4:
	s_load_b64 s[4:5], s[0:1], 0x28
	s_waitcnt lgkmcnt(0)
	s_cmp_eq_u64 s[6:7], 0
	s_mov_b64 s[34:35], 0
	s_cbranch_scc1 .LBB198_6
; %bb.5:
	s_load_b64 s[10:11], s[0:1], 0x10
	s_waitcnt lgkmcnt(0)
	s_load_b32 s3, s[10:11], 0x0
	s_waitcnt lgkmcnt(0)
	s_add_i32 s2, s3, s2
	s_mov_b32 s3, 0
	s_delay_alu instid0(SALU_CYCLE_1) | instskip(NEXT) | instid1(SALU_CYCLE_1)
	s_lshl_b64 s[2:3], s[2:3], 2
	s_add_u32 s2, s6, s2
	s_addc_u32 s3, s7, s3
	s_load_b32 s2, s[2:3], 0x0
.LBB198_6:
	s_and_not1_b32 vcc_lo, exec_lo, s8
	s_cbranch_vccz .LBB198_9
; %bb.7:
	s_and_not1_b32 vcc_lo, exec_lo, s8
	s_mov_b64 s[44:45], 0
	s_cbranch_vccz .LBB198_10
.LBB198_8:
	s_load_b128 s[36:39], s[0:1], 0x0
	s_waitcnt lgkmcnt(0)
	s_cmp_lt_i32 s37, 1
	s_cbranch_scc0 .LBB198_11
	s_branch .LBB198_95
.LBB198_9:
	s_waitcnt lgkmcnt(0)
	s_ashr_i32 s3, s2, 31
	s_delay_alu instid0(SALU_CYCLE_1) | instskip(NEXT) | instid1(SALU_CYCLE_1)
	s_lshl_b64 s[6:7], s[2:3], 3
	s_add_u32 s6, s4, s6
	s_addc_u32 s7, s5, s7
	s_load_b64 s[6:7], s[6:7], 0x0
	s_waitcnt lgkmcnt(0)
	s_sub_u32 s34, s6, s28
	s_subb_u32 s35, s7, 0
	s_and_not1_b32 vcc_lo, exec_lo, s8
	s_mov_b64 s[44:45], 0
	s_cbranch_vccnz .LBB198_8
.LBB198_10:
	s_waitcnt lgkmcnt(0)
	s_ashr_i32 s3, s2, 31
	s_delay_alu instid0(SALU_CYCLE_1) | instskip(NEXT) | instid1(SALU_CYCLE_1)
	s_lshl_b64 s[6:7], s[2:3], 3
	s_add_u32 s4, s4, s6
	s_addc_u32 s5, s5, s7
	s_load_b64 s[4:5], s[4:5], 0x8
	s_waitcnt lgkmcnt(0)
	s_sub_u32 s44, s4, s28
	s_subb_u32 s45, s5, 0
	s_load_b128 s[36:39], s[0:1], 0x0
	s_waitcnt lgkmcnt(0)
	s_cmp_lt_i32 s37, 1
	s_cbranch_scc1 .LBB198_95
.LBB198_11:
	s_clause 0x4
	s_load_b256 s[12:19], s[0:1], 0x60
	s_load_b64 s[46:47], s[0:1], 0x90
	s_load_b128 s[40:43], s[0:1], 0x80
	s_load_b64 s[10:11], s[0:1], 0x50
	s_load_b256 s[20:27], s[0:1], 0x30
	s_ashr_i32 s3, s2, 31
	v_bfe_u32 v11, v0, 2, 2
	s_lshl_b64 s[4:5], s[2:3], 3
	v_dual_mov_b32 v5, 0 :: v_dual_and_b32 v10, 15, v0
	v_and_b32_e32 v30, 3, v0
	s_delay_alu instid0(VALU_DEP_3)
	v_mul_lo_u32 v6, v11, s38
	v_and_b32_e32 v19, 63, v0
	v_lshrrev_b32_e32 v29, 4, v0
	v_mov_b32_e32 v54, v5
	v_mov_b32_e32 v7, v5
	v_mul_lo_u32 v8, v30, s38
	v_max_i32_e32 v12, v30, v11
	v_dual_mov_b32 v9, v5 :: v_dual_lshlrev_b32 v20, 2, v19
	s_waitcnt lgkmcnt(0)
	s_add_u32 s2, s18, s4
	s_addc_u32 s3, s19, s5
	v_lshlrev_b64 v[6:7], 3, v[6:7]
	s_load_b64 s[6:7], s[2:3], 0x0
	v_lshlrev_b32_e32 v13, 3, v30
	v_cmp_gt_i32_e64 s2, s38, v12
	v_lshlrev_b64 v[8:9], 3, v[8:9]
	v_cmp_lt_i64_e64 s9, s[34:35], s[44:45]
	v_add_co_u32 v12, vcc_lo, s22, v6
	v_add_co_ci_u32_e32 v14, vcc_lo, s23, v7, vcc_lo
	s_delay_alu instid0(VALU_DEP_4) | instskip(NEXT) | instid1(VALU_DEP_3)
	v_add_co_u32 v15, vcc_lo, s42, v8
	v_add_co_u32 v33, s3, v12, v13
	s_delay_alu instid0(VALU_DEP_1) | instskip(SKIP_1) | instid1(VALU_DEP_1)
	v_add_co_ci_u32_e64 v34, s3, 0, v14, s3
	v_add_co_u32 v12, s3, s16, v8
	v_add_co_ci_u32_e64 v14, s3, s17, v9, s3
	v_sub_co_u32 v36, s3, v29, s31
	s_waitcnt lgkmcnt(0)
	s_sub_u32 s22, s6, s30
	s_subb_u32 s23, s7, 0
	v_lshlrev_b32_e32 v11, 3, v11
	v_sub_co_ci_u32_e64 v37, null, 0, 0, s3
	v_add_co_ci_u32_e32 v16, vcc_lo, s43, v9, vcc_lo
	s_delay_alu instid0(VALU_DEP_3)
	v_add_co_u32 v12, s3, v12, v11
	v_add_co_u32 v17, vcc_lo, s42, v6
	v_add_co_ci_u32_e64 v14, s3, 0, v14, s3
	v_add_co_u32 v6, s3, s16, v6
	v_add_co_ci_u32_e32 v18, vcc_lo, s43, v7, vcc_lo
	v_add_co_u32 v15, vcc_lo, v15, v11
	v_add_co_ci_u32_e64 v7, s3, s17, v7, s3
	v_add_co_ci_u32_e32 v16, vcc_lo, 0, v16, vcc_lo
	v_add_co_u32 v17, vcc_lo, v17, v13
	v_add_co_u32 v6, s3, v6, v13
	s_cmp_eq_u32 s36, 0
	v_add_co_ci_u32_e32 v18, vcc_lo, 0, v18, vcc_lo
	v_add_co_ci_u32_e64 v7, s3, 0, v7, s3
	s_cselect_b32 vcc_lo, -1, 0
	s_cmp_lg_u32 s36, 0
	v_dual_cndmask_b32 v49, v12, v6 :: v_dual_add_nc_u32 v44, 0x27c0, v20
	v_dual_mov_b32 v55, 64 :: v_dual_lshlrev_b32 v6, 7, v29
	v_dual_cndmask_b32 v46, v16, v18 :: v_dual_lshlrev_b32 v31, 3, v0
	v_add_co_u32 v21, s51, v19, -1
	s_cselect_b32 s36, -1, 0
	s_cmp_gt_i32 s38, 0
	v_dual_cndmask_b32 v47, v15, v17 :: v_dual_add_nc_u32 v42, 0x27f0, v20
	v_cndmask_b32_e32 v48, v14, v7, vcc_lo
	v_add_co_u32 v7, vcc_lo, s10, v8
	s_cselect_b32 s43, -1, 0
	s_add_u32 s18, s12, s4
	v_add_co_ci_u32_e32 v8, vcc_lo, s11, v9, vcc_lo
	s_movk_i32 s12, 0x7e0
	v_add_co_u32 v9, s10, s10, v13
	s_mov_b32 s49, 0
	s_addc_u32 s19, s13, s5
	s_and_b32 s52, s8, s9
	v_or3_b32 v50, v6, v11, 0x2000
	v_mov_b32_e32 v11, s22
	v_cmp_gt_u32_e64 s0, 64, v0
	v_cmp_eq_u32_e64 s1, 0, v0
	v_or_b32_e32 v32, 0x2000, v31
	v_dual_mov_b32 v6, v5 :: v_dual_and_b32 v35, 12, v0
	v_cmp_eq_u32_e64 s3, 15, v10
	v_or_b32_e32 v38, 0x2800, v20
	v_lshl_add_u32 v39, v21, 2, 0x2800
	v_lshl_or_b32 v40, v0, 2, 0x2800
	v_cmp_ne_u32_e64 s4, 0, v19
	v_cmp_lt_u32_e64 s5, 1, v19
	v_add_nc_u32_e32 v41, 0x27f8, v20
	v_cmp_lt_u32_e64 s6, 3, v19
	v_cmp_lt_u32_e64 s7, 7, v19
	v_add_nc_u32_e32 v43, 0x27e0, v20
	v_cmp_lt_u32_e64 s8, 15, v19
	v_cmp_lt_u32_e64 s9, 31, v19
	v_add_nc_u32_e32 v45, 0x2780, v20
	s_add_u32 s53, s24, 8
	v_or_b32_e32 v0, 0xffffff00, v0
	v_add_co_ci_u32_e64 v10, null, s11, 0, s10
	v_and_or_b32 v51, v31, s12, 0x2000
	v_lshl_or_b32 v52, v29, 2, 0x2800
	v_dual_mov_b32 v12, s23 :: v_dual_mov_b32 v53, 1
	s_mul_i32 s48, s38, s38
	s_addc_u32 s54, s25, 0
	s_mov_b32 s39, s49
	s_add_u32 s55, s40, -4
	s_mov_b32 s42, s29
	s_mov_b32 s50, s31
	s_addc_u32 s56, s41, -1
	s_lshl_b64 s[16:17], s[48:49], 3
	s_lshl_b64 s[22:23], s[38:39], 3
	s_branch .LBB198_13
.LBB198_12:                             ;   in Loop: Header=BB198_13 Depth=1
	s_set_inst_prefetch_distance 0x2
	s_or_b32 exec_lo, exec_lo, s10
	s_waitcnt_vscnt null, 0x0
	s_barrier
	buffer_gl0_inv
	ds_load_b32 v54, v5 offset:10496
	v_ashrrev_i32_e32 v13, 31, v14
	v_add_co_u32 v11, s10, v11, v14
	s_waitcnt lgkmcnt(0)
	s_barrier
	s_delay_alu instid0(VALU_DEP_2)
	v_add_co_ci_u32_e64 v12, s10, v12, v13, s10
	buffer_gl0_inv
	v_cmp_le_i32_e32 vcc_lo, s37, v54
	v_add_nc_u32_e32 v55, 64, v54
	s_cbranch_vccnz .LBB198_95
.LBB198_13:                             ; =>This Loop Header: Depth=1
                                        ;     Child Loop BB198_16 Depth 2
                                        ;     Child Loop BB198_22 Depth 2
                                        ;       Child Loop BB198_34 Depth 3
                                        ;         Child Loop BB198_43 Depth 4
                                        ;         Child Loop BB198_48 Depth 4
	;; [unrolled: 1-line block ×3, first 2 shown]
                                        ;     Child Loop BB198_61 Depth 2
                                        ;       Child Loop BB198_66 Depth 3
                                        ;     Child Loop BB198_71 Depth 2
                                        ;     Child Loop BB198_92 Depth 2
	s_and_saveexec_b32 s10, s0
	s_cbranch_execz .LBB198_15
; %bb.14:                               ;   in Loop: Header=BB198_13 Depth=1
	ds_store_b32 v40, v5
.LBB198_15:                             ;   in Loop: Header=BB198_13 Depth=1
	s_or_b32 exec_lo, exec_lo, s10
	v_dual_mov_b32 v13, v31 :: v_dual_mov_b32 v14, v0
	s_mov_b32 s10, 0
.LBB198_16:                             ;   Parent Loop BB198_13 Depth=1
                                        ; =>  This Inner Loop Header: Depth=2
	s_delay_alu instid0(VALU_DEP_1) | instskip(SKIP_4) | instid1(SALU_CYCLE_1)
	v_add_nc_u32_e32 v14, 0x100, v14
	ds_store_b64 v13, v[5:6]
	v_add_nc_u32_e32 v13, 0x800, v13
	v_cmp_lt_u32_e32 vcc_lo, 0x2ff, v14
	s_or_b32 s10, vcc_lo, s10
	s_and_not1_b32 exec_lo, exec_lo, s10
	s_cbranch_execnz .LBB198_16
; %bb.17:                               ;   in Loop: Header=BB198_13 Depth=1
	s_or_b32 exec_lo, exec_lo, s10
	s_and_saveexec_b32 s10, s1
	s_cbranch_execz .LBB198_19
; %bb.18:                               ;   in Loop: Header=BB198_13 Depth=1
	v_mov_b32_e32 v13, s37
	ds_store_b32 v5, v13 offset:10496
.LBB198_19:                             ;   in Loop: Header=BB198_13 Depth=1
	s_or_b32 exec_lo, exec_lo, s10
	v_mov_b32_e32 v56, s37
	s_and_not1_b32 vcc_lo, exec_lo, s52
	s_waitcnt vmcnt(0) lgkmcnt(0)
	s_barrier
	buffer_gl0_inv
	s_cbranch_vccnz .LBB198_56
; %bb.20:                               ;   in Loop: Header=BB198_13 Depth=1
	v_cmp_ne_u32_e64 s10, 0, v54
	v_mov_b32_e32 v56, s37
	s_mov_b64 s[40:41], s[34:35]
	s_branch .LBB198_22
.LBB198_21:                             ;   in Loop: Header=BB198_22 Depth=2
	s_or_b32 exec_lo, exec_lo, s12
	s_add_u32 s40, s40, 16
	s_addc_u32 s41, s41, 0
	s_delay_alu instid0(SALU_CYCLE_1) | instskip(NEXT) | instid1(VALU_DEP_1)
	v_cmp_lt_i64_e64 s11, s[40:41], s[44:45]
	s_and_b32 vcc_lo, exec_lo, s11
	s_cbranch_vccz .LBB198_56
.LBB198_22:                             ;   Parent Loop BB198_13 Depth=1
                                        ; =>  This Loop Header: Depth=2
                                        ;       Child Loop BB198_34 Depth 3
                                        ;         Child Loop BB198_43 Depth 4
                                        ;         Child Loop BB198_48 Depth 4
	;; [unrolled: 1-line block ×3, first 2 shown]
	v_add_co_u32 v13, s11, s40, v29
	s_delay_alu instid0(VALU_DEP_1) | instskip(NEXT) | instid1(VALU_DEP_1)
	v_add_co_ci_u32_e64 v14, null, s41, 0, s11
	s_waitcnt_vscnt null, 0x0
	s_barrier
	buffer_gl0_inv
	v_cmp_gt_i64_e64 s11, s[44:45], v[13:14]
	s_delay_alu instid0(VALU_DEP_1)
	s_and_saveexec_b32 s12, s11
	s_cbranch_execz .LBB198_26
; %bb.23:                               ;   in Loop: Header=BB198_22 Depth=2
	v_mov_b32_e32 v15, 0
	v_mov_b32_e32 v16, 0
	s_and_saveexec_b32 s13, s2
	s_cbranch_execz .LBB198_25
; %bb.24:                               ;   in Loop: Header=BB198_22 Depth=2
	v_mad_u64_u32 v[15:16], null, v13, s48, 0
	s_delay_alu instid0(VALU_DEP_1) | instskip(NEXT) | instid1(VALU_DEP_1)
	v_mad_u64_u32 v[17:18], null, v14, s48, v[16:17]
	v_mov_b32_e32 v16, v17
	s_delay_alu instid0(VALU_DEP_1) | instskip(NEXT) | instid1(VALU_DEP_1)
	v_lshlrev_b64 v[15:16], 3, v[15:16]
	v_add_co_u32 v15, vcc_lo, v33, v15
	s_delay_alu instid0(VALU_DEP_2)
	v_add_co_ci_u32_e32 v16, vcc_lo, v34, v16, vcc_lo
	global_load_b64 v[15:16], v[15:16], off
.LBB198_25:                             ;   in Loop: Header=BB198_22 Depth=2
	s_or_b32 exec_lo, exec_lo, s13
	s_waitcnt vmcnt(0)
	ds_store_b64 v32, v[15:16]
.LBB198_26:                             ;   in Loop: Header=BB198_22 Depth=2
	s_or_b32 exec_lo, exec_lo, s12
	v_mov_b32_e32 v15, 0
	v_mov_b32_e32 v16, 0
	s_waitcnt lgkmcnt(0)
	s_barrier
	buffer_gl0_inv
	s_and_saveexec_b32 s13, s11
	s_cbranch_execz .LBB198_53
; %bb.27:                               ;   in Loop: Header=BB198_22 Depth=2
	v_lshlrev_b64 v[15:16], 2, v[13:14]
	s_delay_alu instid0(VALU_DEP_1) | instskip(NEXT) | instid1(VALU_DEP_2)
	v_add_co_u32 v15, vcc_lo, s20, v15
	v_add_co_ci_u32_e32 v16, vcc_lo, s21, v16, vcc_lo
	s_and_b32 vcc_lo, exec_lo, s10
	global_load_b32 v15, v[15:16], off
	s_waitcnt vmcnt(0)
	v_subrev_nc_u32_e32 v17, s28, v15
	s_delay_alu instid0(VALU_DEP_1)
	v_ashrrev_i32_e32 v18, 31, v17
	s_cbranch_vccz .LBB198_55
; %bb.28:                               ;   in Loop: Header=BB198_22 Depth=2
	v_lshlrev_b64 v[15:16], 3, v[13:14]
	s_delay_alu instid0(VALU_DEP_1) | instskip(NEXT) | instid1(VALU_DEP_2)
	v_add_co_u32 v15, vcc_lo, s46, v15
	v_add_co_ci_u32_e32 v16, vcc_lo, s47, v16, vcc_lo
	global_load_b64 v[15:16], v[15:16], off
	s_cbranch_execnz .LBB198_30
.LBB198_29:                             ;   in Loop: Header=BB198_22 Depth=2
	s_waitcnt vmcnt(0)
	s_delay_alu instid0(VALU_DEP_1) | instskip(NEXT) | instid1(VALU_DEP_1)
	v_lshlrev_b64 v[15:16], 3, v[17:18]
	v_add_co_u32 v15, vcc_lo, s24, v15
	s_delay_alu instid0(VALU_DEP_2)
	v_add_co_ci_u32_e32 v16, vcc_lo, s25, v16, vcc_lo
	global_load_b64 v[15:16], v[15:16], off
	s_waitcnt vmcnt(0)
	v_sub_co_u32 v15, vcc_lo, v15, s42
	v_subrev_co_ci_u32_e32 v16, vcc_lo, 0, v16, vcc_lo
.LBB198_30:                             ;   in Loop: Header=BB198_22 Depth=2
	v_lshlrev_b64 v[17:18], 3, v[17:18]
	s_mov_b32 s39, exec_lo
	s_delay_alu instid0(VALU_DEP_1) | instskip(NEXT) | instid1(VALU_DEP_2)
	v_add_co_u32 v17, vcc_lo, s53, v17
	v_add_co_ci_u32_e32 v18, vcc_lo, s54, v18, vcc_lo
	global_load_b64 v[17:18], v[17:18], off
	s_waitcnt vmcnt(0)
	v_sub_co_u32 v17, vcc_lo, v17, s42
	v_subrev_co_ci_u32_e32 v18, vcc_lo, 0, v18, vcc_lo
	s_delay_alu instid0(VALU_DEP_1)
	v_cmpx_lt_i64_e64 v[15:16], v[17:18]
	s_cbranch_execz .LBB198_52
; %bb.31:                               ;   in Loop: Header=BB198_22 Depth=2
	v_mad_u64_u32 v[19:20], null, s16, v15, v[7:8]
	v_mul_lo_u32 v23, s16, v16
	v_mul_lo_u32 v24, s17, v15
	v_mad_u64_u32 v[21:22], null, s16, v15, v[9:10]
	s_mov_b32 s49, 0
	s_delay_alu instid0(VALU_DEP_2) | instskip(NEXT) | instid1(VALU_DEP_2)
	v_add3_u32 v20, v24, v20, v23
	v_add3_u32 v22, v24, v22, v23
	v_dual_mov_b32 v24, v16 :: v_dual_mov_b32 v23, v15
	s_branch .LBB198_34
.LBB198_32:                             ;   in Loop: Header=BB198_34 Depth=3
	s_or_b32 exec_lo, exec_lo, s59
	s_delay_alu instid0(SALU_CYCLE_1)
	s_or_b32 s57, s57, exec_lo
.LBB198_33:                             ;   in Loop: Header=BB198_34 Depth=3
	s_or_b32 exec_lo, exec_lo, s58
	v_add_co_u32 v15, vcc_lo, v15, 1
	v_add_co_ci_u32_e32 v16, vcc_lo, 0, v16, vcc_lo
	v_add_co_u32 v19, s12, v19, s16
	s_xor_b32 s57, s57, -1
	s_delay_alu instid0(VALU_DEP_2)
	v_cmp_ge_i64_e32 vcc_lo, v[15:16], v[17:18]
	v_add_co_ci_u32_e64 v20, s12, s17, v20, s12
	s_or_b32 s12, s57, vcc_lo
	v_add_co_u32 v21, vcc_lo, v21, s16
	v_add_co_ci_u32_e32 v22, vcc_lo, s17, v22, vcc_lo
	s_and_b32 s12, exec_lo, s12
	s_delay_alu instid0(SALU_CYCLE_1) | instskip(NEXT) | instid1(SALU_CYCLE_1)
	s_or_b32 s49, s12, s49
	s_and_not1_b32 exec_lo, exec_lo, s49
	s_cbranch_execz .LBB198_51
.LBB198_34:                             ;   Parent Loop BB198_13 Depth=1
                                        ;     Parent Loop BB198_22 Depth=2
                                        ; =>    This Loop Header: Depth=3
                                        ;         Child Loop BB198_43 Depth 4
                                        ;         Child Loop BB198_48 Depth 4
	;; [unrolled: 1-line block ×3, first 2 shown]
	v_lshlrev_b64 v[25:26], 2, v[15:16]
                                        ; implicit-def: $sgpr57
	s_delay_alu instid0(VALU_DEP_1) | instskip(NEXT) | instid1(VALU_DEP_2)
	v_add_co_u32 v25, vcc_lo, s26, v25
	v_add_co_ci_u32_e32 v26, vcc_lo, s27, v26, vcc_lo
	global_load_b32 v25, v[25:26], off
	s_waitcnt vmcnt(0)
	v_subrev_nc_u32_e32 v25, s29, v25
	s_delay_alu instid0(VALU_DEP_1) | instskip(SKIP_1) | instid1(VALU_DEP_2)
	v_cmp_lt_i32_e64 s12, v25, v54
	v_cmp_ge_i32_e32 vcc_lo, v25, v55
	s_or_b32 s12, s12, vcc_lo
	s_delay_alu instid0(SALU_CYCLE_1) | instskip(NEXT) | instid1(SALU_CYCLE_1)
	s_and_saveexec_b32 s58, s12
	s_xor_b32 s12, exec_lo, s58
	s_cbranch_execz .LBB198_38
; %bb.35:                               ;   in Loop: Header=BB198_34 Depth=3
	s_mov_b32 s57, -1
	s_and_saveexec_b32 s58, vcc_lo
; %bb.36:                               ;   in Loop: Header=BB198_34 Depth=3
	v_min_i32_e32 v56, v25, v56
	v_dual_mov_b32 v24, v16 :: v_dual_mov_b32 v23, v15
	s_xor_b32 s57, exec_lo, -1
; %bb.37:                               ;   in Loop: Header=BB198_34 Depth=3
	s_or_b32 exec_lo, exec_lo, s58
	s_delay_alu instid0(SALU_CYCLE_1)
	s_and_b32 s57, s57, exec_lo
                                        ; implicit-def: $vgpr25
.LBB198_38:                             ;   in Loop: Header=BB198_34 Depth=3
	s_and_not1_saveexec_b32 s58, s12
	s_cbranch_execz .LBB198_33
; %bb.39:                               ;   in Loop: Header=BB198_34 Depth=3
	v_sub_nc_u32_e32 v57, v25, v54
	s_delay_alu instid0(VALU_DEP_1)
	v_lshlrev_b32_e32 v25, 2, v57
	ds_store_b32 v25, v53 offset:10240
	s_and_saveexec_b32 s59, s2
	s_cbranch_execz .LBB198_32
; %bb.40:                               ;   in Loop: Header=BB198_34 Depth=3
	v_cndmask_b32_e64 v25, 0, 1, s43
	s_and_not1_b32 vcc_lo, exec_lo, s36
	s_delay_alu instid0(VALU_DEP_1)
	v_cmp_ne_u32_e64 s12, 1, v25
	s_cbranch_vccnz .LBB198_45
; %bb.41:                               ;   in Loop: Header=BB198_34 Depth=3
	v_mov_b32_e32 v25, 0
	v_mov_b32_e32 v26, 0
	s_delay_alu instid0(VALU_DEP_3)
	s_and_b32 vcc_lo, exec_lo, s12
	s_cbranch_vccnz .LBB198_44
; %bb.42:                               ;   in Loop: Header=BB198_34 Depth=3
	v_dual_mov_b32 v28, v20 :: v_dual_mov_b32 v27, v19
	v_mov_b32_e32 v58, v50
	s_mov_b32 s12, s38
.LBB198_43:                             ;   Parent Loop BB198_13 Depth=1
                                        ;     Parent Loop BB198_22 Depth=2
                                        ;       Parent Loop BB198_34 Depth=3
                                        ; =>      This Inner Loop Header: Depth=4
	global_load_b64 v[59:60], v[27:28], off
	ds_load_b64 v[61:62], v58
	v_add_co_u32 v27, vcc_lo, v27, 8
	v_add_nc_u32_e32 v58, 32, v58
	v_add_co_ci_u32_e32 v28, vcc_lo, 0, v28, vcc_lo
	s_add_i32 s12, s12, -1
	s_delay_alu instid0(SALU_CYCLE_1)
	s_cmp_lg_u32 s12, 0
	s_waitcnt vmcnt(0) lgkmcnt(0)
	v_fma_f64 v[25:26], v[61:62], v[59:60], v[25:26]
	s_cbranch_scc1 .LBB198_43
.LBB198_44:                             ;   in Loop: Header=BB198_34 Depth=3
	s_cbranch_execz .LBB198_46
	s_branch .LBB198_49
.LBB198_45:                             ;   in Loop: Header=BB198_34 Depth=3
                                        ; implicit-def: $vgpr25_vgpr26
.LBB198_46:                             ;   in Loop: Header=BB198_34 Depth=3
	v_mov_b32_e32 v25, 0
	v_mov_b32_e32 v26, 0
	s_and_not1_b32 vcc_lo, exec_lo, s43
	s_cbranch_vccnz .LBB198_49
; %bb.47:                               ;   in Loop: Header=BB198_34 Depth=3
	v_mov_b32_e32 v28, v22
	v_dual_mov_b32 v58, v51 :: v_dual_mov_b32 v27, v21
	s_mov_b32 s12, s38
.LBB198_48:                             ;   Parent Loop BB198_13 Depth=1
                                        ;     Parent Loop BB198_22 Depth=2
                                        ;       Parent Loop BB198_34 Depth=3
                                        ; =>      This Inner Loop Header: Depth=4
	global_load_b64 v[59:60], v[27:28], off
	ds_load_b64 v[61:62], v58
	v_add_co_u32 v27, vcc_lo, v27, s22
	v_add_co_ci_u32_e32 v28, vcc_lo, s23, v28, vcc_lo
	v_add_nc_u32_e32 v58, 8, v58
	s_add_i32 s12, s12, -1
	s_delay_alu instid0(SALU_CYCLE_1)
	s_cmp_eq_u32 s12, 0
	s_waitcnt vmcnt(0) lgkmcnt(0)
	v_fma_f64 v[25:26], v[61:62], v[59:60], v[25:26]
	s_cbranch_scc0 .LBB198_48
.LBB198_49:                             ;   in Loop: Header=BB198_34 Depth=3
	s_delay_alu instid0(VALU_DEP_1) | instskip(SKIP_2) | instid1(VALU_DEP_1)
	v_mul_f64 v[25:26], v[1:2], v[25:26]
	v_lshlrev_b32_e32 v27, 4, v57
	s_mov_b32 s12, 0
	v_or3_b32 v27, v27, v35, v30
	s_delay_alu instid0(VALU_DEP_1)
	v_lshlrev_b32_e32 v57, 3, v27
	ds_load_b64 v[27:28], v57
.LBB198_50:                             ;   Parent Loop BB198_13 Depth=1
                                        ;     Parent Loop BB198_22 Depth=2
                                        ;       Parent Loop BB198_34 Depth=3
                                        ; =>      This Inner Loop Header: Depth=4
	s_waitcnt lgkmcnt(0)
	v_add_f64 v[58:59], v[27:28], v[25:26]
	ds_cmpstore_rtn_b64 v[58:59], v57, v[58:59], v[27:28]
	s_waitcnt lgkmcnt(0)
	v_cmp_eq_u64_e32 vcc_lo, v[58:59], v[27:28]
	v_dual_mov_b32 v27, v58 :: v_dual_mov_b32 v28, v59
	s_or_b32 s12, vcc_lo, s12
	s_delay_alu instid0(SALU_CYCLE_1)
	s_and_not1_b32 exec_lo, exec_lo, s12
	s_cbranch_execnz .LBB198_50
	s_branch .LBB198_32
.LBB198_51:                             ;   in Loop: Header=BB198_22 Depth=2
	s_or_b32 exec_lo, exec_lo, s49
	v_dual_mov_b32 v15, v23 :: v_dual_mov_b32 v16, v24
.LBB198_52:                             ;   in Loop: Header=BB198_22 Depth=2
	s_or_b32 exec_lo, exec_lo, s39
.LBB198_53:                             ;   in Loop: Header=BB198_22 Depth=2
	s_delay_alu instid0(SALU_CYCLE_1)
	s_or_b32 exec_lo, exec_lo, s13
	s_waitcnt lgkmcnt(0)
	s_barrier
	buffer_gl0_inv
	s_and_saveexec_b32 s12, s11
	s_cbranch_execz .LBB198_21
; %bb.54:                               ;   in Loop: Header=BB198_22 Depth=2
	v_lshlrev_b64 v[13:14], 3, v[13:14]
	s_delay_alu instid0(VALU_DEP_1) | instskip(NEXT) | instid1(VALU_DEP_2)
	v_add_co_u32 v13, vcc_lo, s46, v13
	v_add_co_ci_u32_e32 v14, vcc_lo, s47, v14, vcc_lo
	global_store_b64 v[13:14], v[15:16], off
	s_branch .LBB198_21
.LBB198_55:                             ;   in Loop: Header=BB198_22 Depth=2
                                        ; implicit-def: $vgpr15_vgpr16
	s_branch .LBB198_29
.LBB198_56:                             ;   in Loop: Header=BB198_13 Depth=1
	s_and_not1_b32 vcc_lo, exec_lo, s33
	s_cbranch_vccnz .LBB198_69
; %bb.57:                               ;   in Loop: Header=BB198_13 Depth=1
	s_load_b128 s[60:63], s[18:19], 0x0
	s_mov_b32 s39, exec_lo
	s_waitcnt lgkmcnt(0)
	v_add_co_u32 v13, vcc_lo, s60, v36
	v_add_co_ci_u32_e32 v14, vcc_lo, s61, v37, vcc_lo
	s_sub_u32 s12, s62, s50
	s_subb_u32 s13, s63, 0
	s_delay_alu instid0(VALU_DEP_1) | instid1(SALU_CYCLE_1)
	v_cmpx_gt_i64_e64 s[12:13], v[13:14]
	s_cbranch_execz .LBB198_68
; %bb.58:                               ;   in Loop: Header=BB198_13 Depth=1
	s_mov_b32 s40, 0
	s_branch .LBB198_61
.LBB198_59:                             ;   in Loop: Header=BB198_61 Depth=2
	s_or_b32 exec_lo, exec_lo, s41
	s_delay_alu instid0(SALU_CYCLE_1)
	s_or_b32 s10, s10, exec_lo
.LBB198_60:                             ;   in Loop: Header=BB198_61 Depth=2
	s_or_b32 exec_lo, exec_lo, s11
	v_add_co_u32 v13, vcc_lo, v13, 16
	v_add_co_ci_u32_e32 v14, vcc_lo, 0, v14, vcc_lo
	s_xor_b32 s10, s10, -1
	s_delay_alu instid0(VALU_DEP_1) | instskip(SKIP_1) | instid1(SALU_CYCLE_1)
	v_cmp_le_i64_e32 vcc_lo, s[12:13], v[13:14]
	s_or_b32 s10, s10, vcc_lo
	s_and_b32 s10, exec_lo, s10
	s_delay_alu instid0(SALU_CYCLE_1) | instskip(NEXT) | instid1(SALU_CYCLE_1)
	s_or_b32 s40, s10, s40
	s_and_not1_b32 exec_lo, exec_lo, s40
	s_cbranch_execz .LBB198_67
.LBB198_61:                             ;   Parent Loop BB198_13 Depth=1
                                        ; =>  This Loop Header: Depth=2
                                        ;       Child Loop BB198_66 Depth 3
	v_lshlrev_b64 v[15:16], 2, v[13:14]
	s_delay_alu instid0(VALU_DEP_1) | instskip(NEXT) | instid1(VALU_DEP_2)
	v_add_co_u32 v15, vcc_lo, s14, v15
	v_add_co_ci_u32_e32 v16, vcc_lo, s15, v16, vcc_lo
	global_load_b32 v15, v[15:16], off
	s_waitcnt vmcnt(0)
	v_subrev_nc_u32_e32 v15, s31, v15
	s_delay_alu instid0(VALU_DEP_1) | instskip(SKIP_2) | instid1(VALU_DEP_2)
	v_cmp_lt_i32_e64 s10, v15, v54
	v_cmp_ge_i32_e64 s11, v15, v55
	v_cmp_lt_i32_e32 vcc_lo, v15, v55
	s_or_b32 s11, s10, s11
                                        ; implicit-def: $sgpr10
	s_delay_alu instid0(SALU_CYCLE_1) | instskip(NEXT) | instid1(SALU_CYCLE_1)
	s_and_saveexec_b32 s41, s11
	s_xor_b32 s11, exec_lo, s41
; %bb.62:                               ;   in Loop: Header=BB198_61 Depth=2
	v_min_i32_e32 v15, v15, v56
	s_and_b32 s10, vcc_lo, exec_lo
	s_delay_alu instid0(VALU_DEP_1)
	v_cndmask_b32_e32 v56, v15, v56, vcc_lo
                                        ; implicit-def: $vgpr15
; %bb.63:                               ;   in Loop: Header=BB198_61 Depth=2
	s_and_not1_saveexec_b32 s11, s11
	s_cbranch_execz .LBB198_60
; %bb.64:                               ;   in Loop: Header=BB198_61 Depth=2
	v_sub_nc_u32_e32 v17, v15, v54
	s_delay_alu instid0(VALU_DEP_1)
	v_lshlrev_b32_e32 v15, 2, v17
	ds_store_b32 v15, v53 offset:10240
	s_and_saveexec_b32 s41, s2
	s_cbranch_execz .LBB198_59
; %bb.65:                               ;   in Loop: Header=BB198_61 Depth=2
	v_mad_u64_u32 v[15:16], null, v13, s48, 0
	s_mov_b32 s49, 0
	s_delay_alu instid0(VALU_DEP_1) | instskip(SKIP_1) | instid1(VALU_DEP_1)
	v_mad_u64_u32 v[18:19], null, v14, s48, v[16:17]
	v_lshlrev_b32_e32 v17, 4, v17
	v_or3_b32 v17, v17, v35, v30
	s_delay_alu instid0(VALU_DEP_1) | instskip(NEXT) | instid1(VALU_DEP_1)
	v_dual_mov_b32 v16, v18 :: v_dual_lshlrev_b32 v19, 3, v17
	v_lshlrev_b64 v[15:16], 3, v[15:16]
	ds_load_b64 v[17:18], v19
	v_add_co_u32 v15, vcc_lo, v49, v15
	v_add_co_ci_u32_e32 v16, vcc_lo, v48, v16, vcc_lo
	global_load_b64 v[15:16], v[15:16], off
	s_waitcnt vmcnt(0)
	v_mul_f64 v[15:16], v[3:4], v[15:16]
.LBB198_66:                             ;   Parent Loop BB198_13 Depth=1
                                        ;     Parent Loop BB198_61 Depth=2
                                        ; =>    This Inner Loop Header: Depth=3
	s_waitcnt lgkmcnt(0)
	s_delay_alu instid0(VALU_DEP_1)
	v_add_f64 v[20:21], v[17:18], v[15:16]
	ds_cmpstore_rtn_b64 v[20:21], v19, v[20:21], v[17:18]
	s_waitcnt lgkmcnt(0)
	v_cmp_eq_u64_e32 vcc_lo, v[20:21], v[17:18]
	v_dual_mov_b32 v17, v20 :: v_dual_mov_b32 v18, v21
	s_or_b32 s49, vcc_lo, s49
	s_delay_alu instid0(SALU_CYCLE_1)
	s_and_not1_b32 exec_lo, exec_lo, s49
	s_cbranch_execnz .LBB198_66
	s_branch .LBB198_59
.LBB198_67:                             ;   in Loop: Header=BB198_13 Depth=1
	s_or_b32 exec_lo, exec_lo, s40
.LBB198_68:                             ;   in Loop: Header=BB198_13 Depth=1
	s_delay_alu instid0(SALU_CYCLE_1)
	s_or_b32 exec_lo, exec_lo, s39
.LBB198_69:                             ;   in Loop: Header=BB198_13 Depth=1
	s_and_saveexec_b32 s10, s3
	s_cbranch_execz .LBB198_74
; %bb.70:                               ;   in Loop: Header=BB198_13 Depth=1
	s_mov_b32 s12, exec_lo
	s_brev_b32 s11, -2
.LBB198_71:                             ;   Parent Loop BB198_13 Depth=1
                                        ; =>  This Inner Loop Header: Depth=2
	s_ctz_i32_b32 s13, s12
	s_delay_alu instid0(SALU_CYCLE_1) | instskip(SKIP_1) | instid1(SALU_CYCLE_1)
	v_readlane_b32 s39, v56, s13
	s_lshl_b32 s13, 1, s13
	s_and_not1_b32 s12, s12, s13
	s_delay_alu instid0(VALU_DEP_1)
	s_min_i32 s11, s11, s39
	s_cmp_lg_u32 s12, 0
	s_cbranch_scc1 .LBB198_71
; %bb.72:                               ;   in Loop: Header=BB198_13 Depth=1
	v_mbcnt_lo_u32_b32 v13, exec_lo, 0
	s_mov_b32 s12, exec_lo
	s_delay_alu instid0(VALU_DEP_1)
	v_cmpx_eq_u32_e32 0, v13
	s_xor_b32 s12, exec_lo, s12
	s_cbranch_execz .LBB198_74
; %bb.73:                               ;   in Loop: Header=BB198_13 Depth=1
	v_mov_b32_e32 v13, s11
	ds_min_i32 v5, v13 offset:10496
.LBB198_74:                             ;   in Loop: Header=BB198_13 Depth=1
	s_or_b32 exec_lo, exec_lo, s10
	s_waitcnt lgkmcnt(0)
	s_waitcnt_vscnt null, 0x0
	s_barrier
	buffer_gl0_inv
	ds_load_b32 v13, v38
	s_waitcnt lgkmcnt(0)
	s_barrier
	buffer_gl0_inv
	s_and_saveexec_b32 s10, s4
	s_cbranch_execz .LBB198_76
; %bb.75:                               ;   in Loop: Header=BB198_13 Depth=1
	ds_load_b32 v14, v39
	s_waitcnt lgkmcnt(0)
	v_add_nc_u32_e32 v13, v14, v13
.LBB198_76:                             ;   in Loop: Header=BB198_13 Depth=1
	s_or_b32 exec_lo, exec_lo, s10
	s_barrier
	buffer_gl0_inv
	ds_store_b32 v38, v13
	s_waitcnt lgkmcnt(0)
	s_barrier
	buffer_gl0_inv
	s_and_saveexec_b32 s10, s5
	s_cbranch_execz .LBB198_78
; %bb.77:                               ;   in Loop: Header=BB198_13 Depth=1
	ds_load_b32 v14, v41
	s_waitcnt lgkmcnt(0)
	v_add_nc_u32_e32 v13, v14, v13
.LBB198_78:                             ;   in Loop: Header=BB198_13 Depth=1
	s_or_b32 exec_lo, exec_lo, s10
	s_barrier
	buffer_gl0_inv
	ds_store_b32 v38, v13
	;; [unrolled: 14-line block ×6, first 2 shown]
	s_waitcnt lgkmcnt(0)
	s_barrier
	buffer_gl0_inv
	ds_load_b32 v14, v5 offset:10492
	v_mov_b32_e32 v15, 0
	s_and_saveexec_b32 s10, s51
	s_cbranch_execz .LBB198_88
; %bb.87:                               ;   in Loop: Header=BB198_13 Depth=1
	ds_load_b32 v15, v39
.LBB198_88:                             ;   in Loop: Header=BB198_13 Depth=1
	s_or_b32 exec_lo, exec_lo, s10
	s_waitcnt lgkmcnt(0)
	v_cmp_eq_u32_e32 vcc_lo, v13, v15
	s_barrier
	buffer_gl0_inv
	s_and_b32 s11, s51, vcc_lo
	s_delay_alu instid0(SALU_CYCLE_1)
	s_and_saveexec_b32 s10, s11
	s_cbranch_execz .LBB198_90
; %bb.89:                               ;   in Loop: Header=BB198_13 Depth=1
	ds_store_b32 v38, v5
.LBB198_90:                             ;   in Loop: Header=BB198_13 Depth=1
	s_or_b32 exec_lo, exec_lo, s10
	v_add_co_u32 v13, vcc_lo, v11, -1
	v_add_co_ci_u32_e32 v15, vcc_lo, -1, v12, vcc_lo
	v_dual_mov_b32 v17, v52 :: v_dual_add_nc_u32 v16, s30, v54
	v_dual_mov_b32 v18, v31 :: v_dual_mov_b32 v19, v29
	s_mov_b32 s10, 0
	s_waitcnt lgkmcnt(0)
	s_barrier
	buffer_gl0_inv
	s_set_inst_prefetch_distance 0x1
	s_branch .LBB198_92
	.p2align	6
.LBB198_91:                             ;   in Loop: Header=BB198_92 Depth=2
	s_or_b32 exec_lo, exec_lo, s11
	v_add_nc_u32_e32 v20, 16, v19
	v_cmp_lt_u32_e32 vcc_lo, 47, v19
	v_add_nc_u32_e32 v18, 0x800, v18
	v_add_nc_u32_e32 v17, 64, v17
	s_delay_alu instid0(VALU_DEP_4) | instskip(SKIP_1) | instid1(SALU_CYCLE_1)
	v_mov_b32_e32 v19, v20
	s_or_b32 s10, vcc_lo, s10
	s_and_not1_b32 exec_lo, exec_lo, s10
	s_cbranch_execz .LBB198_12
.LBB198_92:                             ;   Parent Loop BB198_13 Depth=1
                                        ; =>  This Inner Loop Header: Depth=2
	ds_load_b32 v20, v17
	s_mov_b32 s11, exec_lo
	s_waitcnt lgkmcnt(0)
	v_cmpx_ne_u32_e32 0, v20
	s_cbranch_execz .LBB198_91
; %bb.93:                               ;   in Loop: Header=BB198_92 Depth=2
	v_ashrrev_i32_e32 v21, 31, v20
	v_add_co_u32 v22, vcc_lo, v11, v20
	v_add_nc_u32_e32 v24, v16, v19
	s_delay_alu instid0(VALU_DEP_3) | instskip(NEXT) | instid1(VALU_DEP_1)
	v_add_co_ci_u32_e32 v23, vcc_lo, v12, v21, vcc_lo
	v_lshlrev_b64 v[22:23], 2, v[22:23]
	s_delay_alu instid0(VALU_DEP_1) | instskip(NEXT) | instid1(VALU_DEP_2)
	v_add_co_u32 v22, vcc_lo, s55, v22
	v_add_co_ci_u32_e32 v23, vcc_lo, s56, v23, vcc_lo
	global_store_b32 v[22:23], v24, off
	s_and_b32 exec_lo, exec_lo, s2
	s_cbranch_execz .LBB198_91
; %bb.94:                               ;   in Loop: Header=BB198_92 Depth=2
	v_add_co_u32 v22, vcc_lo, v13, v20
	v_add_co_ci_u32_e32 v24, vcc_lo, v15, v21, vcc_lo
	s_delay_alu instid0(VALU_DEP_2) | instskip(NEXT) | instid1(VALU_DEP_1)
	v_mad_u64_u32 v[20:21], null, v22, s48, 0
	v_mad_u64_u32 v[22:23], null, v24, s48, v[21:22]
	ds_load_b64 v[23:24], v18
	v_mov_b32_e32 v21, v22
	s_delay_alu instid0(VALU_DEP_1) | instskip(NEXT) | instid1(VALU_DEP_1)
	v_lshlrev_b64 v[20:21], 3, v[20:21]
	v_add_co_u32 v20, vcc_lo, v47, v20
	s_delay_alu instid0(VALU_DEP_2)
	v_add_co_ci_u32_e32 v21, vcc_lo, v46, v21, vcc_lo
	s_waitcnt lgkmcnt(0)
	global_store_b64 v[20:21], v[23:24], off
	s_branch .LBB198_91
.LBB198_95:
	s_endpgm
	.section	.rodata,"a",@progbits
	.p2align	6, 0x0
	.amdhsa_kernel _ZN9rocsparseL38bsrgemm_block_per_row_atomic_multipassILj256ELj64ELj4ElidEEv20rocsparse_direction_T3_S2_PKS2_S4_NS_24const_host_device_scalarIT4_EEPKT2_S4_PKS6_SA_S4_SC_S7_SA_S4_SC_SA_PS2_PS6_PS8_21rocsparse_index_base_SG_SG_SG_bbb
		.amdhsa_group_segment_fixed_size 10504
		.amdhsa_private_segment_fixed_size 0
		.amdhsa_kernarg_size 172
		.amdhsa_user_sgpr_count 15
		.amdhsa_user_sgpr_dispatch_ptr 0
		.amdhsa_user_sgpr_queue_ptr 0
		.amdhsa_user_sgpr_kernarg_segment_ptr 1
		.amdhsa_user_sgpr_dispatch_id 0
		.amdhsa_user_sgpr_private_segment_size 0
		.amdhsa_wavefront_size32 1
		.amdhsa_uses_dynamic_stack 0
		.amdhsa_enable_private_segment 0
		.amdhsa_system_sgpr_workgroup_id_x 1
		.amdhsa_system_sgpr_workgroup_id_y 0
		.amdhsa_system_sgpr_workgroup_id_z 0
		.amdhsa_system_sgpr_workgroup_info 0
		.amdhsa_system_vgpr_workitem_id 0
		.amdhsa_next_free_vgpr 63
		.amdhsa_next_free_sgpr 64
		.amdhsa_reserve_vcc 1
		.amdhsa_float_round_mode_32 0
		.amdhsa_float_round_mode_16_64 0
		.amdhsa_float_denorm_mode_32 3
		.amdhsa_float_denorm_mode_16_64 3
		.amdhsa_dx10_clamp 1
		.amdhsa_ieee_mode 1
		.amdhsa_fp16_overflow 0
		.amdhsa_workgroup_processor_mode 1
		.amdhsa_memory_ordered 1
		.amdhsa_forward_progress 0
		.amdhsa_shared_vgpr_count 0
		.amdhsa_exception_fp_ieee_invalid_op 0
		.amdhsa_exception_fp_denorm_src 0
		.amdhsa_exception_fp_ieee_div_zero 0
		.amdhsa_exception_fp_ieee_overflow 0
		.amdhsa_exception_fp_ieee_underflow 0
		.amdhsa_exception_fp_ieee_inexact 0
		.amdhsa_exception_int_div_zero 0
	.end_amdhsa_kernel
	.section	.text._ZN9rocsparseL38bsrgemm_block_per_row_atomic_multipassILj256ELj64ELj4ElidEEv20rocsparse_direction_T3_S2_PKS2_S4_NS_24const_host_device_scalarIT4_EEPKT2_S4_PKS6_SA_S4_SC_S7_SA_S4_SC_SA_PS2_PS6_PS8_21rocsparse_index_base_SG_SG_SG_bbb,"axG",@progbits,_ZN9rocsparseL38bsrgemm_block_per_row_atomic_multipassILj256ELj64ELj4ElidEEv20rocsparse_direction_T3_S2_PKS2_S4_NS_24const_host_device_scalarIT4_EEPKT2_S4_PKS6_SA_S4_SC_S7_SA_S4_SC_SA_PS2_PS6_PS8_21rocsparse_index_base_SG_SG_SG_bbb,comdat
.Lfunc_end198:
	.size	_ZN9rocsparseL38bsrgemm_block_per_row_atomic_multipassILj256ELj64ELj4ElidEEv20rocsparse_direction_T3_S2_PKS2_S4_NS_24const_host_device_scalarIT4_EEPKT2_S4_PKS6_SA_S4_SC_S7_SA_S4_SC_SA_PS2_PS6_PS8_21rocsparse_index_base_SG_SG_SG_bbb, .Lfunc_end198-_ZN9rocsparseL38bsrgemm_block_per_row_atomic_multipassILj256ELj64ELj4ElidEEv20rocsparse_direction_T3_S2_PKS2_S4_NS_24const_host_device_scalarIT4_EEPKT2_S4_PKS6_SA_S4_SC_S7_SA_S4_SC_SA_PS2_PS6_PS8_21rocsparse_index_base_SG_SG_SG_bbb
                                        ; -- End function
	.section	.AMDGPU.csdata,"",@progbits
; Kernel info:
; codeLenInByte = 3884
; NumSgprs: 66
; NumVgprs: 63
; ScratchSize: 0
; MemoryBound: 0
; FloatMode: 240
; IeeeMode: 1
; LDSByteSize: 10504 bytes/workgroup (compile time only)
; SGPRBlocks: 8
; VGPRBlocks: 7
; NumSGPRsForWavesPerEU: 66
; NumVGPRsForWavesPerEU: 63
; Occupancy: 16
; WaveLimiterHint : 1
; COMPUTE_PGM_RSRC2:SCRATCH_EN: 0
; COMPUTE_PGM_RSRC2:USER_SGPR: 15
; COMPUTE_PGM_RSRC2:TRAP_HANDLER: 0
; COMPUTE_PGM_RSRC2:TGID_X_EN: 1
; COMPUTE_PGM_RSRC2:TGID_Y_EN: 0
; COMPUTE_PGM_RSRC2:TGID_Z_EN: 0
; COMPUTE_PGM_RSRC2:TIDIG_COMP_CNT: 0
	.section	.text._ZN9rocsparseL38bsrgemm_block_per_row_atomic_multipassILj256ELj128ELj4ElidEEv20rocsparse_direction_T3_S2_PKS2_S4_NS_24const_host_device_scalarIT4_EEPKT2_S4_PKS6_SA_S4_SC_S7_SA_S4_SC_SA_PS2_PS6_PS8_21rocsparse_index_base_SG_SG_SG_bbb,"axG",@progbits,_ZN9rocsparseL38bsrgemm_block_per_row_atomic_multipassILj256ELj128ELj4ElidEEv20rocsparse_direction_T3_S2_PKS2_S4_NS_24const_host_device_scalarIT4_EEPKT2_S4_PKS6_SA_S4_SC_S7_SA_S4_SC_SA_PS2_PS6_PS8_21rocsparse_index_base_SG_SG_SG_bbb,comdat
	.globl	_ZN9rocsparseL38bsrgemm_block_per_row_atomic_multipassILj256ELj128ELj4ElidEEv20rocsparse_direction_T3_S2_PKS2_S4_NS_24const_host_device_scalarIT4_EEPKT2_S4_PKS6_SA_S4_SC_S7_SA_S4_SC_SA_PS2_PS6_PS8_21rocsparse_index_base_SG_SG_SG_bbb ; -- Begin function _ZN9rocsparseL38bsrgemm_block_per_row_atomic_multipassILj256ELj128ELj4ElidEEv20rocsparse_direction_T3_S2_PKS2_S4_NS_24const_host_device_scalarIT4_EEPKT2_S4_PKS6_SA_S4_SC_S7_SA_S4_SC_SA_PS2_PS6_PS8_21rocsparse_index_base_SG_SG_SG_bbb
	.p2align	8
	.type	_ZN9rocsparseL38bsrgemm_block_per_row_atomic_multipassILj256ELj128ELj4ElidEEv20rocsparse_direction_T3_S2_PKS2_S4_NS_24const_host_device_scalarIT4_EEPKT2_S4_PKS6_SA_S4_SC_S7_SA_S4_SC_SA_PS2_PS6_PS8_21rocsparse_index_base_SG_SG_SG_bbb,@function
_ZN9rocsparseL38bsrgemm_block_per_row_atomic_multipassILj256ELj128ELj4ElidEEv20rocsparse_direction_T3_S2_PKS2_S4_NS_24const_host_device_scalarIT4_EEPKT2_S4_PKS6_SA_S4_SC_S7_SA_S4_SC_SA_PS2_PS6_PS8_21rocsparse_index_base_SG_SG_SG_bbb: ; @_ZN9rocsparseL38bsrgemm_block_per_row_atomic_multipassILj256ELj128ELj4ElidEEv20rocsparse_direction_T3_S2_PKS2_S4_NS_24const_host_device_scalarIT4_EEPKT2_S4_PKS6_SA_S4_SC_S7_SA_S4_SC_SA_PS2_PS6_PS8_21rocsparse_index_base_SG_SG_SG_bbb
; %bb.0:
	s_clause 0x3
	s_load_b32 s3, s[0:1], 0xa8
	s_load_b64 s[6:7], s[0:1], 0x20
	s_load_b128 s[36:39], s[0:1], 0x98
	s_load_b64 s[4:5], s[0:1], 0x58
	s_mov_b32 s2, s15
	s_waitcnt lgkmcnt(0)
	s_and_b32 s8, 1, s3
	s_bitcmp1_b32 s3, 16
	s_cselect_b32 s9, -1, 0
	s_cmp_eq_u32 s8, 1
	s_cselect_b32 s8, -1, 0
	s_delay_alu instid0(SALU_CYCLE_1)
	s_and_b32 s10, s8, exec_lo
	s_cselect_b32 s11, s7, 0
	s_cselect_b32 s10, s6, 0
	s_xor_b32 s12, s8, -1
	v_dual_mov_b32 v1, s10 :: v_dual_mov_b32 v2, s11
	s_or_b32 s12, s12, s9
	s_delay_alu instid0(SALU_CYCLE_1)
	s_and_b32 vcc_lo, exec_lo, s12
	s_cbranch_vccnz .LBB199_2
; %bb.1:
	v_dual_mov_b32 v1, s6 :: v_dual_mov_b32 v2, s7
	flat_load_b64 v[1:2], v[1:2]
.LBB199_2:
	s_load_b64 s[6:7], s[0:1], 0x18
	s_bitcmp1_b32 s3, 8
	s_cselect_b32 s33, -1, 0
	s_delay_alu instid0(SALU_CYCLE_1)
	s_and_b32 s3, s33, exec_lo
	s_cselect_b32 s11, s5, 0
	s_cselect_b32 s10, s4, 0
	s_xor_b32 s3, s33, -1
	v_dual_mov_b32 v3, s10 :: v_dual_mov_b32 v4, s11
	s_or_b32 s3, s3, s9
	s_delay_alu instid0(SALU_CYCLE_1)
	s_and_b32 vcc_lo, exec_lo, s3
	s_cbranch_vccnz .LBB199_4
; %bb.3:
	v_dual_mov_b32 v3, s4 :: v_dual_mov_b32 v4, s5
	flat_load_b64 v[3:4], v[3:4]
.LBB199_4:
	s_load_b64 s[4:5], s[0:1], 0x28
	s_waitcnt lgkmcnt(0)
	s_cmp_eq_u64 s[6:7], 0
	s_mov_b64 s[34:35], 0
	s_cbranch_scc1 .LBB199_6
; %bb.5:
	s_load_b64 s[10:11], s[0:1], 0x10
	s_waitcnt lgkmcnt(0)
	s_load_b32 s3, s[10:11], 0x0
	s_waitcnt lgkmcnt(0)
	s_add_i32 s2, s3, s2
	s_mov_b32 s3, 0
	s_delay_alu instid0(SALU_CYCLE_1) | instskip(NEXT) | instid1(SALU_CYCLE_1)
	s_lshl_b64 s[2:3], s[2:3], 2
	s_add_u32 s2, s6, s2
	s_addc_u32 s3, s7, s3
	s_load_b32 s2, s[2:3], 0x0
.LBB199_6:
	s_and_not1_b32 vcc_lo, exec_lo, s8
	s_cbranch_vccz .LBB199_9
; %bb.7:
	s_and_not1_b32 vcc_lo, exec_lo, s8
	s_mov_b64 s[48:49], 0
	s_cbranch_vccz .LBB199_10
.LBB199_8:
	s_load_b128 s[40:43], s[0:1], 0x0
	s_waitcnt lgkmcnt(0)
	s_cmp_lt_i32 s41, 1
	s_cbranch_scc0 .LBB199_11
	s_branch .LBB199_101
.LBB199_9:
	s_waitcnt lgkmcnt(0)
	s_ashr_i32 s3, s2, 31
	s_delay_alu instid0(SALU_CYCLE_1) | instskip(NEXT) | instid1(SALU_CYCLE_1)
	s_lshl_b64 s[6:7], s[2:3], 3
	s_add_u32 s6, s4, s6
	s_addc_u32 s7, s5, s7
	s_load_b64 s[6:7], s[6:7], 0x0
	s_waitcnt lgkmcnt(0)
	s_sub_u32 s34, s6, s36
	s_subb_u32 s35, s7, 0
	s_and_not1_b32 vcc_lo, exec_lo, s8
	s_mov_b64 s[48:49], 0
	s_cbranch_vccnz .LBB199_8
.LBB199_10:
	s_waitcnt lgkmcnt(0)
	s_ashr_i32 s3, s2, 31
	s_delay_alu instid0(SALU_CYCLE_1) | instskip(NEXT) | instid1(SALU_CYCLE_1)
	s_lshl_b64 s[6:7], s[2:3], 3
	s_add_u32 s4, s4, s6
	s_addc_u32 s5, s5, s7
	s_load_b64 s[4:5], s[4:5], 0x8
	s_waitcnt lgkmcnt(0)
	s_sub_u32 s48, s4, s36
	s_subb_u32 s49, s5, 0
	s_load_b128 s[40:43], s[0:1], 0x0
	s_waitcnt lgkmcnt(0)
	s_cmp_lt_i32 s41, 1
	s_cbranch_scc1 .LBB199_101
.LBB199_11:
	s_clause 0x4
	s_load_b256 s[16:23], s[0:1], 0x60
	s_load_b64 s[50:51], s[0:1], 0x90
	s_load_b128 s[44:47], s[0:1], 0x80
	s_load_b64 s[14:15], s[0:1], 0x50
	s_load_b256 s[24:31], s[0:1], 0x30
	s_ashr_i32 s3, s2, 31
	v_bfe_u32 v11, v0, 2, 2
	s_lshl_b64 s[4:5], s[2:3], 3
	v_dual_mov_b32 v5, 0 :: v_dual_and_b32 v10, 15, v0
	v_and_b32_e32 v32, 3, v0
	s_delay_alu instid0(VALU_DEP_3) | instskip(SKIP_1) | instid1(VALU_DEP_4)
	v_mul_lo_u32 v6, v11, s42
	v_dual_mov_b32 v56, 0 :: v_dual_and_b32 v19, 0x7f, v0
	v_mov_b32_e32 v7, v5
	s_delay_alu instid0(VALU_DEP_4) | instskip(SKIP_1) | instid1(VALU_DEP_4)
	v_mul_lo_u32 v8, v32, s42
	v_max_i32_e32 v12, v32, v11
	v_dual_mov_b32 v9, v5 :: v_dual_lshlrev_b32 v20, 2, v19
	s_delay_alu instid0(VALU_DEP_4)
	v_lshlrev_b64 v[6:7], 3, v[6:7]
	s_waitcnt lgkmcnt(0)
	s_add_u32 s2, s22, s4
	s_addc_u32 s3, s23, s5
	v_lshlrev_b32_e32 v13, 3, v32
	s_load_b64 s[6:7], s[2:3], 0x0
	v_cmp_gt_i32_e64 s2, s42, v12
	v_add_co_u32 v12, vcc_lo, s26, v6
	v_lshlrev_b64 v[8:9], 3, v[8:9]
	v_add_co_ci_u32_e32 v14, vcc_lo, s27, v7, vcc_lo
	s_delay_alu instid0(VALU_DEP_3) | instskip(SKIP_1) | instid1(VALU_DEP_3)
	v_add_co_u32 v35, s3, v12, v13
	v_lshrrev_b32_e32 v31, 4, v0
	v_add_co_ci_u32_e64 v36, s3, 0, v14, s3
	v_add_co_u32 v12, s3, s20, v8
	s_delay_alu instid0(VALU_DEP_1) | instskip(NEXT) | instid1(VALU_DEP_4)
	v_add_co_ci_u32_e64 v14, s3, s21, v9, s3
	v_sub_co_u32 v38, s3, v31, s39
	v_add_co_u32 v15, vcc_lo, s46, v8
	s_waitcnt lgkmcnt(0)
	s_sub_u32 s26, s6, s38
	s_subb_u32 s27, s7, 0
	v_lshlrev_b32_e32 v11, 3, v11
	v_sub_co_ci_u32_e64 v39, null, 0, 0, s3
	v_add_co_ci_u32_e32 v16, vcc_lo, s47, v9, vcc_lo
	s_delay_alu instid0(VALU_DEP_3)
	v_add_co_u32 v12, s3, v12, v11
	v_add_co_u32 v17, vcc_lo, s46, v6
	v_add_co_ci_u32_e64 v14, s3, 0, v14, s3
	v_add_co_u32 v6, s3, s20, v6
	v_add_co_ci_u32_e32 v18, vcc_lo, s47, v7, vcc_lo
	v_add_co_u32 v15, vcc_lo, v15, v11
	v_add_co_ci_u32_e64 v7, s3, s21, v7, s3
	v_add_co_ci_u32_e32 v16, vcc_lo, 0, v16, vcc_lo
	v_add_co_u32 v17, vcc_lo, v17, v13
	v_add_co_u32 v6, s3, v6, v13
	v_add_co_ci_u32_e32 v18, vcc_lo, 0, v18, vcc_lo
	v_add_co_ci_u32_e64 v7, s3, 0, v7, s3
	s_cmp_eq_u32 s40, 0
	v_cmp_eq_u32_e64 s3, 15, v10
	s_cselect_b32 vcc_lo, -1, 0
	v_or_b32_e32 v10, 0x400, v0
	v_dual_cndmask_b32 v50, v15, v17 :: v_dual_lshlrev_b32 v33, 3, v0
	v_dual_cndmask_b32 v49, v16, v18 :: v_dual_add_nc_u32 v44, 0x47f0, v20
	v_dual_cndmask_b32 v51, v14, v7 :: v_dual_add_nc_u32 v46, 0x47c0, v20
	v_cndmask_b32_e32 v52, v12, v6, vcc_lo
	v_add_co_u32 v7, vcc_lo, s14, v8
	s_mov_b32 s53, 0
	v_add_co_ci_u32_e32 v8, vcc_lo, s15, v9, vcc_lo
	v_add_co_u32 v9, s14, s14, v13
	v_cmp_lt_i64_e64 s9, s[34:35], s[48:49]
	v_cmp_gt_u32_e64 s0, 0x80, v0
	v_cmp_eq_u32_e64 s1, 0, v0
	s_cmp_lg_u32 s40, 0
	v_lshl_or_b32 v42, v0, 2, 0x4800
	v_cmp_gt_u32_e64 s11, 0x700, v10
	v_cmp_gt_u32_e64 s12, 0x200, v0
	;; [unrolled: 1-line block ×3, first 2 shown]
	v_add_co_ci_u32_e64 v10, null, s15, 0, s14
	s_mov_b32 s14, s53
	s_mov_b32 s15, s53
	v_and_b32_e32 v37, 12, v0
	v_dual_mov_b32 v57, 0x80 :: v_dual_lshlrev_b32 v0, 7, v31
	v_add_co_u32 v21, s55, v19, -1
	s_cselect_b32 s40, -1, 0
	s_cmp_gt_i32 s42, 0
	v_add_nc_u32_e32 v48, 0x4700, v20
	s_cselect_b32 s47, -1, 0
	s_add_u32 s22, s16, s4
	s_movk_i32 s16, 0x7e0
	s_addc_u32 s23, s17, s5
	s_and_b32 s56, s8, s9
	v_or3_b32 v0, v0, v11, 0x4000
	v_mov_b32_e32 v11, s26
	v_mov_b32_e32 v13, s14
	v_or_b32_e32 v34, 0x4000, v33
	v_or_b32_e32 v40, 0x4800, v20
	v_lshl_add_u32 v41, v21, 2, 0x4800
	v_cmp_ne_u32_e64 s4, 0, v19
	v_cmp_lt_u32_e64 s5, 1, v19
	v_add_nc_u32_e32 v43, 0x47f8, v20
	v_cmp_lt_u32_e64 s6, 3, v19
	v_cmp_lt_u32_e64 s7, 7, v19
	v_add_nc_u32_e32 v45, 0x47e0, v20
	v_cmp_lt_u32_e64 s8, 15, v19
	;; [unrolled: 3-line block ×3, first 2 shown]
	s_add_u32 s57, s28, 8
	v_and_or_b32 v53, v33, s16, 0x4000
	v_lshl_or_b32 v54, v31, 2, 0x4800
	v_mov_b32_e32 v12, s27
	v_dual_mov_b32 v14, s15 :: v_dual_mov_b32 v55, 1
	s_mul_i32 s52, s42, s42
	s_addc_u32 s58, s29, 0
	s_mov_b32 s43, s53
	s_add_u32 s59, s44, -4
	s_mov_b32 s46, s37
	s_mov_b32 s54, s39
	s_addc_u32 s60, s45, -1
	s_lshl_b64 s[20:21], s[52:53], 3
	s_lshl_b64 s[26:27], s[42:43], 3
	s_branch .LBB199_13
.LBB199_12:                             ;   in Loop: Header=BB199_13 Depth=1
	s_set_inst_prefetch_distance 0x2
	s_or_b32 exec_lo, exec_lo, s14
	s_waitcnt_vscnt null, 0x0
	s_barrier
	buffer_gl0_inv
	ds_load_b32 v56, v5 offset:18944
	v_ashrrev_i32_e32 v6, 31, v15
	v_add_co_u32 v11, s14, v11, v15
	s_waitcnt lgkmcnt(0)
	s_barrier
	s_delay_alu instid0(VALU_DEP_2)
	v_add_co_ci_u32_e64 v12, s14, v12, v6, s14
	buffer_gl0_inv
	v_cmp_le_i32_e32 vcc_lo, s41, v56
	v_add_nc_u32_e32 v57, 0x80, v56
	s_cbranch_vccnz .LBB199_101
.LBB199_13:                             ; =>This Loop Header: Depth=1
                                        ;     Child Loop BB199_26 Depth 2
                                        ;       Child Loop BB199_38 Depth 3
                                        ;         Child Loop BB199_47 Depth 4
                                        ;         Child Loop BB199_52 Depth 4
	;; [unrolled: 1-line block ×3, first 2 shown]
                                        ;     Child Loop BB199_65 Depth 2
                                        ;       Child Loop BB199_70 Depth 3
                                        ;     Child Loop BB199_75 Depth 2
                                        ;     Child Loop BB199_98 Depth 2
	s_and_saveexec_b32 s14, s0
	s_cbranch_execz .LBB199_15
; %bb.14:                               ;   in Loop: Header=BB199_13 Depth=1
	ds_store_b32 v42, v5
.LBB199_15:                             ;   in Loop: Header=BB199_13 Depth=1
	s_or_b32 exec_lo, exec_lo, s14
	ds_store_2addr_stride64_b64 v33, v[13:14], v[13:14] offset1:4
	ds_store_2addr_stride64_b64 v33, v[13:14], v[13:14] offset0:8 offset1:12
	ds_store_b64 v33, v[13:14] offset:8192
	s_and_saveexec_b32 s14, s11
	s_delay_alu instid0(SALU_CYCLE_1)
	s_xor_b32 s14, exec_lo, s14
	s_cbranch_execz .LBB199_21
; %bb.16:                               ;   in Loop: Header=BB199_13 Depth=1
	v_mov_b32_e32 v6, v5
	ds_store_b64 v33, v[5:6] offset:10240
	s_and_saveexec_b32 s15, s12
	s_delay_alu instid0(SALU_CYCLE_1)
	s_xor_b32 s15, exec_lo, s15
	s_cbranch_execz .LBB199_20
; %bb.17:                               ;   in Loop: Header=BB199_13 Depth=1
	ds_store_b64 v33, v[5:6] offset:12288
	s_and_saveexec_b32 s16, s13
	s_delay_alu instid0(SALU_CYCLE_1)
	s_xor_b32 s16, exec_lo, s16
	s_cbranch_execz .LBB199_19
; %bb.18:                               ;   in Loop: Header=BB199_13 Depth=1
	v_mov_b32_e32 v6, v5
	ds_store_b64 v33, v[5:6] offset:14336
.LBB199_19:                             ;   in Loop: Header=BB199_13 Depth=1
	s_or_b32 exec_lo, exec_lo, s16
.LBB199_20:                             ;   in Loop: Header=BB199_13 Depth=1
	s_delay_alu instid0(SALU_CYCLE_1)
	s_or_b32 exec_lo, exec_lo, s15
.LBB199_21:                             ;   in Loop: Header=BB199_13 Depth=1
	s_delay_alu instid0(SALU_CYCLE_1)
	s_or_b32 exec_lo, exec_lo, s14
	s_and_saveexec_b32 s14, s1
	s_cbranch_execz .LBB199_23
; %bb.22:                               ;   in Loop: Header=BB199_13 Depth=1
	v_mov_b32_e32 v6, s41
	ds_store_b32 v5, v6 offset:18944
.LBB199_23:                             ;   in Loop: Header=BB199_13 Depth=1
	s_or_b32 exec_lo, exec_lo, s14
	v_mov_b32_e32 v6, s41
	s_and_not1_b32 vcc_lo, exec_lo, s56
	s_waitcnt vmcnt(0) lgkmcnt(0)
	s_barrier
	buffer_gl0_inv
	s_cbranch_vccnz .LBB199_60
; %bb.24:                               ;   in Loop: Header=BB199_13 Depth=1
	v_cmp_ne_u32_e64 s14, 0, v56
	v_mov_b32_e32 v6, s41
	s_mov_b64 s[44:45], s[34:35]
	s_branch .LBB199_26
.LBB199_25:                             ;   in Loop: Header=BB199_26 Depth=2
	s_or_b32 exec_lo, exec_lo, s16
	s_add_u32 s44, s44, 16
	s_addc_u32 s45, s45, 0
	s_delay_alu instid0(SALU_CYCLE_1) | instskip(NEXT) | instid1(VALU_DEP_1)
	v_cmp_lt_i64_e64 s15, s[44:45], s[48:49]
	s_and_b32 vcc_lo, exec_lo, s15
	s_cbranch_vccz .LBB199_60
.LBB199_26:                             ;   Parent Loop BB199_13 Depth=1
                                        ; =>  This Loop Header: Depth=2
                                        ;       Child Loop BB199_38 Depth 3
                                        ;         Child Loop BB199_47 Depth 4
                                        ;         Child Loop BB199_52 Depth 4
	;; [unrolled: 1-line block ×3, first 2 shown]
	v_add_co_u32 v15, s15, s44, v31
	s_delay_alu instid0(VALU_DEP_1) | instskip(NEXT) | instid1(VALU_DEP_1)
	v_add_co_ci_u32_e64 v16, null, s45, 0, s15
	s_waitcnt_vscnt null, 0x0
	s_barrier
	buffer_gl0_inv
	v_cmp_gt_i64_e64 s15, s[48:49], v[15:16]
	s_delay_alu instid0(VALU_DEP_1)
	s_and_saveexec_b32 s16, s15
	s_cbranch_execz .LBB199_30
; %bb.27:                               ;   in Loop: Header=BB199_26 Depth=2
	v_mov_b32_e32 v17, 0
	v_mov_b32_e32 v18, 0
	s_and_saveexec_b32 s17, s2
	s_cbranch_execz .LBB199_29
; %bb.28:                               ;   in Loop: Header=BB199_26 Depth=2
	v_mad_u64_u32 v[17:18], null, v15, s52, 0
	s_delay_alu instid0(VALU_DEP_1) | instskip(NEXT) | instid1(VALU_DEP_1)
	v_mad_u64_u32 v[19:20], null, v16, s52, v[18:19]
	v_mov_b32_e32 v18, v19
	s_delay_alu instid0(VALU_DEP_1) | instskip(NEXT) | instid1(VALU_DEP_1)
	v_lshlrev_b64 v[17:18], 3, v[17:18]
	v_add_co_u32 v17, vcc_lo, v35, v17
	s_delay_alu instid0(VALU_DEP_2)
	v_add_co_ci_u32_e32 v18, vcc_lo, v36, v18, vcc_lo
	global_load_b64 v[17:18], v[17:18], off
.LBB199_29:                             ;   in Loop: Header=BB199_26 Depth=2
	s_or_b32 exec_lo, exec_lo, s17
	s_waitcnt vmcnt(0)
	ds_store_b64 v34, v[17:18]
.LBB199_30:                             ;   in Loop: Header=BB199_26 Depth=2
	s_or_b32 exec_lo, exec_lo, s16
	v_mov_b32_e32 v17, 0
	v_mov_b32_e32 v18, 0
	s_waitcnt lgkmcnt(0)
	s_barrier
	buffer_gl0_inv
	s_and_saveexec_b32 s17, s15
	s_cbranch_execz .LBB199_57
; %bb.31:                               ;   in Loop: Header=BB199_26 Depth=2
	v_lshlrev_b64 v[17:18], 2, v[15:16]
	s_delay_alu instid0(VALU_DEP_1) | instskip(NEXT) | instid1(VALU_DEP_2)
	v_add_co_u32 v17, vcc_lo, s24, v17
	v_add_co_ci_u32_e32 v18, vcc_lo, s25, v18, vcc_lo
	s_and_b32 vcc_lo, exec_lo, s14
	global_load_b32 v17, v[17:18], off
	s_waitcnt vmcnt(0)
	v_subrev_nc_u32_e32 v19, s36, v17
	s_delay_alu instid0(VALU_DEP_1)
	v_ashrrev_i32_e32 v20, 31, v19
	s_cbranch_vccz .LBB199_59
; %bb.32:                               ;   in Loop: Header=BB199_26 Depth=2
	v_lshlrev_b64 v[17:18], 3, v[15:16]
	s_delay_alu instid0(VALU_DEP_1) | instskip(NEXT) | instid1(VALU_DEP_2)
	v_add_co_u32 v17, vcc_lo, s50, v17
	v_add_co_ci_u32_e32 v18, vcc_lo, s51, v18, vcc_lo
	global_load_b64 v[17:18], v[17:18], off
	s_cbranch_execnz .LBB199_34
.LBB199_33:                             ;   in Loop: Header=BB199_26 Depth=2
	s_waitcnt vmcnt(0)
	s_delay_alu instid0(VALU_DEP_1) | instskip(NEXT) | instid1(VALU_DEP_1)
	v_lshlrev_b64 v[17:18], 3, v[19:20]
	v_add_co_u32 v17, vcc_lo, s28, v17
	s_delay_alu instid0(VALU_DEP_2)
	v_add_co_ci_u32_e32 v18, vcc_lo, s29, v18, vcc_lo
	global_load_b64 v[17:18], v[17:18], off
	s_waitcnt vmcnt(0)
	v_sub_co_u32 v17, vcc_lo, v17, s46
	v_subrev_co_ci_u32_e32 v18, vcc_lo, 0, v18, vcc_lo
.LBB199_34:                             ;   in Loop: Header=BB199_26 Depth=2
	v_lshlrev_b64 v[19:20], 3, v[19:20]
	s_mov_b32 s43, exec_lo
	s_delay_alu instid0(VALU_DEP_1) | instskip(NEXT) | instid1(VALU_DEP_2)
	v_add_co_u32 v19, vcc_lo, s57, v19
	v_add_co_ci_u32_e32 v20, vcc_lo, s58, v20, vcc_lo
	global_load_b64 v[19:20], v[19:20], off
	s_waitcnt vmcnt(0)
	v_sub_co_u32 v19, vcc_lo, v19, s46
	v_subrev_co_ci_u32_e32 v20, vcc_lo, 0, v20, vcc_lo
	s_delay_alu instid0(VALU_DEP_1)
	v_cmpx_lt_i64_e64 v[17:18], v[19:20]
	s_cbranch_execz .LBB199_56
; %bb.35:                               ;   in Loop: Header=BB199_26 Depth=2
	v_mad_u64_u32 v[21:22], null, s20, v17, v[7:8]
	v_mul_lo_u32 v25, s20, v18
	v_mul_lo_u32 v26, s21, v17
	v_mad_u64_u32 v[23:24], null, s20, v17, v[9:10]
	s_mov_b32 s53, 0
	s_delay_alu instid0(VALU_DEP_2) | instskip(NEXT) | instid1(VALU_DEP_2)
	v_add3_u32 v22, v26, v22, v25
	v_add3_u32 v24, v26, v24, v25
	v_dual_mov_b32 v26, v18 :: v_dual_mov_b32 v25, v17
	s_branch .LBB199_38
.LBB199_36:                             ;   in Loop: Header=BB199_38 Depth=3
	s_or_b32 exec_lo, exec_lo, s63
	s_delay_alu instid0(SALU_CYCLE_1)
	s_or_b32 s61, s61, exec_lo
.LBB199_37:                             ;   in Loop: Header=BB199_38 Depth=3
	s_or_b32 exec_lo, exec_lo, s62
	v_add_co_u32 v17, vcc_lo, v17, 1
	v_add_co_ci_u32_e32 v18, vcc_lo, 0, v18, vcc_lo
	v_add_co_u32 v21, s16, v21, s20
	s_xor_b32 s61, s61, -1
	s_delay_alu instid0(VALU_DEP_2)
	v_cmp_ge_i64_e32 vcc_lo, v[17:18], v[19:20]
	v_add_co_ci_u32_e64 v22, s16, s21, v22, s16
	s_or_b32 s16, s61, vcc_lo
	v_add_co_u32 v23, vcc_lo, v23, s20
	v_add_co_ci_u32_e32 v24, vcc_lo, s21, v24, vcc_lo
	s_and_b32 s16, exec_lo, s16
	s_delay_alu instid0(SALU_CYCLE_1) | instskip(NEXT) | instid1(SALU_CYCLE_1)
	s_or_b32 s53, s16, s53
	s_and_not1_b32 exec_lo, exec_lo, s53
	s_cbranch_execz .LBB199_55
.LBB199_38:                             ;   Parent Loop BB199_13 Depth=1
                                        ;     Parent Loop BB199_26 Depth=2
                                        ; =>    This Loop Header: Depth=3
                                        ;         Child Loop BB199_47 Depth 4
                                        ;         Child Loop BB199_52 Depth 4
	;; [unrolled: 1-line block ×3, first 2 shown]
	v_lshlrev_b64 v[27:28], 2, v[17:18]
                                        ; implicit-def: $sgpr61
	s_delay_alu instid0(VALU_DEP_1) | instskip(NEXT) | instid1(VALU_DEP_2)
	v_add_co_u32 v27, vcc_lo, s30, v27
	v_add_co_ci_u32_e32 v28, vcc_lo, s31, v28, vcc_lo
	global_load_b32 v27, v[27:28], off
	s_waitcnt vmcnt(0)
	v_subrev_nc_u32_e32 v27, s37, v27
	s_delay_alu instid0(VALU_DEP_1) | instskip(SKIP_1) | instid1(VALU_DEP_2)
	v_cmp_lt_i32_e64 s16, v27, v56
	v_cmp_ge_i32_e32 vcc_lo, v27, v57
	s_or_b32 s16, s16, vcc_lo
	s_delay_alu instid0(SALU_CYCLE_1) | instskip(NEXT) | instid1(SALU_CYCLE_1)
	s_and_saveexec_b32 s62, s16
	s_xor_b32 s16, exec_lo, s62
	s_cbranch_execz .LBB199_42
; %bb.39:                               ;   in Loop: Header=BB199_38 Depth=3
	s_mov_b32 s61, -1
	s_and_saveexec_b32 s62, vcc_lo
; %bb.40:                               ;   in Loop: Header=BB199_38 Depth=3
	v_min_i32_e32 v6, v27, v6
	v_dual_mov_b32 v26, v18 :: v_dual_mov_b32 v25, v17
	s_xor_b32 s61, exec_lo, -1
; %bb.41:                               ;   in Loop: Header=BB199_38 Depth=3
	s_or_b32 exec_lo, exec_lo, s62
	s_delay_alu instid0(SALU_CYCLE_1)
	s_and_b32 s61, s61, exec_lo
                                        ; implicit-def: $vgpr27
.LBB199_42:                             ;   in Loop: Header=BB199_38 Depth=3
	s_and_not1_saveexec_b32 s62, s16
	s_cbranch_execz .LBB199_37
; %bb.43:                               ;   in Loop: Header=BB199_38 Depth=3
	v_sub_nc_u32_e32 v58, v27, v56
	s_delay_alu instid0(VALU_DEP_1)
	v_lshlrev_b32_e32 v27, 2, v58
	ds_store_b32 v27, v55 offset:18432
	s_and_saveexec_b32 s63, s2
	s_cbranch_execz .LBB199_36
; %bb.44:                               ;   in Loop: Header=BB199_38 Depth=3
	v_cndmask_b32_e64 v27, 0, 1, s47
	s_and_not1_b32 vcc_lo, exec_lo, s40
	s_delay_alu instid0(VALU_DEP_1)
	v_cmp_ne_u32_e64 s16, 1, v27
	s_cbranch_vccnz .LBB199_49
; %bb.45:                               ;   in Loop: Header=BB199_38 Depth=3
	v_mov_b32_e32 v27, 0
	v_mov_b32_e32 v28, 0
	s_delay_alu instid0(VALU_DEP_3)
	s_and_b32 vcc_lo, exec_lo, s16
	s_cbranch_vccnz .LBB199_48
; %bb.46:                               ;   in Loop: Header=BB199_38 Depth=3
	v_dual_mov_b32 v30, v22 :: v_dual_mov_b32 v29, v21
	v_mov_b32_e32 v59, v0
	s_mov_b32 s16, s42
.LBB199_47:                             ;   Parent Loop BB199_13 Depth=1
                                        ;     Parent Loop BB199_26 Depth=2
                                        ;       Parent Loop BB199_38 Depth=3
                                        ; =>      This Inner Loop Header: Depth=4
	global_load_b64 v[60:61], v[29:30], off
	ds_load_b64 v[62:63], v59
	v_add_co_u32 v29, vcc_lo, v29, 8
	v_add_nc_u32_e32 v59, 32, v59
	v_add_co_ci_u32_e32 v30, vcc_lo, 0, v30, vcc_lo
	s_add_i32 s16, s16, -1
	s_delay_alu instid0(SALU_CYCLE_1)
	s_cmp_lg_u32 s16, 0
	s_waitcnt vmcnt(0) lgkmcnt(0)
	v_fma_f64 v[27:28], v[62:63], v[60:61], v[27:28]
	s_cbranch_scc1 .LBB199_47
.LBB199_48:                             ;   in Loop: Header=BB199_38 Depth=3
	s_cbranch_execz .LBB199_50
	s_branch .LBB199_53
.LBB199_49:                             ;   in Loop: Header=BB199_38 Depth=3
                                        ; implicit-def: $vgpr27_vgpr28
.LBB199_50:                             ;   in Loop: Header=BB199_38 Depth=3
	v_mov_b32_e32 v27, 0
	v_mov_b32_e32 v28, 0
	s_and_not1_b32 vcc_lo, exec_lo, s47
	s_cbranch_vccnz .LBB199_53
; %bb.51:                               ;   in Loop: Header=BB199_38 Depth=3
	v_dual_mov_b32 v59, v53 :: v_dual_mov_b32 v30, v24
	v_mov_b32_e32 v29, v23
	s_mov_b32 s16, s42
.LBB199_52:                             ;   Parent Loop BB199_13 Depth=1
                                        ;     Parent Loop BB199_26 Depth=2
                                        ;       Parent Loop BB199_38 Depth=3
                                        ; =>      This Inner Loop Header: Depth=4
	global_load_b64 v[60:61], v[29:30], off
	ds_load_b64 v[62:63], v59
	v_add_co_u32 v29, vcc_lo, v29, s26
	v_add_co_ci_u32_e32 v30, vcc_lo, s27, v30, vcc_lo
	v_add_nc_u32_e32 v59, 8, v59
	s_add_i32 s16, s16, -1
	s_delay_alu instid0(SALU_CYCLE_1)
	s_cmp_eq_u32 s16, 0
	s_waitcnt vmcnt(0) lgkmcnt(0)
	v_fma_f64 v[27:28], v[62:63], v[60:61], v[27:28]
	s_cbranch_scc0 .LBB199_52
.LBB199_53:                             ;   in Loop: Header=BB199_38 Depth=3
	s_delay_alu instid0(VALU_DEP_1) | instskip(SKIP_2) | instid1(VALU_DEP_1)
	v_mul_f64 v[27:28], v[1:2], v[27:28]
	v_lshlrev_b32_e32 v29, 4, v58
	s_mov_b32 s16, 0
	v_or3_b32 v29, v29, v37, v32
	s_delay_alu instid0(VALU_DEP_1)
	v_lshlrev_b32_e32 v58, 3, v29
	ds_load_b64 v[29:30], v58
.LBB199_54:                             ;   Parent Loop BB199_13 Depth=1
                                        ;     Parent Loop BB199_26 Depth=2
                                        ;       Parent Loop BB199_38 Depth=3
                                        ; =>      This Inner Loop Header: Depth=4
	s_waitcnt lgkmcnt(0)
	v_add_f64 v[59:60], v[29:30], v[27:28]
	ds_cmpstore_rtn_b64 v[59:60], v58, v[59:60], v[29:30]
	s_waitcnt lgkmcnt(0)
	v_cmp_eq_u64_e32 vcc_lo, v[59:60], v[29:30]
	v_dual_mov_b32 v29, v59 :: v_dual_mov_b32 v30, v60
	s_or_b32 s16, vcc_lo, s16
	s_delay_alu instid0(SALU_CYCLE_1)
	s_and_not1_b32 exec_lo, exec_lo, s16
	s_cbranch_execnz .LBB199_54
	s_branch .LBB199_36
.LBB199_55:                             ;   in Loop: Header=BB199_26 Depth=2
	s_or_b32 exec_lo, exec_lo, s53
	v_dual_mov_b32 v17, v25 :: v_dual_mov_b32 v18, v26
.LBB199_56:                             ;   in Loop: Header=BB199_26 Depth=2
	s_or_b32 exec_lo, exec_lo, s43
.LBB199_57:                             ;   in Loop: Header=BB199_26 Depth=2
	s_delay_alu instid0(SALU_CYCLE_1)
	s_or_b32 exec_lo, exec_lo, s17
	s_waitcnt lgkmcnt(0)
	s_barrier
	buffer_gl0_inv
	s_and_saveexec_b32 s16, s15
	s_cbranch_execz .LBB199_25
; %bb.58:                               ;   in Loop: Header=BB199_26 Depth=2
	v_lshlrev_b64 v[15:16], 3, v[15:16]
	s_delay_alu instid0(VALU_DEP_1) | instskip(NEXT) | instid1(VALU_DEP_2)
	v_add_co_u32 v15, vcc_lo, s50, v15
	v_add_co_ci_u32_e32 v16, vcc_lo, s51, v16, vcc_lo
	global_store_b64 v[15:16], v[17:18], off
	s_branch .LBB199_25
.LBB199_59:                             ;   in Loop: Header=BB199_26 Depth=2
                                        ; implicit-def: $vgpr17_vgpr18
	s_branch .LBB199_33
.LBB199_60:                             ;   in Loop: Header=BB199_13 Depth=1
	s_and_not1_b32 vcc_lo, exec_lo, s33
	s_cbranch_vccnz .LBB199_73
; %bb.61:                               ;   in Loop: Header=BB199_13 Depth=1
	s_load_b128 s[64:67], s[22:23], 0x0
	s_mov_b32 s43, exec_lo
	s_waitcnt lgkmcnt(0)
	v_add_co_u32 v15, vcc_lo, s64, v38
	v_add_co_ci_u32_e32 v16, vcc_lo, s65, v39, vcc_lo
	s_sub_u32 s16, s66, s54
	s_subb_u32 s17, s67, 0
	s_delay_alu instid0(VALU_DEP_1) | instid1(SALU_CYCLE_1)
	v_cmpx_gt_i64_e64 s[16:17], v[15:16]
	s_cbranch_execz .LBB199_72
; %bb.62:                               ;   in Loop: Header=BB199_13 Depth=1
	s_mov_b32 s44, 0
	s_branch .LBB199_65
.LBB199_63:                             ;   in Loop: Header=BB199_65 Depth=2
	s_or_b32 exec_lo, exec_lo, s45
	s_delay_alu instid0(SALU_CYCLE_1)
	s_or_b32 s14, s14, exec_lo
.LBB199_64:                             ;   in Loop: Header=BB199_65 Depth=2
	s_or_b32 exec_lo, exec_lo, s15
	v_add_co_u32 v15, vcc_lo, v15, 16
	v_add_co_ci_u32_e32 v16, vcc_lo, 0, v16, vcc_lo
	s_xor_b32 s14, s14, -1
	s_delay_alu instid0(VALU_DEP_1) | instskip(SKIP_1) | instid1(SALU_CYCLE_1)
	v_cmp_le_i64_e32 vcc_lo, s[16:17], v[15:16]
	s_or_b32 s14, s14, vcc_lo
	s_and_b32 s14, exec_lo, s14
	s_delay_alu instid0(SALU_CYCLE_1) | instskip(NEXT) | instid1(SALU_CYCLE_1)
	s_or_b32 s44, s14, s44
	s_and_not1_b32 exec_lo, exec_lo, s44
	s_cbranch_execz .LBB199_71
.LBB199_65:                             ;   Parent Loop BB199_13 Depth=1
                                        ; =>  This Loop Header: Depth=2
                                        ;       Child Loop BB199_70 Depth 3
	v_lshlrev_b64 v[17:18], 2, v[15:16]
	s_delay_alu instid0(VALU_DEP_1) | instskip(NEXT) | instid1(VALU_DEP_2)
	v_add_co_u32 v17, vcc_lo, s18, v17
	v_add_co_ci_u32_e32 v18, vcc_lo, s19, v18, vcc_lo
	global_load_b32 v17, v[17:18], off
	s_waitcnt vmcnt(0)
	v_subrev_nc_u32_e32 v17, s39, v17
	s_delay_alu instid0(VALU_DEP_1) | instskip(SKIP_2) | instid1(VALU_DEP_2)
	v_cmp_lt_i32_e64 s14, v17, v56
	v_cmp_ge_i32_e64 s15, v17, v57
	v_cmp_lt_i32_e32 vcc_lo, v17, v57
	s_or_b32 s15, s14, s15
                                        ; implicit-def: $sgpr14
	s_delay_alu instid0(SALU_CYCLE_1) | instskip(NEXT) | instid1(SALU_CYCLE_1)
	s_and_saveexec_b32 s45, s15
	s_xor_b32 s15, exec_lo, s45
; %bb.66:                               ;   in Loop: Header=BB199_65 Depth=2
	v_min_i32_e32 v17, v17, v6
	s_and_b32 s14, vcc_lo, exec_lo
	s_delay_alu instid0(VALU_DEP_1)
	v_cndmask_b32_e32 v6, v17, v6, vcc_lo
                                        ; implicit-def: $vgpr17
; %bb.67:                               ;   in Loop: Header=BB199_65 Depth=2
	s_and_not1_saveexec_b32 s15, s15
	s_cbranch_execz .LBB199_64
; %bb.68:                               ;   in Loop: Header=BB199_65 Depth=2
	v_sub_nc_u32_e32 v19, v17, v56
	s_delay_alu instid0(VALU_DEP_1)
	v_lshlrev_b32_e32 v17, 2, v19
	ds_store_b32 v17, v55 offset:18432
	s_and_saveexec_b32 s45, s2
	s_cbranch_execz .LBB199_63
; %bb.69:                               ;   in Loop: Header=BB199_65 Depth=2
	v_mad_u64_u32 v[17:18], null, v15, s52, 0
	s_mov_b32 s53, 0
	s_delay_alu instid0(VALU_DEP_1) | instskip(SKIP_1) | instid1(VALU_DEP_1)
	v_mad_u64_u32 v[20:21], null, v16, s52, v[18:19]
	v_lshlrev_b32_e32 v19, 4, v19
	v_or3_b32 v19, v19, v37, v32
	s_delay_alu instid0(VALU_DEP_1) | instskip(NEXT) | instid1(VALU_DEP_1)
	v_dual_mov_b32 v18, v20 :: v_dual_lshlrev_b32 v21, 3, v19
	v_lshlrev_b64 v[17:18], 3, v[17:18]
	ds_load_b64 v[19:20], v21
	v_add_co_u32 v17, vcc_lo, v52, v17
	v_add_co_ci_u32_e32 v18, vcc_lo, v51, v18, vcc_lo
	global_load_b64 v[17:18], v[17:18], off
	s_waitcnt vmcnt(0)
	v_mul_f64 v[17:18], v[3:4], v[17:18]
.LBB199_70:                             ;   Parent Loop BB199_13 Depth=1
                                        ;     Parent Loop BB199_65 Depth=2
                                        ; =>    This Inner Loop Header: Depth=3
	s_waitcnt lgkmcnt(0)
	s_delay_alu instid0(VALU_DEP_1)
	v_add_f64 v[22:23], v[19:20], v[17:18]
	ds_cmpstore_rtn_b64 v[22:23], v21, v[22:23], v[19:20]
	s_waitcnt lgkmcnt(0)
	v_cmp_eq_u64_e32 vcc_lo, v[22:23], v[19:20]
	v_dual_mov_b32 v19, v22 :: v_dual_mov_b32 v20, v23
	s_or_b32 s53, vcc_lo, s53
	s_delay_alu instid0(SALU_CYCLE_1)
	s_and_not1_b32 exec_lo, exec_lo, s53
	s_cbranch_execnz .LBB199_70
	s_branch .LBB199_63
.LBB199_71:                             ;   in Loop: Header=BB199_13 Depth=1
	s_or_b32 exec_lo, exec_lo, s44
.LBB199_72:                             ;   in Loop: Header=BB199_13 Depth=1
	s_delay_alu instid0(SALU_CYCLE_1)
	s_or_b32 exec_lo, exec_lo, s43
.LBB199_73:                             ;   in Loop: Header=BB199_13 Depth=1
	s_and_saveexec_b32 s14, s3
	s_cbranch_execz .LBB199_78
; %bb.74:                               ;   in Loop: Header=BB199_13 Depth=1
	s_mov_b32 s16, exec_lo
	s_brev_b32 s15, -2
.LBB199_75:                             ;   Parent Loop BB199_13 Depth=1
                                        ; =>  This Inner Loop Header: Depth=2
	s_ctz_i32_b32 s17, s16
	s_delay_alu instid0(SALU_CYCLE_1) | instskip(SKIP_1) | instid1(SALU_CYCLE_1)
	v_readlane_b32 s43, v6, s17
	s_lshl_b32 s17, 1, s17
	s_and_not1_b32 s16, s16, s17
	s_delay_alu instid0(VALU_DEP_1)
	s_min_i32 s15, s15, s43
	s_cmp_lg_u32 s16, 0
	s_cbranch_scc1 .LBB199_75
; %bb.76:                               ;   in Loop: Header=BB199_13 Depth=1
	v_mbcnt_lo_u32_b32 v6, exec_lo, 0
	s_mov_b32 s16, exec_lo
	s_delay_alu instid0(VALU_DEP_1)
	v_cmpx_eq_u32_e32 0, v6
	s_xor_b32 s16, exec_lo, s16
	s_cbranch_execz .LBB199_78
; %bb.77:                               ;   in Loop: Header=BB199_13 Depth=1
	v_mov_b32_e32 v6, s15
	ds_min_i32 v5, v6 offset:18944
.LBB199_78:                             ;   in Loop: Header=BB199_13 Depth=1
	s_or_b32 exec_lo, exec_lo, s14
	s_waitcnt lgkmcnt(0)
	s_waitcnt_vscnt null, 0x0
	s_barrier
	buffer_gl0_inv
	ds_load_b32 v6, v40
	s_waitcnt lgkmcnt(0)
	s_barrier
	buffer_gl0_inv
	s_and_saveexec_b32 s14, s4
	s_cbranch_execz .LBB199_80
; %bb.79:                               ;   in Loop: Header=BB199_13 Depth=1
	ds_load_b32 v15, v41
	s_waitcnt lgkmcnt(0)
	v_add_nc_u32_e32 v6, v15, v6
.LBB199_80:                             ;   in Loop: Header=BB199_13 Depth=1
	s_or_b32 exec_lo, exec_lo, s14
	s_barrier
	buffer_gl0_inv
	ds_store_b32 v40, v6
	s_waitcnt lgkmcnt(0)
	s_barrier
	buffer_gl0_inv
	s_and_saveexec_b32 s14, s5
	s_cbranch_execz .LBB199_82
; %bb.81:                               ;   in Loop: Header=BB199_13 Depth=1
	ds_load_b32 v15, v43
	s_waitcnt lgkmcnt(0)
	v_add_nc_u32_e32 v6, v15, v6
.LBB199_82:                             ;   in Loop: Header=BB199_13 Depth=1
	s_or_b32 exec_lo, exec_lo, s14
	s_barrier
	buffer_gl0_inv
	ds_store_b32 v40, v6
	;; [unrolled: 14-line block ×7, first 2 shown]
	s_waitcnt lgkmcnt(0)
	s_barrier
	buffer_gl0_inv
	ds_load_b32 v15, v5 offset:18940
	v_mov_b32_e32 v16, 0
	s_and_saveexec_b32 s14, s55
	s_cbranch_execz .LBB199_94
; %bb.93:                               ;   in Loop: Header=BB199_13 Depth=1
	ds_load_b32 v16, v41
.LBB199_94:                             ;   in Loop: Header=BB199_13 Depth=1
	s_or_b32 exec_lo, exec_lo, s14
	s_waitcnt lgkmcnt(0)
	v_cmp_eq_u32_e32 vcc_lo, v6, v16
	s_barrier
	buffer_gl0_inv
	s_and_b32 s15, s55, vcc_lo
	s_delay_alu instid0(SALU_CYCLE_1)
	s_and_saveexec_b32 s14, s15
	s_cbranch_execz .LBB199_96
; %bb.95:                               ;   in Loop: Header=BB199_13 Depth=1
	ds_store_b32 v40, v5
.LBB199_96:                             ;   in Loop: Header=BB199_13 Depth=1
	s_or_b32 exec_lo, exec_lo, s14
	v_add_co_u32 v6, vcc_lo, v11, -1
	v_add_co_ci_u32_e32 v16, vcc_lo, -1, v12, vcc_lo
	v_dual_mov_b32 v18, v54 :: v_dual_add_nc_u32 v17, s38, v56
	v_dual_mov_b32 v19, v33 :: v_dual_mov_b32 v20, v31
	s_mov_b32 s14, 0
	s_waitcnt lgkmcnt(0)
	s_barrier
	buffer_gl0_inv
	s_set_inst_prefetch_distance 0x1
	s_branch .LBB199_98
	.p2align	6
.LBB199_97:                             ;   in Loop: Header=BB199_98 Depth=2
	s_or_b32 exec_lo, exec_lo, s15
	v_add_nc_u32_e32 v21, 16, v20
	v_cmp_lt_u32_e32 vcc_lo, 0x6f, v20
	v_add_nc_u32_e32 v19, 0x800, v19
	v_add_nc_u32_e32 v18, 64, v18
	s_delay_alu instid0(VALU_DEP_4) | instskip(SKIP_1) | instid1(SALU_CYCLE_1)
	v_mov_b32_e32 v20, v21
	s_or_b32 s14, vcc_lo, s14
	s_and_not1_b32 exec_lo, exec_lo, s14
	s_cbranch_execz .LBB199_12
.LBB199_98:                             ;   Parent Loop BB199_13 Depth=1
                                        ; =>  This Inner Loop Header: Depth=2
	ds_load_b32 v21, v18
	s_mov_b32 s15, exec_lo
	s_waitcnt lgkmcnt(0)
	v_cmpx_ne_u32_e32 0, v21
	s_cbranch_execz .LBB199_97
; %bb.99:                               ;   in Loop: Header=BB199_98 Depth=2
	v_ashrrev_i32_e32 v22, 31, v21
	v_add_co_u32 v23, vcc_lo, v11, v21
	v_add_nc_u32_e32 v25, v17, v20
	s_delay_alu instid0(VALU_DEP_3) | instskip(NEXT) | instid1(VALU_DEP_1)
	v_add_co_ci_u32_e32 v24, vcc_lo, v12, v22, vcc_lo
	v_lshlrev_b64 v[23:24], 2, v[23:24]
	s_delay_alu instid0(VALU_DEP_1) | instskip(NEXT) | instid1(VALU_DEP_2)
	v_add_co_u32 v23, vcc_lo, s59, v23
	v_add_co_ci_u32_e32 v24, vcc_lo, s60, v24, vcc_lo
	global_store_b32 v[23:24], v25, off
	s_and_b32 exec_lo, exec_lo, s2
	s_cbranch_execz .LBB199_97
; %bb.100:                              ;   in Loop: Header=BB199_98 Depth=2
	v_add_co_u32 v23, vcc_lo, v6, v21
	v_add_co_ci_u32_e32 v25, vcc_lo, v16, v22, vcc_lo
	s_delay_alu instid0(VALU_DEP_2) | instskip(NEXT) | instid1(VALU_DEP_1)
	v_mad_u64_u32 v[21:22], null, v23, s52, 0
	v_mad_u64_u32 v[23:24], null, v25, s52, v[22:23]
	ds_load_b64 v[24:25], v19
	v_mov_b32_e32 v22, v23
	s_delay_alu instid0(VALU_DEP_1) | instskip(NEXT) | instid1(VALU_DEP_1)
	v_lshlrev_b64 v[21:22], 3, v[21:22]
	v_add_co_u32 v21, vcc_lo, v50, v21
	s_delay_alu instid0(VALU_DEP_2)
	v_add_co_ci_u32_e32 v22, vcc_lo, v49, v22, vcc_lo
	s_waitcnt lgkmcnt(0)
	global_store_b64 v[21:22], v[24:25], off
	s_branch .LBB199_97
.LBB199_101:
	s_endpgm
	.section	.rodata,"a",@progbits
	.p2align	6, 0x0
	.amdhsa_kernel _ZN9rocsparseL38bsrgemm_block_per_row_atomic_multipassILj256ELj128ELj4ElidEEv20rocsparse_direction_T3_S2_PKS2_S4_NS_24const_host_device_scalarIT4_EEPKT2_S4_PKS6_SA_S4_SC_S7_SA_S4_SC_SA_PS2_PS6_PS8_21rocsparse_index_base_SG_SG_SG_bbb
		.amdhsa_group_segment_fixed_size 18952
		.amdhsa_private_segment_fixed_size 0
		.amdhsa_kernarg_size 172
		.amdhsa_user_sgpr_count 15
		.amdhsa_user_sgpr_dispatch_ptr 0
		.amdhsa_user_sgpr_queue_ptr 0
		.amdhsa_user_sgpr_kernarg_segment_ptr 1
		.amdhsa_user_sgpr_dispatch_id 0
		.amdhsa_user_sgpr_private_segment_size 0
		.amdhsa_wavefront_size32 1
		.amdhsa_uses_dynamic_stack 0
		.amdhsa_enable_private_segment 0
		.amdhsa_system_sgpr_workgroup_id_x 1
		.amdhsa_system_sgpr_workgroup_id_y 0
		.amdhsa_system_sgpr_workgroup_id_z 0
		.amdhsa_system_sgpr_workgroup_info 0
		.amdhsa_system_vgpr_workitem_id 0
		.amdhsa_next_free_vgpr 64
		.amdhsa_next_free_sgpr 68
		.amdhsa_reserve_vcc 1
		.amdhsa_float_round_mode_32 0
		.amdhsa_float_round_mode_16_64 0
		.amdhsa_float_denorm_mode_32 3
		.amdhsa_float_denorm_mode_16_64 3
		.amdhsa_dx10_clamp 1
		.amdhsa_ieee_mode 1
		.amdhsa_fp16_overflow 0
		.amdhsa_workgroup_processor_mode 1
		.amdhsa_memory_ordered 1
		.amdhsa_forward_progress 0
		.amdhsa_shared_vgpr_count 0
		.amdhsa_exception_fp_ieee_invalid_op 0
		.amdhsa_exception_fp_denorm_src 0
		.amdhsa_exception_fp_ieee_div_zero 0
		.amdhsa_exception_fp_ieee_overflow 0
		.amdhsa_exception_fp_ieee_underflow 0
		.amdhsa_exception_fp_ieee_inexact 0
		.amdhsa_exception_int_div_zero 0
	.end_amdhsa_kernel
	.section	.text._ZN9rocsparseL38bsrgemm_block_per_row_atomic_multipassILj256ELj128ELj4ElidEEv20rocsparse_direction_T3_S2_PKS2_S4_NS_24const_host_device_scalarIT4_EEPKT2_S4_PKS6_SA_S4_SC_S7_SA_S4_SC_SA_PS2_PS6_PS8_21rocsparse_index_base_SG_SG_SG_bbb,"axG",@progbits,_ZN9rocsparseL38bsrgemm_block_per_row_atomic_multipassILj256ELj128ELj4ElidEEv20rocsparse_direction_T3_S2_PKS2_S4_NS_24const_host_device_scalarIT4_EEPKT2_S4_PKS6_SA_S4_SC_S7_SA_S4_SC_SA_PS2_PS6_PS8_21rocsparse_index_base_SG_SG_SG_bbb,comdat
.Lfunc_end199:
	.size	_ZN9rocsparseL38bsrgemm_block_per_row_atomic_multipassILj256ELj128ELj4ElidEEv20rocsparse_direction_T3_S2_PKS2_S4_NS_24const_host_device_scalarIT4_EEPKT2_S4_PKS6_SA_S4_SC_S7_SA_S4_SC_SA_PS2_PS6_PS8_21rocsparse_index_base_SG_SG_SG_bbb, .Lfunc_end199-_ZN9rocsparseL38bsrgemm_block_per_row_atomic_multipassILj256ELj128ELj4ElidEEv20rocsparse_direction_T3_S2_PKS2_S4_NS_24const_host_device_scalarIT4_EEPKT2_S4_PKS6_SA_S4_SC_S7_SA_S4_SC_SA_PS2_PS6_PS8_21rocsparse_index_base_SG_SG_SG_bbb
                                        ; -- End function
	.section	.AMDGPU.csdata,"",@progbits
; Kernel info:
; codeLenInByte = 4100
; NumSgprs: 70
; NumVgprs: 64
; ScratchSize: 0
; MemoryBound: 0
; FloatMode: 240
; IeeeMode: 1
; LDSByteSize: 18952 bytes/workgroup (compile time only)
; SGPRBlocks: 8
; VGPRBlocks: 7
; NumSGPRsForWavesPerEU: 70
; NumVGPRsForWavesPerEU: 64
; Occupancy: 12
; WaveLimiterHint : 1
; COMPUTE_PGM_RSRC2:SCRATCH_EN: 0
; COMPUTE_PGM_RSRC2:USER_SGPR: 15
; COMPUTE_PGM_RSRC2:TRAP_HANDLER: 0
; COMPUTE_PGM_RSRC2:TGID_X_EN: 1
; COMPUTE_PGM_RSRC2:TGID_Y_EN: 0
; COMPUTE_PGM_RSRC2:TGID_Z_EN: 0
; COMPUTE_PGM_RSRC2:TIDIG_COMP_CNT: 0
	.section	.text._ZN9rocsparseL23bsrgemm_fill_wf_per_rowILj256ELj64ELj8ELj137ELj8ElidEEv20rocsparse_direction_T5_S2_S2_PKS2_S4_NS_24const_host_device_scalarIT6_EEPKT4_S4_PKS6_SA_S4_SC_S7_SA_S4_SC_SA_PS2_PS6_21rocsparse_index_base_SF_SF_SF_bbb,"axG",@progbits,_ZN9rocsparseL23bsrgemm_fill_wf_per_rowILj256ELj64ELj8ELj137ELj8ElidEEv20rocsparse_direction_T5_S2_S2_PKS2_S4_NS_24const_host_device_scalarIT6_EEPKT4_S4_PKS6_SA_S4_SC_S7_SA_S4_SC_SA_PS2_PS6_21rocsparse_index_base_SF_SF_SF_bbb,comdat
	.globl	_ZN9rocsparseL23bsrgemm_fill_wf_per_rowILj256ELj64ELj8ELj137ELj8ElidEEv20rocsparse_direction_T5_S2_S2_PKS2_S4_NS_24const_host_device_scalarIT6_EEPKT4_S4_PKS6_SA_S4_SC_S7_SA_S4_SC_SA_PS2_PS6_21rocsparse_index_base_SF_SF_SF_bbb ; -- Begin function _ZN9rocsparseL23bsrgemm_fill_wf_per_rowILj256ELj64ELj8ELj137ELj8ElidEEv20rocsparse_direction_T5_S2_S2_PKS2_S4_NS_24const_host_device_scalarIT6_EEPKT4_S4_PKS6_SA_S4_SC_S7_SA_S4_SC_SA_PS2_PS6_21rocsparse_index_base_SF_SF_SF_bbb
	.p2align	8
	.type	_ZN9rocsparseL23bsrgemm_fill_wf_per_rowILj256ELj64ELj8ELj137ELj8ElidEEv20rocsparse_direction_T5_S2_S2_PKS2_S4_NS_24const_host_device_scalarIT6_EEPKT4_S4_PKS6_SA_S4_SC_S7_SA_S4_SC_SA_PS2_PS6_21rocsparse_index_base_SF_SF_SF_bbb,@function
_ZN9rocsparseL23bsrgemm_fill_wf_per_rowILj256ELj64ELj8ELj137ELj8ElidEEv20rocsparse_direction_T5_S2_S2_PKS2_S4_NS_24const_host_device_scalarIT6_EEPKT4_S4_PKS6_SA_S4_SC_S7_SA_S4_SC_SA_PS2_PS6_21rocsparse_index_base_SF_SF_SF_bbb: ; @_ZN9rocsparseL23bsrgemm_fill_wf_per_rowILj256ELj64ELj8ELj137ELj8ElidEEv20rocsparse_direction_T5_S2_S2_PKS2_S4_NS_24const_host_device_scalarIT6_EEPKT4_S4_PKS6_SA_S4_SC_S7_SA_S4_SC_SA_PS2_PS6_21rocsparse_index_base_SF_SF_SF_bbb
; %bb.0:
	s_clause 0x2
	s_load_b32 s6, s[0:1], 0xa0
	s_load_b64 s[4:5], s[0:1], 0x20
	s_load_b64 s[2:3], s[0:1], 0x58
	s_waitcnt lgkmcnt(0)
	s_and_b32 s8, 1, s6
	s_bitcmp1_b32 s6, 16
	s_cselect_b32 s7, -1, 0
	s_cmp_eq_u32 s8, 1
	s_cselect_b32 s13, -1, 0
	s_delay_alu instid0(SALU_CYCLE_1)
	s_and_b32 s8, s13, exec_lo
	s_cselect_b32 s9, s5, 0
	s_cselect_b32 s8, s4, 0
	s_xor_b32 s10, s13, -1
	v_dual_mov_b32 v10, s9 :: v_dual_mov_b32 v9, s8
	s_or_b32 s10, s10, s7
	s_delay_alu instid0(SALU_CYCLE_1)
	s_and_b32 vcc_lo, exec_lo, s10
	s_cbranch_vccnz .LBB200_2
; %bb.1:
	v_dual_mov_b32 v1, s4 :: v_dual_mov_b32 v2, s5
	flat_load_b64 v[9:10], v[1:2]
.LBB200_2:
	s_load_b128 s[36:39], s[0:1], 0x90
	s_bitcmp1_b32 s6, 8
	s_cselect_b32 s12, -1, 0
	s_delay_alu instid0(SALU_CYCLE_1)
	s_and_b32 s4, s12, exec_lo
	s_cselect_b32 s5, s3, 0
	s_cselect_b32 s4, s2, 0
	s_xor_b32 s6, s12, -1
	v_dual_mov_b32 v6, s5 :: v_dual_mov_b32 v5, s4
	s_or_b32 s6, s6, s7
	s_delay_alu instid0(SALU_CYCLE_1)
	s_and_b32 vcc_lo, exec_lo, s6
	s_cbranch_vccnz .LBB200_4
; %bb.3:
	v_dual_mov_b32 v1, s2 :: v_dual_mov_b32 v2, s3
	flat_load_b64 v[5:6], v[1:2]
.LBB200_4:
	s_clause 0x4
	s_load_b128 s[40:43], s[0:1], 0x80
	s_load_b256 s[16:23], s[0:1], 0x60
	s_load_b128 s[44:47], s[0:1], 0x48
	s_load_b256 s[4:11], s[0:1], 0x0
	s_load_b256 s[24:31], s[0:1], 0x28
	v_lshrrev_b32_e32 v3, 6, v0
	v_and_b32_e32 v38, 63, v0
	s_mov_b32 s0, exec_lo
	s_delay_alu instid0(VALU_DEP_2) | instskip(NEXT) | instid1(VALU_DEP_2)
	v_lshl_or_b32 v33, v3, 5, 0x4000
	v_cmpx_gt_u32_e32 8, v38
	s_cbranch_execz .LBB200_6
; %bb.5:
	s_delay_alu instid0(VALU_DEP_2)
	v_lshl_add_u32 v1, v38, 2, v33
	s_waitcnt lgkmcnt(0)
	v_mov_b32_e32 v2, s6
	ds_store_b32 v1, v2
.LBB200_6:
	s_or_b32 exec_lo, exec_lo, s0
	v_dual_mov_b32 v1, 0 :: v_dual_lshlrev_b32 v34, 12, v3
	v_or_b32_e32 v4, 0xffffffc0, v38
	s_mov_b32 s0, 0
	s_delay_alu instid0(VALU_DEP_2) | instskip(NEXT) | instid1(VALU_DEP_3)
	v_lshl_or_b32 v7, v38, 3, v34
	v_mov_b32_e32 v2, v1
.LBB200_7:                              ; =>This Inner Loop Header: Depth=1
	s_delay_alu instid0(VALU_DEP_3) | instskip(SKIP_4) | instid1(SALU_CYCLE_1)
	v_add_nc_u32_e32 v4, 64, v4
	ds_store_b64 v7, v[1:2]
	v_add_nc_u32_e32 v7, 0x200, v7
	v_cmp_lt_u32_e32 vcc_lo, 0x1bf, v4
	s_or_b32 s0, vcc_lo, s0
	s_and_not1_b32 exec_lo, exec_lo, s0
	s_cbranch_execnz .LBB200_7
; %bb.8:
	s_or_b32 exec_lo, exec_lo, s0
	v_lshl_or_b32 v1, s15, 2, v3
	s_waitcnt vmcnt(0) lgkmcnt(0)
	s_barrier
	buffer_gl0_inv
	s_mov_b32 s0, exec_lo
	v_cmpx_gt_i32_e64 s5, v1
	s_cbranch_execz .LBB200_72
; %bb.9:
	s_cmp_eq_u64 s[10:11], 0
	s_cbranch_scc1 .LBB200_11
; %bb.10:
	s_load_b32 s0, s[8:9], 0x0
	s_waitcnt lgkmcnt(0)
	v_add_nc_u32_e32 v1, s0, v1
	s_delay_alu instid0(VALU_DEP_1) | instskip(NEXT) | instid1(VALU_DEP_1)
	v_ashrrev_i32_e32 v2, 31, v1
	v_lshlrev_b64 v[1:2], 2, v[1:2]
	s_delay_alu instid0(VALU_DEP_1) | instskip(NEXT) | instid1(VALU_DEP_2)
	v_add_co_u32 v1, vcc_lo, s10, v1
	v_add_co_ci_u32_e32 v2, vcc_lo, s11, v2, vcc_lo
	global_load_b32 v1, v[1:2], off
.LBB200_11:
	s_waitcnt vmcnt(0)
	v_ashrrev_i32_e32 v2, 31, v1
	v_lshlrev_b32_e32 v3, 6, v0
	v_and_b32_e32 v35, 7, v0
	v_lshrrev_b32_e32 v36, 3, v38
	s_and_not1_b32 vcc_lo, exec_lo, s13
	v_lshlrev_b64 v[7:8], 3, v[1:2]
	v_and_b32_e32 v37, 0x3000, v3
	s_mul_i32 s2, s7, s7
	s_cbranch_vccnz .LBB200_45
; %bb.12:
	s_delay_alu instid0(VALU_DEP_2) | instskip(NEXT) | instid1(VALU_DEP_3)
	v_add_co_u32 v1, vcc_lo, s24, v7
	v_add_co_ci_u32_e32 v2, vcc_lo, s25, v8, vcc_lo
	s_mov_b32 s5, exec_lo
	global_load_b128 v[1:4], v[1:2], off
	s_waitcnt vmcnt(0)
	v_cmpx_lt_i64_e64 v[1:2], v[3:4]
	s_cbranch_execz .LBB200_44
; %bb.13:
	v_sub_co_u32 v11, vcc_lo, v1, s36
	v_subrev_co_ci_u32_e32 v12, vcc_lo, 0, v2, vcc_lo
	v_sub_co_u32 v13, vcc_lo, v3, s36
	s_delay_alu instid0(VALU_DEP_3)
	v_mad_u64_u32 v[1:2], null, v11, s2, 0
	v_subrev_co_ci_u32_e32 v14, vcc_lo, 0, v4, vcc_lo
	v_mul_lo_u32 v15, v35, s7
	v_dual_mov_b32 v16, 0 :: v_dual_lshlrev_b32 v21, 3, v36
	v_mul_lo_u32 v17, v36, s7
	v_mad_u64_u32 v[3:4], null, v12, s2, v[2:3]
	v_max_i32_e32 v4, v35, v36
	s_delay_alu instid0(VALU_DEP_4) | instskip(SKIP_4) | instid1(VALU_DEP_4)
	v_mov_b32_e32 v18, v16
	s_mov_b32 s3, 0
	s_cmp_lg_u32 s4, 0
	s_mov_b32 s10, s7
	v_cmp_gt_i32_e64 s0, s7, v4
	v_mov_b32_e32 v2, v3
	v_lshlrev_b64 v[3:4], 3, v[15:16]
	v_lshlrev_b64 v[19:20], 3, v[17:18]
	s_cselect_b32 s14, -1, 0
	s_cmp_gt_i32 s7, 0
	v_lshlrev_b64 v[1:2], 3, v[1:2]
	s_mov_b32 s11, s3
	s_mov_b32 s13, s37
	s_cselect_b32 s15, -1, 0
	s_lshl_b64 s[8:9], s[2:3], 3
	s_lshl_b64 s[10:11], s[10:11], 3
	v_add_co_u32 v17, vcc_lo, v1, v21
	v_add_co_ci_u32_e32 v18, vcc_lo, 0, v2, vcc_lo
	v_add_co_u32 v15, vcc_lo, s46, v3
	v_lshlrev_b32_e32 v3, 3, v35
	v_add_co_ci_u32_e32 v16, vcc_lo, s47, v4, vcc_lo
	v_add_co_u32 v17, vcc_lo, s28, v17
	v_add_co_ci_u32_e32 v18, vcc_lo, s29, v18, vcc_lo
	v_add_co_u32 v1, vcc_lo, v1, v19
	v_add_co_ci_u32_e32 v2, vcc_lo, v2, v20, vcc_lo
	v_add_co_u32 v19, s1, s46, v3
	s_delay_alu instid0(VALU_DEP_3) | instskip(SKIP_1) | instid1(VALU_DEP_4)
	v_add_co_u32 v21, vcc_lo, s28, v1
	v_add_co_ci_u32_e64 v20, null, s47, 0, s1
	v_add_co_ci_u32_e32 v22, vcc_lo, s29, v2, vcc_lo
	s_branch .LBB200_15
.LBB200_14:                             ;   in Loop: Header=BB200_15 Depth=1
	s_or_b32 exec_lo, exec_lo, s24
	v_add_co_u32 v11, vcc_lo, v11, 1
	v_add_co_ci_u32_e32 v12, vcc_lo, 0, v12, vcc_lo
	v_add_co_u32 v17, vcc_lo, v17, s8
	v_add_co_ci_u32_e32 v18, vcc_lo, s9, v18, vcc_lo
	s_delay_alu instid0(VALU_DEP_3) | instskip(SKIP_1) | instid1(VALU_DEP_1)
	v_cmp_ge_i64_e32 vcc_lo, v[11:12], v[13:14]
	v_add_co_u32 v21, s1, v21, s8
	v_add_co_ci_u32_e64 v22, s1, s9, v22, s1
	s_or_b32 s3, vcc_lo, s3
	s_delay_alu instid0(SALU_CYCLE_1)
	s_and_not1_b32 exec_lo, exec_lo, s3
	s_cbranch_execz .LBB200_44
.LBB200_15:                             ; =>This Loop Header: Depth=1
                                        ;     Child Loop BB200_18 Depth 2
                                        ;       Child Loop BB200_22 Depth 3
                                        ;       Child Loop BB200_27 Depth 3
	;; [unrolled: 1-line block ×3, first 2 shown]
                                        ;         Child Loop BB200_36 Depth 4
                                        ;         Child Loop BB200_42 Depth 4
	v_lshlrev_b64 v[1:2], 2, v[11:12]
	s_mov_b32 s24, exec_lo
	s_delay_alu instid0(VALU_DEP_1) | instskip(NEXT) | instid1(VALU_DEP_2)
	v_add_co_u32 v1, vcc_lo, s26, v1
	v_add_co_ci_u32_e32 v2, vcc_lo, s27, v2, vcc_lo
	global_load_b32 v1, v[1:2], off
	s_waitcnt vmcnt(0)
	v_subrev_nc_u32_e32 v1, s36, v1
	s_delay_alu instid0(VALU_DEP_1) | instskip(NEXT) | instid1(VALU_DEP_1)
	v_ashrrev_i32_e32 v2, 31, v1
	v_lshlrev_b64 v[1:2], 3, v[1:2]
	s_delay_alu instid0(VALU_DEP_1) | instskip(NEXT) | instid1(VALU_DEP_2)
	v_add_co_u32 v1, vcc_lo, s30, v1
	v_add_co_ci_u32_e32 v2, vcc_lo, s31, v2, vcc_lo
	global_load_b128 v[1:4], v[1:2], off
	s_waitcnt vmcnt(0)
	v_cmpx_lt_i64_e64 v[1:2], v[3:4]
	s_cbranch_execz .LBB200_14
; %bb.16:                               ;   in Loop: Header=BB200_15 Depth=1
	v_sub_co_u32 v1, vcc_lo, v1, s13
	v_subrev_co_ci_u32_e32 v2, vcc_lo, 0, v2, vcc_lo
	v_sub_co_u32 v3, vcc_lo, v3, s13
	s_delay_alu instid0(VALU_DEP_3) | instskip(NEXT) | instid1(VALU_DEP_3)
	v_mad_u64_u32 v[23:24], null, s8, v1, v[15:16]
	v_mul_lo_u32 v27, s8, v2
	v_mul_lo_u32 v28, s9, v1
	v_mad_u64_u32 v[25:26], null, s8, v1, v[19:20]
	v_subrev_co_ci_u32_e32 v4, vcc_lo, 0, v4, vcc_lo
	s_mov_b32 s25, 0
	s_delay_alu instid0(VALU_DEP_3) | instskip(NEXT) | instid1(VALU_DEP_3)
	v_add3_u32 v24, v28, v24, v27
	v_add3_u32 v26, v28, v26, v27
	s_branch .LBB200_18
.LBB200_17:                             ;   in Loop: Header=BB200_18 Depth=2
	s_or_b32 exec_lo, exec_lo, s28
	v_add_co_u32 v1, vcc_lo, v1, 1
	v_add_co_ci_u32_e32 v2, vcc_lo, 0, v2, vcc_lo
	v_add_co_u32 v23, vcc_lo, v23, s8
	v_add_co_ci_u32_e32 v24, vcc_lo, s9, v24, vcc_lo
	s_delay_alu instid0(VALU_DEP_3) | instskip(SKIP_1) | instid1(VALU_DEP_1)
	v_cmp_ge_i64_e32 vcc_lo, v[1:2], v[3:4]
	v_add_co_u32 v25, s1, v25, s8
	v_add_co_ci_u32_e64 v26, s1, s9, v26, s1
	s_or_b32 s25, vcc_lo, s25
	s_delay_alu instid0(SALU_CYCLE_1)
	s_and_not1_b32 exec_lo, exec_lo, s25
	s_cbranch_execz .LBB200_14
.LBB200_18:                             ;   Parent Loop BB200_15 Depth=1
                                        ; =>  This Loop Header: Depth=2
                                        ;       Child Loop BB200_22 Depth 3
                                        ;       Child Loop BB200_27 Depth 3
	;; [unrolled: 1-line block ×3, first 2 shown]
                                        ;         Child Loop BB200_36 Depth 4
                                        ;         Child Loop BB200_42 Depth 4
	s_and_saveexec_b32 s28, s0
	s_cbranch_execz .LBB200_17
; %bb.19:                               ;   in Loop: Header=BB200_18 Depth=2
	v_lshlrev_b64 v[27:28], 2, v[1:2]
	s_delay_alu instid0(VALU_DEP_1) | instskip(NEXT) | instid1(VALU_DEP_2)
	v_add_co_u32 v27, vcc_lo, s44, v27
	v_add_co_ci_u32_e32 v28, vcc_lo, s45, v28, vcc_lo
	s_and_not1_b32 vcc_lo, exec_lo, s14
	global_load_b32 v39, v[27:28], off
	v_cndmask_b32_e64 v27, 0, 1, s15
	s_delay_alu instid0(VALU_DEP_1)
	v_cmp_ne_u32_e64 s1, 1, v27
	s_cbranch_vccnz .LBB200_24
; %bb.20:                               ;   in Loop: Header=BB200_18 Depth=2
	v_mov_b32_e32 v27, 0
	v_mov_b32_e32 v28, 0
	s_delay_alu instid0(VALU_DEP_3)
	s_and_b32 vcc_lo, exec_lo, s1
	s_cbranch_vccnz .LBB200_23
; %bb.21:                               ;   in Loop: Header=BB200_18 Depth=2
	v_dual_mov_b32 v30, v18 :: v_dual_mov_b32 v29, v17
	v_dual_mov_b32 v32, v24 :: v_dual_mov_b32 v31, v23
	s_mov_b32 s1, s7
.LBB200_22:                             ;   Parent Loop BB200_15 Depth=1
                                        ;     Parent Loop BB200_18 Depth=2
                                        ; =>    This Inner Loop Header: Depth=3
	global_load_b64 v[40:41], v[29:30], off
	global_load_b64 v[42:43], v[31:32], off
	v_add_co_u32 v31, vcc_lo, v31, 8
	v_add_co_ci_u32_e32 v32, vcc_lo, 0, v32, vcc_lo
	v_add_co_u32 v29, vcc_lo, v29, s10
	v_add_co_ci_u32_e32 v30, vcc_lo, s11, v30, vcc_lo
	s_add_i32 s1, s1, -1
	s_delay_alu instid0(SALU_CYCLE_1)
	s_cmp_lg_u32 s1, 0
	s_waitcnt vmcnt(0)
	v_fma_f64 v[27:28], v[40:41], v[42:43], v[27:28]
	s_cbranch_scc1 .LBB200_22
.LBB200_23:                             ;   in Loop: Header=BB200_18 Depth=2
	s_cbranch_execz .LBB200_25
	s_branch .LBB200_28
.LBB200_24:                             ;   in Loop: Header=BB200_18 Depth=2
                                        ; implicit-def: $vgpr27_vgpr28
.LBB200_25:                             ;   in Loop: Header=BB200_18 Depth=2
	v_mov_b32_e32 v27, 0
	v_mov_b32_e32 v28, 0
	s_and_not1_b32 vcc_lo, exec_lo, s15
	s_cbranch_vccnz .LBB200_28
; %bb.26:                               ;   in Loop: Header=BB200_18 Depth=2
	v_dual_mov_b32 v30, v22 :: v_dual_mov_b32 v29, v21
	v_dual_mov_b32 v32, v26 :: v_dual_mov_b32 v31, v25
	s_mov_b32 s1, s7
.LBB200_27:                             ;   Parent Loop BB200_15 Depth=1
                                        ;     Parent Loop BB200_18 Depth=2
                                        ; =>    This Inner Loop Header: Depth=3
	global_load_b64 v[40:41], v[29:30], off
	global_load_b64 v[42:43], v[31:32], off
	v_add_co_u32 v31, vcc_lo, v31, s10
	v_add_co_ci_u32_e32 v32, vcc_lo, s11, v32, vcc_lo
	v_add_co_u32 v29, vcc_lo, v29, 8
	v_add_co_ci_u32_e32 v30, vcc_lo, 0, v30, vcc_lo
	s_add_i32 s1, s1, -1
	s_delay_alu instid0(SALU_CYCLE_1)
	s_cmp_eq_u32 s1, 0
	s_waitcnt vmcnt(0)
	v_fma_f64 v[27:28], v[40:41], v[42:43], v[27:28]
	s_cbranch_scc0 .LBB200_27
.LBB200_28:                             ;   in Loop: Header=BB200_18 Depth=2
	s_delay_alu instid0(VALU_DEP_1) | instskip(SKIP_3) | instid1(VALU_DEP_1)
	v_mul_f64 v[27:28], v[9:10], v[27:28]
	s_waitcnt vmcnt(0)
	v_subrev_nc_u32_e32 v31, s37, v39
	s_mov_b32 s1, 0
	v_and_b32_e32 v32, 7, v31
	s_branch .LBB200_30
.LBB200_29:                             ;   in Loop: Header=BB200_30 Depth=3
	s_or_b32 exec_lo, exec_lo, s29
	s_xor_b32 s29, s33, -1
	s_delay_alu instid0(SALU_CYCLE_1) | instskip(NEXT) | instid1(SALU_CYCLE_1)
	s_and_b32 s29, exec_lo, s29
	s_or_b32 s1, s29, s1
	s_delay_alu instid0(SALU_CYCLE_1)
	s_and_not1_b32 exec_lo, exec_lo, s1
	s_cbranch_execz .LBB200_17
.LBB200_30:                             ;   Parent Loop BB200_15 Depth=1
                                        ;     Parent Loop BB200_18 Depth=2
                                        ; =>    This Loop Header: Depth=3
                                        ;         Child Loop BB200_36 Depth 4
                                        ;         Child Loop BB200_42 Depth 4
	s_delay_alu instid0(VALU_DEP_1)
	v_lshl_add_u32 v29, v32, 2, v33
	s_mov_b32 s29, exec_lo
                                        ; implicit-def: $sgpr33
	ds_load_b32 v30, v29
	s_waitcnt lgkmcnt(0)
	v_cmpx_ne_u32_e64 v30, v31
	s_xor_b32 s29, exec_lo, s29
	s_cbranch_execz .LBB200_40
; %bb.31:                               ;   in Loop: Header=BB200_30 Depth=3
	s_mov_b32 s34, exec_lo
                                        ; implicit-def: $sgpr33
	v_cmpx_ne_u32_e64 s6, v30
	s_xor_b32 s34, exec_lo, s34
; %bb.32:                               ;   in Loop: Header=BB200_30 Depth=3
	v_add_nc_u32_e32 v29, 1, v32
	s_mov_b32 s33, -1
	s_delay_alu instid0(VALU_DEP_1)
	v_and_b32_e32 v32, 7, v29
                                        ; implicit-def: $vgpr29
; %bb.33:                               ;   in Loop: Header=BB200_30 Depth=3
	s_and_not1_saveexec_b32 s34, s34
	s_cbranch_execz .LBB200_39
; %bb.34:                               ;   in Loop: Header=BB200_30 Depth=3
	v_mov_b32_e32 v30, s6
	s_mov_b32 s46, -1
	s_mov_b32 s35, exec_lo
	ds_cmpstore_rtn_b32 v29, v29, v31, v30
	s_waitcnt lgkmcnt(0)
	v_cmpx_eq_u32_e64 s6, v29
	s_cbranch_execz .LBB200_38
; %bb.35:                               ;   in Loop: Header=BB200_30 Depth=3
	v_lshlrev_b32_e32 v29, 3, v38
	s_mov_b32 s46, 0
	s_delay_alu instid0(VALU_DEP_1) | instskip(NEXT) | instid1(VALU_DEP_1)
	v_lshl_or_b32 v29, v32, 9, v29
	v_add_nc_u32_e32 v39, v37, v29
	ds_load_b64 v[29:30], v39
.LBB200_36:                             ;   Parent Loop BB200_15 Depth=1
                                        ;     Parent Loop BB200_18 Depth=2
                                        ;       Parent Loop BB200_30 Depth=3
                                        ; =>      This Inner Loop Header: Depth=4
	s_waitcnt lgkmcnt(0)
	v_add_f64 v[40:41], v[29:30], v[27:28]
	ds_cmpstore_rtn_b64 v[40:41], v39, v[40:41], v[29:30]
	s_waitcnt lgkmcnt(0)
	v_cmp_eq_u64_e32 vcc_lo, v[40:41], v[29:30]
	v_dual_mov_b32 v29, v40 :: v_dual_mov_b32 v30, v41
	s_or_b32 s46, vcc_lo, s46
	s_delay_alu instid0(SALU_CYCLE_1)
	s_and_not1_b32 exec_lo, exec_lo, s46
	s_cbranch_execnz .LBB200_36
; %bb.37:                               ;   in Loop: Header=BB200_30 Depth=3
	s_or_b32 exec_lo, exec_lo, s46
	s_delay_alu instid0(SALU_CYCLE_1)
	s_xor_b32 s46, exec_lo, -1
.LBB200_38:                             ;   in Loop: Header=BB200_30 Depth=3
	s_or_b32 exec_lo, exec_lo, s35
	s_delay_alu instid0(SALU_CYCLE_1) | instskip(SKIP_1) | instid1(SALU_CYCLE_1)
	s_and_not1_b32 s33, s33, exec_lo
	s_and_b32 s35, s46, exec_lo
	s_or_b32 s33, s33, s35
.LBB200_39:                             ;   in Loop: Header=BB200_30 Depth=3
	s_or_b32 exec_lo, exec_lo, s34
	s_delay_alu instid0(SALU_CYCLE_1)
	s_and_b32 s33, s33, exec_lo
.LBB200_40:                             ;   in Loop: Header=BB200_30 Depth=3
	s_and_not1_saveexec_b32 s29, s29
	s_cbranch_execz .LBB200_29
; %bb.41:                               ;   in Loop: Header=BB200_30 Depth=3
	v_lshlrev_b32_e32 v29, 3, v38
	s_mov_b32 s34, 0
	s_delay_alu instid0(VALU_DEP_1) | instskip(NEXT) | instid1(VALU_DEP_1)
	v_lshl_or_b32 v29, v32, 9, v29
	v_add_nc_u32_e32 v39, v37, v29
	ds_load_b64 v[29:30], v39
.LBB200_42:                             ;   Parent Loop BB200_15 Depth=1
                                        ;     Parent Loop BB200_18 Depth=2
                                        ;       Parent Loop BB200_30 Depth=3
                                        ; =>      This Inner Loop Header: Depth=4
	s_waitcnt lgkmcnt(0)
	v_add_f64 v[40:41], v[29:30], v[27:28]
	ds_cmpstore_rtn_b64 v[40:41], v39, v[40:41], v[29:30]
	s_waitcnt lgkmcnt(0)
	v_cmp_eq_u64_e32 vcc_lo, v[40:41], v[29:30]
	v_dual_mov_b32 v29, v40 :: v_dual_mov_b32 v30, v41
	s_or_b32 s34, vcc_lo, s34
	s_delay_alu instid0(SALU_CYCLE_1)
	s_and_not1_b32 exec_lo, exec_lo, s34
	s_cbranch_execnz .LBB200_42
; %bb.43:                               ;   in Loop: Header=BB200_30 Depth=3
	s_or_b32 exec_lo, exec_lo, s34
	s_delay_alu instid0(SALU_CYCLE_1)
	s_and_not1_b32 s33, s33, exec_lo
	s_branch .LBB200_29
.LBB200_44:
	s_or_b32 exec_lo, exec_lo, s5
.LBB200_45:
	s_delay_alu instid0(SALU_CYCLE_1)
	s_and_not1_b32 vcc_lo, exec_lo, s12
	s_barrier
	buffer_gl0_inv
	s_cbranch_vccnz .LBB200_67
; %bb.46:
	v_add_co_u32 v1, vcc_lo, s16, v7
	v_add_co_ci_u32_e32 v2, vcc_lo, s17, v8, vcc_lo
	s_mov_b32 s1, exec_lo
	global_load_b128 v[1:4], v[1:2], off
	s_waitcnt vmcnt(0)
	v_cmpx_lt_i64_e64 v[1:2], v[3:4]
	s_cbranch_execz .LBB200_66
; %bb.47:
	v_mul_lo_u32 v9, v35, s7
	v_dual_mov_b32 v10, 0 :: v_dual_lshlrev_b32 v15, 3, v35
	v_sub_co_u32 v3, vcc_lo, v3, s39
	v_subrev_co_ci_u32_e32 v4, vcc_lo, 0, v4, vcc_lo
	v_lshlrev_b32_e32 v14, 3, v36
	s_delay_alu instid0(VALU_DEP_4)
	v_lshlrev_b64 v[11:12], 3, v[9:10]
	v_mul_lo_u32 v9, v36, s7
	v_max_i32_e32 v13, v35, v36
	s_cmp_eq_u32 s4, 0
	s_mov_b32 s3, 0
	s_cselect_b32 s0, -1, 0
	v_add_co_u32 v11, vcc_lo, s20, v11
	v_add_co_ci_u32_e32 v12, vcc_lo, s21, v12, vcc_lo
	s_delay_alu instid0(VALU_DEP_4) | instskip(NEXT) | instid1(VALU_DEP_1)
	v_lshlrev_b64 v[9:10], 3, v[9:10]
	v_add_co_u32 v9, vcc_lo, s20, v9
	s_delay_alu instid0(VALU_DEP_2) | instskip(SKIP_2) | instid1(VALU_DEP_4)
	v_add_co_ci_u32_e32 v10, vcc_lo, s21, v10, vcc_lo
	v_add_co_u32 v11, vcc_lo, v11, v14
	v_add_co_ci_u32_e32 v12, vcc_lo, 0, v12, vcc_lo
	v_add_co_u32 v9, vcc_lo, v9, v15
	s_delay_alu instid0(VALU_DEP_4) | instskip(SKIP_3) | instid1(VALU_DEP_4)
	v_add_co_ci_u32_e32 v10, vcc_lo, 0, v10, vcc_lo
	v_sub_co_u32 v1, vcc_lo, v1, s39
	v_subrev_co_ci_u32_e32 v2, vcc_lo, 0, v2, vcc_lo
	v_cmp_gt_i32_e32 vcc_lo, s7, v13
	v_cndmask_b32_e64 v13, v12, v10, s0
	v_cndmask_b32_e64 v14, v11, v9, s0
	v_lshlrev_b32_e32 v15, 3, v38
	s_branch .LBB200_49
.LBB200_48:                             ;   in Loop: Header=BB200_49 Depth=1
	s_or_b32 exec_lo, exec_lo, s5
	v_add_co_u32 v1, s0, v1, 1
	s_delay_alu instid0(VALU_DEP_1) | instskip(NEXT) | instid1(VALU_DEP_1)
	v_add_co_ci_u32_e64 v2, s0, 0, v2, s0
	v_cmp_ge_i64_e64 s0, v[1:2], v[3:4]
	s_delay_alu instid0(VALU_DEP_1) | instskip(NEXT) | instid1(SALU_CYCLE_1)
	s_or_b32 s3, s0, s3
	s_and_not1_b32 exec_lo, exec_lo, s3
	s_cbranch_execz .LBB200_66
.LBB200_49:                             ; =>This Loop Header: Depth=1
                                        ;     Child Loop BB200_52 Depth 2
                                        ;       Child Loop BB200_58 Depth 3
                                        ;       Child Loop BB200_64 Depth 3
	s_and_saveexec_b32 s5, vcc_lo
	s_cbranch_execz .LBB200_48
; %bb.50:                               ;   in Loop: Header=BB200_49 Depth=1
	v_mad_u64_u32 v[9:10], null, v1, s2, 0
	s_mov_b32 s8, 0
	s_delay_alu instid0(VALU_DEP_1) | instskip(NEXT) | instid1(VALU_DEP_1)
	v_mad_u64_u32 v[11:12], null, v2, s2, v[10:11]
	v_mov_b32_e32 v10, v11
	v_lshlrev_b64 v[11:12], 2, v[1:2]
	s_delay_alu instid0(VALU_DEP_2) | instskip(NEXT) | instid1(VALU_DEP_1)
	v_lshlrev_b64 v[9:10], 3, v[9:10]
	v_add_co_u32 v9, s0, v14, v9
	s_delay_alu instid0(VALU_DEP_1) | instskip(NEXT) | instid1(VALU_DEP_4)
	v_add_co_ci_u32_e64 v10, s0, v13, v10, s0
	v_add_co_u32 v11, s0, s18, v11
	s_delay_alu instid0(VALU_DEP_1)
	v_add_co_ci_u32_e64 v12, s0, s19, v12, s0
	global_load_b64 v[9:10], v[9:10], off
	global_load_b32 v11, v[11:12], off
	s_waitcnt vmcnt(1)
	v_mul_f64 v[9:10], v[5:6], v[9:10]
	s_waitcnt vmcnt(0)
	v_subrev_nc_u32_e32 v16, s39, v11
	s_delay_alu instid0(VALU_DEP_1)
	v_and_b32_e32 v17, 7, v16
	s_branch .LBB200_52
.LBB200_51:                             ;   in Loop: Header=BB200_52 Depth=2
	s_or_b32 exec_lo, exec_lo, s9
	s_xor_b32 s0, s10, -1
	s_delay_alu instid0(SALU_CYCLE_1) | instskip(NEXT) | instid1(SALU_CYCLE_1)
	s_and_b32 s0, exec_lo, s0
	s_or_b32 s8, s0, s8
	s_delay_alu instid0(SALU_CYCLE_1)
	s_and_not1_b32 exec_lo, exec_lo, s8
	s_cbranch_execz .LBB200_48
.LBB200_52:                             ;   Parent Loop BB200_49 Depth=1
                                        ; =>  This Loop Header: Depth=2
                                        ;       Child Loop BB200_58 Depth 3
                                        ;       Child Loop BB200_64 Depth 3
	s_delay_alu instid0(VALU_DEP_1)
	v_lshl_add_u32 v11, v17, 2, v33
	s_mov_b32 s9, exec_lo
                                        ; implicit-def: $sgpr10
	ds_load_b32 v12, v11
	s_waitcnt lgkmcnt(0)
	v_cmpx_ne_u32_e64 v12, v16
	s_xor_b32 s9, exec_lo, s9
	s_cbranch_execz .LBB200_62
; %bb.53:                               ;   in Loop: Header=BB200_52 Depth=2
	v_cmp_ne_u32_e64 s0, s6, v12
                                        ; implicit-def: $sgpr10
	s_delay_alu instid0(VALU_DEP_1) | instskip(NEXT) | instid1(SALU_CYCLE_1)
	s_and_saveexec_b32 s11, s0
	s_xor_b32 s0, exec_lo, s11
; %bb.54:                               ;   in Loop: Header=BB200_52 Depth=2
	v_add_nc_u32_e32 v11, 1, v17
	s_mov_b32 s10, -1
	s_delay_alu instid0(VALU_DEP_1)
	v_and_b32_e32 v17, 7, v11
                                        ; implicit-def: $vgpr11
; %bb.55:                               ;   in Loop: Header=BB200_52 Depth=2
	s_and_not1_saveexec_b32 s11, s0
	s_cbranch_execz .LBB200_61
; %bb.56:                               ;   in Loop: Header=BB200_52 Depth=2
	v_mov_b32_e32 v12, s6
	s_mov_b32 s13, -1
	s_mov_b32 s12, exec_lo
	ds_cmpstore_rtn_b32 v11, v11, v16, v12
	s_waitcnt lgkmcnt(0)
	v_cmpx_eq_u32_e64 s6, v11
	s_cbranch_execz .LBB200_60
; %bb.57:                               ;   in Loop: Header=BB200_52 Depth=2
	v_lshl_or_b32 v11, v17, 9, v15
	s_mov_b32 s13, 0
	s_delay_alu instid0(VALU_DEP_1)
	v_add_nc_u32_e32 v18, v37, v11
	ds_load_b64 v[11:12], v18
.LBB200_58:                             ;   Parent Loop BB200_49 Depth=1
                                        ;     Parent Loop BB200_52 Depth=2
                                        ; =>    This Inner Loop Header: Depth=3
	s_waitcnt lgkmcnt(0)
	v_add_f64 v[19:20], v[11:12], v[9:10]
	ds_cmpstore_rtn_b64 v[19:20], v18, v[19:20], v[11:12]
	s_waitcnt lgkmcnt(0)
	v_cmp_eq_u64_e64 s0, v[19:20], v[11:12]
	v_dual_mov_b32 v11, v19 :: v_dual_mov_b32 v12, v20
	s_delay_alu instid0(VALU_DEP_2) | instskip(NEXT) | instid1(SALU_CYCLE_1)
	s_or_b32 s13, s0, s13
	s_and_not1_b32 exec_lo, exec_lo, s13
	s_cbranch_execnz .LBB200_58
; %bb.59:                               ;   in Loop: Header=BB200_52 Depth=2
	s_or_b32 exec_lo, exec_lo, s13
	s_delay_alu instid0(SALU_CYCLE_1)
	s_xor_b32 s13, exec_lo, -1
.LBB200_60:                             ;   in Loop: Header=BB200_52 Depth=2
	s_or_b32 exec_lo, exec_lo, s12
	s_delay_alu instid0(SALU_CYCLE_1) | instskip(SKIP_1) | instid1(SALU_CYCLE_1)
	s_and_not1_b32 s0, s10, exec_lo
	s_and_b32 s10, s13, exec_lo
	s_or_b32 s10, s0, s10
.LBB200_61:                             ;   in Loop: Header=BB200_52 Depth=2
	s_or_b32 exec_lo, exec_lo, s11
	s_delay_alu instid0(SALU_CYCLE_1)
	s_and_b32 s10, s10, exec_lo
.LBB200_62:                             ;   in Loop: Header=BB200_52 Depth=2
	s_and_not1_saveexec_b32 s9, s9
	s_cbranch_execz .LBB200_51
; %bb.63:                               ;   in Loop: Header=BB200_52 Depth=2
	v_lshl_or_b32 v11, v17, 9, v15
	s_mov_b32 s11, 0
	s_delay_alu instid0(VALU_DEP_1)
	v_add_nc_u32_e32 v18, v37, v11
	ds_load_b64 v[11:12], v18
.LBB200_64:                             ;   Parent Loop BB200_49 Depth=1
                                        ;     Parent Loop BB200_52 Depth=2
                                        ; =>    This Inner Loop Header: Depth=3
	s_waitcnt lgkmcnt(0)
	v_add_f64 v[19:20], v[11:12], v[9:10]
	ds_cmpstore_rtn_b64 v[19:20], v18, v[19:20], v[11:12]
	s_waitcnt lgkmcnt(0)
	v_cmp_eq_u64_e64 s0, v[19:20], v[11:12]
	v_dual_mov_b32 v11, v19 :: v_dual_mov_b32 v12, v20
	s_delay_alu instid0(VALU_DEP_2) | instskip(NEXT) | instid1(SALU_CYCLE_1)
	s_or_b32 s11, s0, s11
	s_and_not1_b32 exec_lo, exec_lo, s11
	s_cbranch_execnz .LBB200_64
; %bb.65:                               ;   in Loop: Header=BB200_52 Depth=2
	s_or_b32 exec_lo, exec_lo, s11
	s_delay_alu instid0(SALU_CYCLE_1)
	s_and_not1_b32 s10, s10, exec_lo
	s_branch .LBB200_51
.LBB200_66:
	s_or_b32 exec_lo, exec_lo, s1
.LBB200_67:
	v_add_co_u32 v1, vcc_lo, s22, v7
	v_add_co_ci_u32_e32 v2, vcc_lo, s23, v8, vcc_lo
	s_barrier
	buffer_gl0_inv
	global_load_b64 v[4:5], v[1:2], off
	v_mul_lo_u32 v1, v36, s7
	v_dual_mov_b32 v2, 0 :: v_dual_and_b32 v7, 56, v0
	v_max_i32_e32 v3, v35, v36
	v_lshlrev_b32_e32 v6, 3, v35
	s_cmp_eq_u32 s4, 0
	s_mov_b32 s1, 0
	s_cselect_b32 s0, -1, 0
	s_delay_alu instid0(VALU_DEP_4) | instskip(SKIP_3) | instid1(VALU_DEP_4)
	v_lshlrev_b64 v[0:1], 3, v[1:2]
	v_cmp_gt_i32_e32 vcc_lo, s7, v3
	v_cndmask_b32_e64 v2, v6, v7, s0
	v_cndmask_b32_e64 v3, v36, v35, s0
	v_add_co_u32 v0, s0, s42, v0
	s_delay_alu instid0(VALU_DEP_1) | instskip(NEXT) | instid1(VALU_DEP_3)
	v_add_co_ci_u32_e64 v1, s0, s43, v1, s0
	v_or_b32_e32 v7, v3, v2
	s_delay_alu instid0(VALU_DEP_3) | instskip(NEXT) | instid1(VALU_DEP_1)
	v_add_co_u32 v2, s0, v0, v6
	v_add_co_ci_u32_e64 v3, s0, 0, v1, s0
	s_delay_alu instid0(VALU_DEP_3) | instskip(SKIP_2) | instid1(VALU_DEP_1)
	v_lshl_add_u32 v6, v7, 3, v34
	s_waitcnt vmcnt(0)
	v_sub_co_u32 v4, s0, v4, s38
	v_subrev_co_ci_u32_e64 v5, s0, 0, v5, s0
	s_branch .LBB200_69
.LBB200_68:                             ;   in Loop: Header=BB200_69 Depth=1
	s_or_b32 exec_lo, exec_lo, s3
	v_add_nc_u32_e32 v6, 0x200, v6
	s_add_i32 s1, s1, 4
	s_delay_alu instid0(SALU_CYCLE_1)
	s_cmp_lg_u32 s1, 32
	s_cbranch_scc0 .LBB200_72
.LBB200_69:                             ; =>This Inner Loop Header: Depth=1
	v_add_nc_u32_e32 v0, s1, v33
	s_mov_b32 s3, exec_lo
	ds_load_b32 v7, v0
	s_waitcnt lgkmcnt(0)
	v_cmpx_gt_i32_e64 s6, v7
	s_cbranch_execz .LBB200_68
; %bb.70:                               ;   in Loop: Header=BB200_69 Depth=1
	ds_load_b128 v[8:11], v33
	ds_load_b128 v[12:15], v33 offset:16
	s_waitcnt lgkmcnt(1)
	v_cmp_gt_i32_e64 s0, v7, v8
	s_delay_alu instid0(VALU_DEP_1) | instskip(SKIP_1) | instid1(VALU_DEP_1)
	v_cndmask_b32_e64 v0, 0, 1, s0
	v_cmp_gt_i32_e64 s0, v7, v9
	v_cndmask_b32_e64 v1, 0, 1, s0
	s_delay_alu instid0(VALU_DEP_3) | instskip(NEXT) | instid1(VALU_DEP_1)
	v_add_co_u32 v0, s0, v4, v0
	v_add_co_ci_u32_e64 v8, s0, 0, v5, s0
	v_cmp_gt_i32_e64 s0, v7, v10
	v_add_nc_u32_e32 v10, s38, v7
	s_delay_alu instid0(VALU_DEP_2) | instskip(SKIP_1) | instid1(VALU_DEP_1)
	v_cndmask_b32_e64 v9, 0, 1, s0
	v_add_co_u32 v0, s0, v0, v1
	v_add_co_ci_u32_e64 v1, s0, 0, v8, s0
	v_cmp_gt_i32_e64 s0, v7, v11
	s_delay_alu instid0(VALU_DEP_1) | instskip(NEXT) | instid1(VALU_DEP_4)
	v_cndmask_b32_e64 v8, 0, 1, s0
	v_add_co_u32 v0, s0, v0, v9
	s_delay_alu instid0(VALU_DEP_1) | instskip(SKIP_2) | instid1(VALU_DEP_1)
	v_add_co_ci_u32_e64 v1, s0, 0, v1, s0
	s_waitcnt lgkmcnt(0)
	v_cmp_gt_i32_e64 s0, v7, v12
	v_cndmask_b32_e64 v9, 0, 1, s0
	v_add_co_u32 v0, s0, v0, v8
	s_delay_alu instid0(VALU_DEP_1) | instskip(SKIP_1) | instid1(VALU_DEP_1)
	v_add_co_ci_u32_e64 v1, s0, 0, v1, s0
	v_cmp_gt_i32_e64 s0, v7, v13
	v_cndmask_b32_e64 v8, 0, 1, s0
	s_delay_alu instid0(VALU_DEP_4) | instskip(NEXT) | instid1(VALU_DEP_1)
	v_add_co_u32 v0, s0, v0, v9
	v_add_co_ci_u32_e64 v1, s0, 0, v1, s0
	v_cmp_gt_i32_e64 s0, v7, v14
	s_delay_alu instid0(VALU_DEP_1) | instskip(NEXT) | instid1(VALU_DEP_4)
	v_cndmask_b32_e64 v9, 0, 1, s0
	v_add_co_u32 v0, s0, v0, v8
	s_delay_alu instid0(VALU_DEP_1) | instskip(SKIP_1) | instid1(VALU_DEP_1)
	v_add_co_ci_u32_e64 v1, s0, 0, v1, s0
	v_cmp_gt_i32_e64 s0, v7, v15
	v_cndmask_b32_e64 v8, 0, 1, s0
	s_delay_alu instid0(VALU_DEP_4) | instskip(NEXT) | instid1(VALU_DEP_1)
	v_add_co_u32 v0, s0, v0, v9
	v_add_co_ci_u32_e64 v1, s0, 0, v1, s0
	s_delay_alu instid0(VALU_DEP_2) | instskip(NEXT) | instid1(VALU_DEP_1)
	v_add_co_u32 v0, s0, v0, v8
	v_add_co_ci_u32_e64 v1, s0, 0, v1, s0
	s_delay_alu instid0(VALU_DEP_1) | instskip(NEXT) | instid1(VALU_DEP_1)
	v_lshlrev_b64 v[8:9], 2, v[0:1]
	v_add_co_u32 v7, s0, s40, v8
	s_delay_alu instid0(VALU_DEP_1)
	v_add_co_ci_u32_e64 v8, s0, s41, v9, s0
	global_store_b32 v[7:8], v10, off
	s_and_b32 exec_lo, exec_lo, vcc_lo
	s_cbranch_execz .LBB200_68
; %bb.71:                               ;   in Loop: Header=BB200_69 Depth=1
	v_mad_u64_u32 v[7:8], null, v0, s2, 0
	s_delay_alu instid0(VALU_DEP_1) | instskip(NEXT) | instid1(VALU_DEP_1)
	v_mov_b32_e32 v0, v8
	v_mad_u64_u32 v[8:9], null, v1, s2, v[0:1]
	ds_load_b64 v[0:1], v6
	v_lshlrev_b64 v[7:8], 3, v[7:8]
	s_delay_alu instid0(VALU_DEP_1) | instskip(NEXT) | instid1(VALU_DEP_1)
	v_add_co_u32 v7, s0, v2, v7
	v_add_co_ci_u32_e64 v8, s0, v3, v8, s0
	s_waitcnt lgkmcnt(0)
	global_store_b64 v[7:8], v[0:1], off
	s_branch .LBB200_68
.LBB200_72:
	s_nop 0
	s_sendmsg sendmsg(MSG_DEALLOC_VGPRS)
	s_endpgm
	.section	.rodata,"a",@progbits
	.p2align	6, 0x0
	.amdhsa_kernel _ZN9rocsparseL23bsrgemm_fill_wf_per_rowILj256ELj64ELj8ELj137ELj8ElidEEv20rocsparse_direction_T5_S2_S2_PKS2_S4_NS_24const_host_device_scalarIT6_EEPKT4_S4_PKS6_SA_S4_SC_S7_SA_S4_SC_SA_PS2_PS6_21rocsparse_index_base_SF_SF_SF_bbb
		.amdhsa_group_segment_fixed_size 16512
		.amdhsa_private_segment_fixed_size 0
		.amdhsa_kernarg_size 164
		.amdhsa_user_sgpr_count 15
		.amdhsa_user_sgpr_dispatch_ptr 0
		.amdhsa_user_sgpr_queue_ptr 0
		.amdhsa_user_sgpr_kernarg_segment_ptr 1
		.amdhsa_user_sgpr_dispatch_id 0
		.amdhsa_user_sgpr_private_segment_size 0
		.amdhsa_wavefront_size32 1
		.amdhsa_uses_dynamic_stack 0
		.amdhsa_enable_private_segment 0
		.amdhsa_system_sgpr_workgroup_id_x 1
		.amdhsa_system_sgpr_workgroup_id_y 0
		.amdhsa_system_sgpr_workgroup_id_z 0
		.amdhsa_system_sgpr_workgroup_info 0
		.amdhsa_system_vgpr_workitem_id 0
		.amdhsa_next_free_vgpr 44
		.amdhsa_next_free_sgpr 48
		.amdhsa_reserve_vcc 1
		.amdhsa_float_round_mode_32 0
		.amdhsa_float_round_mode_16_64 0
		.amdhsa_float_denorm_mode_32 3
		.amdhsa_float_denorm_mode_16_64 3
		.amdhsa_dx10_clamp 1
		.amdhsa_ieee_mode 1
		.amdhsa_fp16_overflow 0
		.amdhsa_workgroup_processor_mode 1
		.amdhsa_memory_ordered 1
		.amdhsa_forward_progress 0
		.amdhsa_shared_vgpr_count 0
		.amdhsa_exception_fp_ieee_invalid_op 0
		.amdhsa_exception_fp_denorm_src 0
		.amdhsa_exception_fp_ieee_div_zero 0
		.amdhsa_exception_fp_ieee_overflow 0
		.amdhsa_exception_fp_ieee_underflow 0
		.amdhsa_exception_fp_ieee_inexact 0
		.amdhsa_exception_int_div_zero 0
	.end_amdhsa_kernel
	.section	.text._ZN9rocsparseL23bsrgemm_fill_wf_per_rowILj256ELj64ELj8ELj137ELj8ElidEEv20rocsparse_direction_T5_S2_S2_PKS2_S4_NS_24const_host_device_scalarIT6_EEPKT4_S4_PKS6_SA_S4_SC_S7_SA_S4_SC_SA_PS2_PS6_21rocsparse_index_base_SF_SF_SF_bbb,"axG",@progbits,_ZN9rocsparseL23bsrgemm_fill_wf_per_rowILj256ELj64ELj8ELj137ELj8ElidEEv20rocsparse_direction_T5_S2_S2_PKS2_S4_NS_24const_host_device_scalarIT6_EEPKT4_S4_PKS6_SA_S4_SC_S7_SA_S4_SC_SA_PS2_PS6_21rocsparse_index_base_SF_SF_SF_bbb,comdat
.Lfunc_end200:
	.size	_ZN9rocsparseL23bsrgemm_fill_wf_per_rowILj256ELj64ELj8ELj137ELj8ElidEEv20rocsparse_direction_T5_S2_S2_PKS2_S4_NS_24const_host_device_scalarIT6_EEPKT4_S4_PKS6_SA_S4_SC_S7_SA_S4_SC_SA_PS2_PS6_21rocsparse_index_base_SF_SF_SF_bbb, .Lfunc_end200-_ZN9rocsparseL23bsrgemm_fill_wf_per_rowILj256ELj64ELj8ELj137ELj8ElidEEv20rocsparse_direction_T5_S2_S2_PKS2_S4_NS_24const_host_device_scalarIT6_EEPKT4_S4_PKS6_SA_S4_SC_S7_SA_S4_SC_SA_PS2_PS6_21rocsparse_index_base_SF_SF_SF_bbb
                                        ; -- End function
	.section	.AMDGPU.csdata,"",@progbits
; Kernel info:
; codeLenInByte = 3392
; NumSgprs: 50
; NumVgprs: 44
; ScratchSize: 0
; MemoryBound: 0
; FloatMode: 240
; IeeeMode: 1
; LDSByteSize: 16512 bytes/workgroup (compile time only)
; SGPRBlocks: 6
; VGPRBlocks: 5
; NumSGPRsForWavesPerEU: 50
; NumVGPRsForWavesPerEU: 44
; Occupancy: 14
; WaveLimiterHint : 1
; COMPUTE_PGM_RSRC2:SCRATCH_EN: 0
; COMPUTE_PGM_RSRC2:USER_SGPR: 15
; COMPUTE_PGM_RSRC2:TRAP_HANDLER: 0
; COMPUTE_PGM_RSRC2:TGID_X_EN: 1
; COMPUTE_PGM_RSRC2:TGID_Y_EN: 0
; COMPUTE_PGM_RSRC2:TGID_Z_EN: 0
; COMPUTE_PGM_RSRC2:TIDIG_COMP_CNT: 0
	.section	.text._ZN9rocsparseL38bsrgemm_block_per_row_atomic_multipassILj256ELj16ELj8ElidEEv20rocsparse_direction_T3_S2_PKS2_S4_NS_24const_host_device_scalarIT4_EEPKT2_S4_PKS6_SA_S4_SC_S7_SA_S4_SC_SA_PS2_PS6_PS8_21rocsparse_index_base_SG_SG_SG_bbb,"axG",@progbits,_ZN9rocsparseL38bsrgemm_block_per_row_atomic_multipassILj256ELj16ELj8ElidEEv20rocsparse_direction_T3_S2_PKS2_S4_NS_24const_host_device_scalarIT4_EEPKT2_S4_PKS6_SA_S4_SC_S7_SA_S4_SC_SA_PS2_PS6_PS8_21rocsparse_index_base_SG_SG_SG_bbb,comdat
	.globl	_ZN9rocsparseL38bsrgemm_block_per_row_atomic_multipassILj256ELj16ELj8ElidEEv20rocsparse_direction_T3_S2_PKS2_S4_NS_24const_host_device_scalarIT4_EEPKT2_S4_PKS6_SA_S4_SC_S7_SA_S4_SC_SA_PS2_PS6_PS8_21rocsparse_index_base_SG_SG_SG_bbb ; -- Begin function _ZN9rocsparseL38bsrgemm_block_per_row_atomic_multipassILj256ELj16ELj8ElidEEv20rocsparse_direction_T3_S2_PKS2_S4_NS_24const_host_device_scalarIT4_EEPKT2_S4_PKS6_SA_S4_SC_S7_SA_S4_SC_SA_PS2_PS6_PS8_21rocsparse_index_base_SG_SG_SG_bbb
	.p2align	8
	.type	_ZN9rocsparseL38bsrgemm_block_per_row_atomic_multipassILj256ELj16ELj8ElidEEv20rocsparse_direction_T3_S2_PKS2_S4_NS_24const_host_device_scalarIT4_EEPKT2_S4_PKS6_SA_S4_SC_S7_SA_S4_SC_SA_PS2_PS6_PS8_21rocsparse_index_base_SG_SG_SG_bbb,@function
_ZN9rocsparseL38bsrgemm_block_per_row_atomic_multipassILj256ELj16ELj8ElidEEv20rocsparse_direction_T3_S2_PKS2_S4_NS_24const_host_device_scalarIT4_EEPKT2_S4_PKS6_SA_S4_SC_S7_SA_S4_SC_SA_PS2_PS6_PS8_21rocsparse_index_base_SG_SG_SG_bbb: ; @_ZN9rocsparseL38bsrgemm_block_per_row_atomic_multipassILj256ELj16ELj8ElidEEv20rocsparse_direction_T3_S2_PKS2_S4_NS_24const_host_device_scalarIT4_EEPKT2_S4_PKS6_SA_S4_SC_S7_SA_S4_SC_SA_PS2_PS6_PS8_21rocsparse_index_base_SG_SG_SG_bbb
; %bb.0:
	s_clause 0x3
	s_load_b32 s3, s[0:1], 0xa8
	s_load_b64 s[6:7], s[0:1], 0x20
	s_load_b128 s[28:31], s[0:1], 0x98
	s_load_b64 s[4:5], s[0:1], 0x58
	s_mov_b32 s2, s15
	s_waitcnt lgkmcnt(0)
	s_and_b32 s9, 1, s3
	s_bitcmp1_b32 s3, 16
	s_cselect_b32 s8, -1, 0
	s_cmp_eq_u32 s9, 1
	s_cselect_b32 s52, -1, 0
	s_delay_alu instid0(SALU_CYCLE_1)
	s_and_b32 s9, s52, exec_lo
	s_cselect_b32 s11, s7, 0
	s_cselect_b32 s10, s6, 0
	s_xor_b32 s9, s52, -1
	v_dual_mov_b32 v1, s10 :: v_dual_mov_b32 v2, s11
	s_or_b32 s9, s9, s8
	s_delay_alu instid0(SALU_CYCLE_1)
	s_and_b32 vcc_lo, exec_lo, s9
	s_cbranch_vccnz .LBB201_2
; %bb.1:
	v_dual_mov_b32 v1, s6 :: v_dual_mov_b32 v2, s7
	flat_load_b64 v[1:2], v[1:2]
.LBB201_2:
	s_load_b64 s[6:7], s[0:1], 0x18
	s_bitcmp1_b32 s3, 8
	s_cselect_b32 s33, -1, 0
	s_delay_alu instid0(SALU_CYCLE_1)
	s_and_b32 s3, s33, exec_lo
	s_cselect_b32 s11, s5, 0
	s_cselect_b32 s10, s4, 0
	s_xor_b32 s3, s33, -1
	v_dual_mov_b32 v3, s10 :: v_dual_mov_b32 v4, s11
	s_or_b32 s3, s3, s8
	s_delay_alu instid0(SALU_CYCLE_1)
	s_and_b32 vcc_lo, exec_lo, s3
	s_cbranch_vccnz .LBB201_4
; %bb.3:
	v_dual_mov_b32 v3, s4 :: v_dual_mov_b32 v4, s5
	flat_load_b64 v[3:4], v[3:4]
.LBB201_4:
	s_load_b64 s[4:5], s[0:1], 0x28
	s_waitcnt lgkmcnt(0)
	s_cmp_eq_u64 s[6:7], 0
	s_mov_b64 s[34:35], 0
	s_cbranch_scc1 .LBB201_6
; %bb.5:
	s_load_b64 s[8:9], s[0:1], 0x10
	s_waitcnt lgkmcnt(0)
	s_load_b32 s3, s[8:9], 0x0
	s_waitcnt lgkmcnt(0)
	s_add_i32 s2, s3, s2
	s_mov_b32 s3, 0
	s_delay_alu instid0(SALU_CYCLE_1) | instskip(NEXT) | instid1(SALU_CYCLE_1)
	s_lshl_b64 s[2:3], s[2:3], 2
	s_add_u32 s2, s6, s2
	s_addc_u32 s3, s7, s3
	s_load_b32 s2, s[2:3], 0x0
.LBB201_6:
	s_and_not1_b32 vcc_lo, exec_lo, s52
	s_cbranch_vccz .LBB201_9
; %bb.7:
	s_and_not1_b32 vcc_lo, exec_lo, s52
	s_mov_b64 s[40:41], 0
	s_cbranch_vccz .LBB201_10
.LBB201_8:
	s_load_b128 s[36:39], s[0:1], 0x0
	s_waitcnt lgkmcnt(0)
	s_cmp_lt_i32 s37, 1
	s_cbranch_scc0 .LBB201_11
	s_branch .LBB201_91
.LBB201_9:
	s_waitcnt lgkmcnt(0)
	s_ashr_i32 s3, s2, 31
	s_delay_alu instid0(SALU_CYCLE_1) | instskip(NEXT) | instid1(SALU_CYCLE_1)
	s_lshl_b64 s[6:7], s[2:3], 3
	s_add_u32 s6, s4, s6
	s_addc_u32 s7, s5, s7
	s_load_b64 s[6:7], s[6:7], 0x0
	s_waitcnt lgkmcnt(0)
	s_sub_u32 s34, s6, s28
	s_subb_u32 s35, s7, 0
	s_and_not1_b32 vcc_lo, exec_lo, s52
	s_mov_b64 s[40:41], 0
	s_cbranch_vccnz .LBB201_8
.LBB201_10:
	s_waitcnt lgkmcnt(0)
	s_ashr_i32 s3, s2, 31
	s_delay_alu instid0(SALU_CYCLE_1) | instskip(NEXT) | instid1(SALU_CYCLE_1)
	s_lshl_b64 s[6:7], s[2:3], 3
	s_add_u32 s4, s4, s6
	s_addc_u32 s5, s5, s7
	s_load_b64 s[4:5], s[4:5], 0x8
	s_waitcnt lgkmcnt(0)
	s_sub_u32 s40, s4, s28
	s_subb_u32 s41, s5, 0
	s_load_b128 s[36:39], s[0:1], 0x0
	s_waitcnt lgkmcnt(0)
	s_cmp_lt_i32 s37, 1
	s_cbranch_scc1 .LBB201_91
.LBB201_11:
	s_clause 0x4
	s_load_b256 s[12:19], s[0:1], 0x60
	s_load_b64 s[42:43], s[0:1], 0x90
	s_load_b128 s[8:11], s[0:1], 0x80
	s_load_b64 s[46:47], s[0:1], 0x50
	s_load_b256 s[20:27], s[0:1], 0x30
	v_bfe_u32 v9, v0, 3, 3
	v_dual_mov_b32 v5, 0 :: v_dual_and_b32 v10, 63, v0
	v_and_b32_e32 v30, 7, v0
	s_ashr_i32 s3, s2, 31
	s_delay_alu instid0(VALU_DEP_3)
	v_mul_lo_u32 v6, v9, s38
	s_lshl_b64 s[4:5], s[2:3], 3
	v_mov_b32_e32 v7, v5
	v_mul_lo_u32 v8, v30, s38
	v_and_b32_e32 v32, 56, v0
	v_max_i32_e32 v11, v30, v9
	v_mov_b32_e32 v9, v5
	v_lshrrev_b32_e32 v29, 6, v0
	v_lshlrev_b64 v[6:7], 3, v[6:7]
	v_cmp_lt_i64_e64 s39, s[34:35], s[40:41]
	s_waitcnt lgkmcnt(0)
	s_add_u32 s2, s18, s4
	s_addc_u32 s3, s19, s5
	v_lshlrev_b64 v[8:9], 3, v[8:9]
	s_load_b64 s[6:7], s[2:3], 0x0
	v_cmp_gt_i32_e64 s2, s38, v11
	v_add_co_u32 v11, vcc_lo, s22, v6
	v_add_co_ci_u32_e32 v13, vcc_lo, s23, v7, vcc_lo
	s_delay_alu instid0(VALU_DEP_4) | instskip(SKIP_3) | instid1(VALU_DEP_4)
	v_add_co_u32 v14, vcc_lo, s10, v8
	v_add_co_ci_u32_e32 v15, vcc_lo, s11, v9, vcc_lo
	v_add_co_u32 v16, vcc_lo, s10, v6
	v_add_co_ci_u32_e32 v17, vcc_lo, s11, v7, vcc_lo
	v_add_co_u32 v14, vcc_lo, v14, v32
	v_lshlrev_b32_e32 v12, 3, v30
	v_add_co_ci_u32_e32 v15, vcc_lo, 0, v15, vcc_lo
	s_mov_b32 s45, 0
	s_waitcnt lgkmcnt(0)
	s_sub_u32 s18, s6, s30
	s_subb_u32 s19, s7, 0
	v_add_co_u32 v16, vcc_lo, v16, v12
	s_cmp_eq_u32 s36, 0
	v_add_co_ci_u32_e32 v17, vcc_lo, 0, v17, vcc_lo
	s_cselect_b32 vcc_lo, -1, 0
	s_cmp_lg_u32 s36, 0
	v_cndmask_b32_e32 v45, v14, v16, vcc_lo
	v_add_co_u32 v34, s3, v11, v12
	s_delay_alu instid0(VALU_DEP_1) | instskip(SKIP_1) | instid1(VALU_DEP_1)
	v_add_co_ci_u32_e64 v35, s3, 0, v13, s3
	v_add_co_u32 v11, s3, s16, v8
	v_add_co_ci_u32_e64 v13, s3, s17, v9, s3
	v_sub_co_u32 v36, s3, v29, s31
	s_delay_alu instid0(VALU_DEP_1) | instskip(NEXT) | instid1(VALU_DEP_4)
	v_sub_co_ci_u32_e64 v37, null, 0, 0, s3
	v_add_co_u32 v11, s3, v11, v32
	s_delay_alu instid0(VALU_DEP_1) | instskip(SKIP_1) | instid1(VALU_DEP_1)
	v_add_co_ci_u32_e64 v13, s3, 0, v13, s3
	v_add_co_u32 v6, s3, s16, v6
	v_add_co_ci_u32_e64 v7, s3, s17, v7, s3
	s_cselect_b32 s36, -1, 0
	s_delay_alu instid0(VALU_DEP_2) | instskip(SKIP_3) | instid1(VALU_DEP_3)
	v_add_co_u32 v6, s3, v6, v12
	v_and_b32_e32 v18, 15, v0
	s_cmp_gt_i32 s38, 0
	v_add_co_ci_u32_e64 v7, s3, 0, v7, s3
	v_cndmask_b32_e32 v47, v11, v6, vcc_lo
	s_cselect_b32 s49, -1, 0
	s_add_u32 s12, s12, s4
	s_addc_u32 s13, s13, s5
	s_and_b32 s52, s52, s39
	v_dual_cndmask_b32 v44, v15, v17 :: v_dual_lshlrev_b32 v31, 3, v0
	v_dual_cndmask_b32 v46, v13, v7 :: v_dual_lshlrev_b32 v19, 2, v18
	v_add_co_u32 v20, s51, v18, -1
	s_add_u32 s53, s24, 8
	v_lshlrev_b32_e32 v6, 9, v29
	s_addc_u32 s54, s25, 0
	v_add_co_u32 v7, vcc_lo, s46, v8
	s_add_u32 s55, s8, -4
	s_addc_u32 s56, s9, -1
	v_add_co_ci_u32_e32 v8, vcc_lo, s47, v9, vcc_lo
	s_movk_i32 s8, 0x7c0
	v_add_co_u32 v9, s9, s46, v12
	v_mov_b32_e32 v11, s18
	v_cmp_gt_u32_e64 s0, 16, v0
	v_cmp_eq_u32_e64 s1, 0, v0
	v_or_b32_e32 v33, 0x2000, v31
	v_cmp_eq_u32_e64 s3, 63, v10
	v_or_b32_e32 v38, 0x2800, v19
	v_lshl_add_u32 v39, v20, 2, 0x2800
	v_lshl_or_b32 v40, v0, 2, 0x2800
	v_cmp_ne_u32_e64 s4, 0, v18
	v_cmp_lt_u32_e64 s5, 1, v18
	v_dual_mov_b32 v12, s19 :: v_dual_add_nc_u32 v41, 0x27f8, v19
	v_cmp_lt_u32_e64 s6, 3, v18
	v_dual_mov_b32 v53, 16 :: v_dual_add_nc_u32 v42, 0x27f0, v19
	v_cmp_lt_u32_e64 s7, 7, v18
	v_add_nc_u32_e32 v43, 0x27e0, v19
	v_or_b32_e32 v0, 0xffffff00, v0
	v_or3_b32 v48, v6, v32, 0x2000
	v_mov_b32_e32 v6, v5
	v_add_co_ci_u32_e64 v10, null, s47, 0, s9
	v_and_or_b32 v49, v31, s8, 0x2000
	v_lshl_or_b32 v50, v29, 2, 0x2800
	v_dual_mov_b32 v51, 1 :: v_dual_mov_b32 v52, v5
	s_mul_i32 s44, s38, s38
	s_mov_b32 s39, s45
	s_mov_b32 s48, s29
	;; [unrolled: 1-line block ×3, first 2 shown]
	s_lshl_b64 s[16:17], s[44:45], 3
	s_lshl_b64 s[18:19], s[38:39], 3
	s_branch .LBB201_13
.LBB201_12:                             ;   in Loop: Header=BB201_13 Depth=1
	s_set_inst_prefetch_distance 0x2
	s_or_b32 exec_lo, exec_lo, s8
	s_waitcnt_vscnt null, 0x0
	s_barrier
	buffer_gl0_inv
	ds_load_b32 v52, v5 offset:10304
	v_ashrrev_i32_e32 v14, 31, v13
	v_add_co_u32 v11, s8, v11, v13
	s_waitcnt lgkmcnt(0)
	s_barrier
	s_delay_alu instid0(VALU_DEP_2)
	v_add_co_ci_u32_e64 v12, s8, v12, v14, s8
	buffer_gl0_inv
	v_cmp_le_i32_e32 vcc_lo, s37, v52
	v_add_nc_u32_e32 v53, 16, v52
	s_cbranch_vccnz .LBB201_91
.LBB201_13:                             ; =>This Loop Header: Depth=1
                                        ;     Child Loop BB201_16 Depth 2
                                        ;     Child Loop BB201_22 Depth 2
                                        ;       Child Loop BB201_34 Depth 3
                                        ;         Child Loop BB201_43 Depth 4
                                        ;         Child Loop BB201_48 Depth 4
	;; [unrolled: 1-line block ×3, first 2 shown]
                                        ;     Child Loop BB201_61 Depth 2
                                        ;       Child Loop BB201_66 Depth 3
                                        ;     Child Loop BB201_71 Depth 2
                                        ;     Child Loop BB201_88 Depth 2
	s_and_saveexec_b32 s8, s0
	s_cbranch_execz .LBB201_15
; %bb.14:                               ;   in Loop: Header=BB201_13 Depth=1
	ds_store_b32 v40, v5
.LBB201_15:                             ;   in Loop: Header=BB201_13 Depth=1
	s_or_b32 exec_lo, exec_lo, s8
	v_dual_mov_b32 v13, v31 :: v_dual_mov_b32 v14, v0
	s_mov_b32 s8, 0
.LBB201_16:                             ;   Parent Loop BB201_13 Depth=1
                                        ; =>  This Inner Loop Header: Depth=2
	s_delay_alu instid0(VALU_DEP_1) | instskip(SKIP_4) | instid1(SALU_CYCLE_1)
	v_add_nc_u32_e32 v14, 0x100, v14
	ds_store_b64 v13, v[5:6]
	v_add_nc_u32_e32 v13, 0x800, v13
	v_cmp_lt_u32_e32 vcc_lo, 0x2ff, v14
	s_or_b32 s8, vcc_lo, s8
	s_and_not1_b32 exec_lo, exec_lo, s8
	s_cbranch_execnz .LBB201_16
; %bb.17:                               ;   in Loop: Header=BB201_13 Depth=1
	s_or_b32 exec_lo, exec_lo, s8
	s_and_saveexec_b32 s8, s1
	s_cbranch_execz .LBB201_19
; %bb.18:                               ;   in Loop: Header=BB201_13 Depth=1
	v_mov_b32_e32 v13, s37
	ds_store_b32 v5, v13 offset:10304
.LBB201_19:                             ;   in Loop: Header=BB201_13 Depth=1
	s_or_b32 exec_lo, exec_lo, s8
	v_mov_b32_e32 v54, s37
	s_and_not1_b32 vcc_lo, exec_lo, s52
	s_waitcnt vmcnt(0) lgkmcnt(0)
	s_barrier
	buffer_gl0_inv
	s_cbranch_vccnz .LBB201_56
; %bb.20:                               ;   in Loop: Header=BB201_13 Depth=1
	v_cmp_ne_u32_e64 s8, 0, v52
	v_mov_b32_e32 v54, s37
	s_mov_b64 s[22:23], s[34:35]
	s_branch .LBB201_22
.LBB201_21:                             ;   in Loop: Header=BB201_22 Depth=2
	s_or_b32 exec_lo, exec_lo, s10
	s_add_u32 s22, s22, 4
	s_addc_u32 s23, s23, 0
	s_delay_alu instid0(SALU_CYCLE_1) | instskip(NEXT) | instid1(VALU_DEP_1)
	v_cmp_lt_i64_e64 s9, s[22:23], s[40:41]
	s_and_b32 vcc_lo, exec_lo, s9
	s_cbranch_vccz .LBB201_56
.LBB201_22:                             ;   Parent Loop BB201_13 Depth=1
                                        ; =>  This Loop Header: Depth=2
                                        ;       Child Loop BB201_34 Depth 3
                                        ;         Child Loop BB201_43 Depth 4
                                        ;         Child Loop BB201_48 Depth 4
	;; [unrolled: 1-line block ×3, first 2 shown]
	v_add_co_u32 v13, s9, s22, v29
	s_delay_alu instid0(VALU_DEP_1) | instskip(NEXT) | instid1(VALU_DEP_1)
	v_add_co_ci_u32_e64 v14, null, s23, 0, s9
	s_waitcnt_vscnt null, 0x0
	s_barrier
	buffer_gl0_inv
	v_cmp_gt_i64_e64 s9, s[40:41], v[13:14]
	s_delay_alu instid0(VALU_DEP_1)
	s_and_saveexec_b32 s10, s9
	s_cbranch_execz .LBB201_26
; %bb.23:                               ;   in Loop: Header=BB201_22 Depth=2
	v_mov_b32_e32 v15, 0
	v_mov_b32_e32 v16, 0
	s_and_saveexec_b32 s11, s2
	s_cbranch_execz .LBB201_25
; %bb.24:                               ;   in Loop: Header=BB201_22 Depth=2
	v_mad_u64_u32 v[15:16], null, v13, s44, 0
	s_delay_alu instid0(VALU_DEP_1) | instskip(NEXT) | instid1(VALU_DEP_1)
	v_mad_u64_u32 v[17:18], null, v14, s44, v[16:17]
	v_mov_b32_e32 v16, v17
	s_delay_alu instid0(VALU_DEP_1) | instskip(NEXT) | instid1(VALU_DEP_1)
	v_lshlrev_b64 v[15:16], 3, v[15:16]
	v_add_co_u32 v15, vcc_lo, v34, v15
	s_delay_alu instid0(VALU_DEP_2)
	v_add_co_ci_u32_e32 v16, vcc_lo, v35, v16, vcc_lo
	global_load_b64 v[15:16], v[15:16], off
.LBB201_25:                             ;   in Loop: Header=BB201_22 Depth=2
	s_or_b32 exec_lo, exec_lo, s11
	s_waitcnt vmcnt(0)
	ds_store_b64 v33, v[15:16]
.LBB201_26:                             ;   in Loop: Header=BB201_22 Depth=2
	s_or_b32 exec_lo, exec_lo, s10
	v_mov_b32_e32 v15, 0
	v_mov_b32_e32 v16, 0
	s_waitcnt lgkmcnt(0)
	s_barrier
	buffer_gl0_inv
	s_and_saveexec_b32 s11, s9
	s_cbranch_execz .LBB201_53
; %bb.27:                               ;   in Loop: Header=BB201_22 Depth=2
	v_lshlrev_b64 v[15:16], 2, v[13:14]
	s_delay_alu instid0(VALU_DEP_1) | instskip(NEXT) | instid1(VALU_DEP_2)
	v_add_co_u32 v15, vcc_lo, s20, v15
	v_add_co_ci_u32_e32 v16, vcc_lo, s21, v16, vcc_lo
	s_and_b32 vcc_lo, exec_lo, s8
	global_load_b32 v15, v[15:16], off
	s_waitcnt vmcnt(0)
	v_subrev_nc_u32_e32 v17, s28, v15
	s_delay_alu instid0(VALU_DEP_1)
	v_ashrrev_i32_e32 v18, 31, v17
	s_cbranch_vccz .LBB201_55
; %bb.28:                               ;   in Loop: Header=BB201_22 Depth=2
	v_lshlrev_b64 v[15:16], 3, v[13:14]
	s_delay_alu instid0(VALU_DEP_1) | instskip(NEXT) | instid1(VALU_DEP_2)
	v_add_co_u32 v15, vcc_lo, s42, v15
	v_add_co_ci_u32_e32 v16, vcc_lo, s43, v16, vcc_lo
	global_load_b64 v[15:16], v[15:16], off
	s_cbranch_execnz .LBB201_30
.LBB201_29:                             ;   in Loop: Header=BB201_22 Depth=2
	s_waitcnt vmcnt(0)
	s_delay_alu instid0(VALU_DEP_1) | instskip(NEXT) | instid1(VALU_DEP_1)
	v_lshlrev_b64 v[15:16], 3, v[17:18]
	v_add_co_u32 v15, vcc_lo, s24, v15
	s_delay_alu instid0(VALU_DEP_2)
	v_add_co_ci_u32_e32 v16, vcc_lo, s25, v16, vcc_lo
	global_load_b64 v[15:16], v[15:16], off
	s_waitcnt vmcnt(0)
	v_sub_co_u32 v15, vcc_lo, v15, s48
	v_subrev_co_ci_u32_e32 v16, vcc_lo, 0, v16, vcc_lo
.LBB201_30:                             ;   in Loop: Header=BB201_22 Depth=2
	v_lshlrev_b64 v[17:18], 3, v[17:18]
	s_mov_b32 s39, exec_lo
	s_delay_alu instid0(VALU_DEP_1) | instskip(NEXT) | instid1(VALU_DEP_2)
	v_add_co_u32 v17, vcc_lo, s53, v17
	v_add_co_ci_u32_e32 v18, vcc_lo, s54, v18, vcc_lo
	global_load_b64 v[17:18], v[17:18], off
	s_waitcnt vmcnt(0)
	v_sub_co_u32 v17, vcc_lo, v17, s48
	v_subrev_co_ci_u32_e32 v18, vcc_lo, 0, v18, vcc_lo
	s_delay_alu instid0(VALU_DEP_1)
	v_cmpx_lt_i64_e64 v[15:16], v[17:18]
	s_cbranch_execz .LBB201_52
; %bb.31:                               ;   in Loop: Header=BB201_22 Depth=2
	v_mad_u64_u32 v[19:20], null, s16, v15, v[7:8]
	v_mul_lo_u32 v23, s16, v16
	v_mul_lo_u32 v24, s17, v15
	v_mad_u64_u32 v[21:22], null, s16, v15, v[9:10]
	s_mov_b32 s45, 0
	s_delay_alu instid0(VALU_DEP_2) | instskip(NEXT) | instid1(VALU_DEP_2)
	v_add3_u32 v20, v24, v20, v23
	v_add3_u32 v22, v24, v22, v23
	v_dual_mov_b32 v24, v16 :: v_dual_mov_b32 v23, v15
	s_branch .LBB201_34
.LBB201_32:                             ;   in Loop: Header=BB201_34 Depth=3
	s_or_b32 exec_lo, exec_lo, s57
	s_delay_alu instid0(SALU_CYCLE_1)
	s_or_b32 s46, s46, exec_lo
.LBB201_33:                             ;   in Loop: Header=BB201_34 Depth=3
	s_or_b32 exec_lo, exec_lo, s47
	v_add_co_u32 v15, vcc_lo, v15, 1
	v_add_co_ci_u32_e32 v16, vcc_lo, 0, v16, vcc_lo
	v_add_co_u32 v19, s10, v19, s16
	s_xor_b32 s46, s46, -1
	s_delay_alu instid0(VALU_DEP_2)
	v_cmp_ge_i64_e32 vcc_lo, v[15:16], v[17:18]
	v_add_co_ci_u32_e64 v20, s10, s17, v20, s10
	s_or_b32 s10, s46, vcc_lo
	v_add_co_u32 v21, vcc_lo, v21, s16
	v_add_co_ci_u32_e32 v22, vcc_lo, s17, v22, vcc_lo
	s_and_b32 s10, exec_lo, s10
	s_delay_alu instid0(SALU_CYCLE_1) | instskip(NEXT) | instid1(SALU_CYCLE_1)
	s_or_b32 s45, s10, s45
	s_and_not1_b32 exec_lo, exec_lo, s45
	s_cbranch_execz .LBB201_51
.LBB201_34:                             ;   Parent Loop BB201_13 Depth=1
                                        ;     Parent Loop BB201_22 Depth=2
                                        ; =>    This Loop Header: Depth=3
                                        ;         Child Loop BB201_43 Depth 4
                                        ;         Child Loop BB201_48 Depth 4
                                        ;         Child Loop BB201_50 Depth 4
	v_lshlrev_b64 v[25:26], 2, v[15:16]
                                        ; implicit-def: $sgpr46
	s_delay_alu instid0(VALU_DEP_1) | instskip(NEXT) | instid1(VALU_DEP_2)
	v_add_co_u32 v25, vcc_lo, s26, v25
	v_add_co_ci_u32_e32 v26, vcc_lo, s27, v26, vcc_lo
	global_load_b32 v25, v[25:26], off
	s_waitcnt vmcnt(0)
	v_subrev_nc_u32_e32 v25, s29, v25
	s_delay_alu instid0(VALU_DEP_1) | instskip(SKIP_1) | instid1(VALU_DEP_2)
	v_cmp_lt_i32_e64 s10, v25, v52
	v_cmp_ge_i32_e32 vcc_lo, v25, v53
	s_or_b32 s10, s10, vcc_lo
	s_delay_alu instid0(SALU_CYCLE_1) | instskip(NEXT) | instid1(SALU_CYCLE_1)
	s_and_saveexec_b32 s47, s10
	s_xor_b32 s10, exec_lo, s47
	s_cbranch_execz .LBB201_38
; %bb.35:                               ;   in Loop: Header=BB201_34 Depth=3
	s_mov_b32 s46, -1
	s_and_saveexec_b32 s47, vcc_lo
; %bb.36:                               ;   in Loop: Header=BB201_34 Depth=3
	v_min_i32_e32 v54, v25, v54
	v_dual_mov_b32 v24, v16 :: v_dual_mov_b32 v23, v15
	s_xor_b32 s46, exec_lo, -1
; %bb.37:                               ;   in Loop: Header=BB201_34 Depth=3
	s_or_b32 exec_lo, exec_lo, s47
	s_delay_alu instid0(SALU_CYCLE_1)
	s_and_b32 s46, s46, exec_lo
                                        ; implicit-def: $vgpr25
.LBB201_38:                             ;   in Loop: Header=BB201_34 Depth=3
	s_and_not1_saveexec_b32 s47, s10
	s_cbranch_execz .LBB201_33
; %bb.39:                               ;   in Loop: Header=BB201_34 Depth=3
	v_sub_nc_u32_e32 v55, v25, v52
	s_delay_alu instid0(VALU_DEP_1)
	v_lshlrev_b32_e32 v25, 2, v55
	ds_store_b32 v25, v51 offset:10240
	s_and_saveexec_b32 s57, s2
	s_cbranch_execz .LBB201_32
; %bb.40:                               ;   in Loop: Header=BB201_34 Depth=3
	v_cndmask_b32_e64 v25, 0, 1, s49
	s_and_not1_b32 vcc_lo, exec_lo, s36
	s_delay_alu instid0(VALU_DEP_1)
	v_cmp_ne_u32_e64 s10, 1, v25
	s_cbranch_vccnz .LBB201_45
; %bb.41:                               ;   in Loop: Header=BB201_34 Depth=3
	v_mov_b32_e32 v25, 0
	v_mov_b32_e32 v26, 0
	s_delay_alu instid0(VALU_DEP_3)
	s_and_b32 vcc_lo, exec_lo, s10
	s_cbranch_vccnz .LBB201_44
; %bb.42:                               ;   in Loop: Header=BB201_34 Depth=3
	v_dual_mov_b32 v28, v20 :: v_dual_mov_b32 v27, v19
	v_mov_b32_e32 v56, v48
	s_mov_b32 s10, s38
.LBB201_43:                             ;   Parent Loop BB201_13 Depth=1
                                        ;     Parent Loop BB201_22 Depth=2
                                        ;       Parent Loop BB201_34 Depth=3
                                        ; =>      This Inner Loop Header: Depth=4
	global_load_b64 v[57:58], v[27:28], off
	ds_load_b64 v[59:60], v56
	v_add_co_u32 v27, vcc_lo, v27, 8
	v_add_nc_u32_e32 v56, 64, v56
	v_add_co_ci_u32_e32 v28, vcc_lo, 0, v28, vcc_lo
	s_add_i32 s10, s10, -1
	s_delay_alu instid0(SALU_CYCLE_1)
	s_cmp_lg_u32 s10, 0
	s_waitcnt vmcnt(0) lgkmcnt(0)
	v_fma_f64 v[25:26], v[59:60], v[57:58], v[25:26]
	s_cbranch_scc1 .LBB201_43
.LBB201_44:                             ;   in Loop: Header=BB201_34 Depth=3
	s_cbranch_execz .LBB201_46
	s_branch .LBB201_49
.LBB201_45:                             ;   in Loop: Header=BB201_34 Depth=3
                                        ; implicit-def: $vgpr25_vgpr26
.LBB201_46:                             ;   in Loop: Header=BB201_34 Depth=3
	v_mov_b32_e32 v25, 0
	v_mov_b32_e32 v26, 0
	s_and_not1_b32 vcc_lo, exec_lo, s49
	s_cbranch_vccnz .LBB201_49
; %bb.47:                               ;   in Loop: Header=BB201_34 Depth=3
	v_mov_b32_e32 v56, v49
	v_dual_mov_b32 v28, v22 :: v_dual_mov_b32 v27, v21
	s_mov_b32 s10, s38
.LBB201_48:                             ;   Parent Loop BB201_13 Depth=1
                                        ;     Parent Loop BB201_22 Depth=2
                                        ;       Parent Loop BB201_34 Depth=3
                                        ; =>      This Inner Loop Header: Depth=4
	global_load_b64 v[57:58], v[27:28], off
	ds_load_b64 v[59:60], v56
	v_add_co_u32 v27, vcc_lo, v27, s18
	v_add_co_ci_u32_e32 v28, vcc_lo, s19, v28, vcc_lo
	v_add_nc_u32_e32 v56, 8, v56
	s_add_i32 s10, s10, -1
	s_delay_alu instid0(SALU_CYCLE_1)
	s_cmp_eq_u32 s10, 0
	s_waitcnt vmcnt(0) lgkmcnt(0)
	v_fma_f64 v[25:26], v[59:60], v[57:58], v[25:26]
	s_cbranch_scc0 .LBB201_48
.LBB201_49:                             ;   in Loop: Header=BB201_34 Depth=3
	s_delay_alu instid0(VALU_DEP_1) | instskip(SKIP_2) | instid1(VALU_DEP_1)
	v_mul_f64 v[25:26], v[1:2], v[25:26]
	v_lshlrev_b32_e32 v27, 6, v55
	s_mov_b32 s10, 0
	v_or3_b32 v27, v27, v32, v30
	s_delay_alu instid0(VALU_DEP_1)
	v_lshlrev_b32_e32 v55, 3, v27
	ds_load_b64 v[27:28], v55
.LBB201_50:                             ;   Parent Loop BB201_13 Depth=1
                                        ;     Parent Loop BB201_22 Depth=2
                                        ;       Parent Loop BB201_34 Depth=3
                                        ; =>      This Inner Loop Header: Depth=4
	s_waitcnt lgkmcnt(0)
	v_add_f64 v[56:57], v[27:28], v[25:26]
	ds_cmpstore_rtn_b64 v[56:57], v55, v[56:57], v[27:28]
	s_waitcnt lgkmcnt(0)
	v_cmp_eq_u64_e32 vcc_lo, v[56:57], v[27:28]
	v_dual_mov_b32 v27, v56 :: v_dual_mov_b32 v28, v57
	s_or_b32 s10, vcc_lo, s10
	s_delay_alu instid0(SALU_CYCLE_1)
	s_and_not1_b32 exec_lo, exec_lo, s10
	s_cbranch_execnz .LBB201_50
	s_branch .LBB201_32
.LBB201_51:                             ;   in Loop: Header=BB201_22 Depth=2
	s_or_b32 exec_lo, exec_lo, s45
	v_dual_mov_b32 v15, v23 :: v_dual_mov_b32 v16, v24
.LBB201_52:                             ;   in Loop: Header=BB201_22 Depth=2
	s_or_b32 exec_lo, exec_lo, s39
.LBB201_53:                             ;   in Loop: Header=BB201_22 Depth=2
	s_delay_alu instid0(SALU_CYCLE_1)
	s_or_b32 exec_lo, exec_lo, s11
	s_waitcnt lgkmcnt(0)
	s_barrier
	buffer_gl0_inv
	s_and_saveexec_b32 s10, s9
	s_cbranch_execz .LBB201_21
; %bb.54:                               ;   in Loop: Header=BB201_22 Depth=2
	v_lshlrev_b64 v[13:14], 3, v[13:14]
	s_delay_alu instid0(VALU_DEP_1) | instskip(NEXT) | instid1(VALU_DEP_2)
	v_add_co_u32 v13, vcc_lo, s42, v13
	v_add_co_ci_u32_e32 v14, vcc_lo, s43, v14, vcc_lo
	global_store_b64 v[13:14], v[15:16], off
	s_branch .LBB201_21
.LBB201_55:                             ;   in Loop: Header=BB201_22 Depth=2
                                        ; implicit-def: $vgpr15_vgpr16
	s_branch .LBB201_29
.LBB201_56:                             ;   in Loop: Header=BB201_13 Depth=1
	s_and_not1_b32 vcc_lo, exec_lo, s33
	s_cbranch_vccnz .LBB201_69
; %bb.57:                               ;   in Loop: Header=BB201_13 Depth=1
	s_load_b128 s[8:11], s[12:13], 0x0
	s_mov_b32 s22, exec_lo
	s_waitcnt lgkmcnt(0)
	v_add_co_u32 v13, vcc_lo, s8, v36
	v_add_co_ci_u32_e32 v14, vcc_lo, s9, v37, vcc_lo
	s_sub_u32 s10, s10, s50
	s_subb_u32 s11, s11, 0
	s_delay_alu instid0(VALU_DEP_1) | instid1(SALU_CYCLE_1)
	v_cmpx_gt_i64_e64 s[10:11], v[13:14]
	s_cbranch_execz .LBB201_68
; %bb.58:                               ;   in Loop: Header=BB201_13 Depth=1
	s_mov_b32 s23, 0
	s_branch .LBB201_61
.LBB201_59:                             ;   in Loop: Header=BB201_61 Depth=2
	s_or_b32 exec_lo, exec_lo, s39
	s_delay_alu instid0(SALU_CYCLE_1)
	s_or_b32 s8, s8, exec_lo
.LBB201_60:                             ;   in Loop: Header=BB201_61 Depth=2
	s_or_b32 exec_lo, exec_lo, s9
	v_add_co_u32 v13, vcc_lo, v13, 4
	v_add_co_ci_u32_e32 v14, vcc_lo, 0, v14, vcc_lo
	s_xor_b32 s8, s8, -1
	s_delay_alu instid0(VALU_DEP_1) | instskip(SKIP_1) | instid1(SALU_CYCLE_1)
	v_cmp_le_i64_e32 vcc_lo, s[10:11], v[13:14]
	s_or_b32 s8, s8, vcc_lo
	s_and_b32 s8, exec_lo, s8
	s_delay_alu instid0(SALU_CYCLE_1) | instskip(NEXT) | instid1(SALU_CYCLE_1)
	s_or_b32 s23, s8, s23
	s_and_not1_b32 exec_lo, exec_lo, s23
	s_cbranch_execz .LBB201_67
.LBB201_61:                             ;   Parent Loop BB201_13 Depth=1
                                        ; =>  This Loop Header: Depth=2
                                        ;       Child Loop BB201_66 Depth 3
	v_lshlrev_b64 v[15:16], 2, v[13:14]
	s_delay_alu instid0(VALU_DEP_1) | instskip(NEXT) | instid1(VALU_DEP_2)
	v_add_co_u32 v15, vcc_lo, s14, v15
	v_add_co_ci_u32_e32 v16, vcc_lo, s15, v16, vcc_lo
	global_load_b32 v15, v[15:16], off
	s_waitcnt vmcnt(0)
	v_subrev_nc_u32_e32 v15, s31, v15
	s_delay_alu instid0(VALU_DEP_1) | instskip(SKIP_2) | instid1(VALU_DEP_2)
	v_cmp_lt_i32_e64 s8, v15, v52
	v_cmp_ge_i32_e64 s9, v15, v53
	v_cmp_lt_i32_e32 vcc_lo, v15, v53
	s_or_b32 s9, s8, s9
                                        ; implicit-def: $sgpr8
	s_delay_alu instid0(SALU_CYCLE_1) | instskip(NEXT) | instid1(SALU_CYCLE_1)
	s_and_saveexec_b32 s39, s9
	s_xor_b32 s9, exec_lo, s39
; %bb.62:                               ;   in Loop: Header=BB201_61 Depth=2
	v_min_i32_e32 v15, v15, v54
	s_and_b32 s8, vcc_lo, exec_lo
	s_delay_alu instid0(VALU_DEP_1)
	v_cndmask_b32_e32 v54, v15, v54, vcc_lo
                                        ; implicit-def: $vgpr15
; %bb.63:                               ;   in Loop: Header=BB201_61 Depth=2
	s_and_not1_saveexec_b32 s9, s9
	s_cbranch_execz .LBB201_60
; %bb.64:                               ;   in Loop: Header=BB201_61 Depth=2
	v_sub_nc_u32_e32 v17, v15, v52
	s_delay_alu instid0(VALU_DEP_1)
	v_lshlrev_b32_e32 v15, 2, v17
	ds_store_b32 v15, v51 offset:10240
	s_and_saveexec_b32 s39, s2
	s_cbranch_execz .LBB201_59
; %bb.65:                               ;   in Loop: Header=BB201_61 Depth=2
	v_mad_u64_u32 v[15:16], null, v13, s44, 0
	s_mov_b32 s45, 0
	s_delay_alu instid0(VALU_DEP_1) | instskip(SKIP_1) | instid1(VALU_DEP_1)
	v_mad_u64_u32 v[18:19], null, v14, s44, v[16:17]
	v_lshlrev_b32_e32 v17, 6, v17
	v_or3_b32 v17, v17, v32, v30
	s_delay_alu instid0(VALU_DEP_1) | instskip(NEXT) | instid1(VALU_DEP_1)
	v_dual_mov_b32 v16, v18 :: v_dual_lshlrev_b32 v19, 3, v17
	v_lshlrev_b64 v[15:16], 3, v[15:16]
	ds_load_b64 v[17:18], v19
	v_add_co_u32 v15, vcc_lo, v47, v15
	v_add_co_ci_u32_e32 v16, vcc_lo, v46, v16, vcc_lo
	global_load_b64 v[15:16], v[15:16], off
	s_waitcnt vmcnt(0)
	v_mul_f64 v[15:16], v[3:4], v[15:16]
.LBB201_66:                             ;   Parent Loop BB201_13 Depth=1
                                        ;     Parent Loop BB201_61 Depth=2
                                        ; =>    This Inner Loop Header: Depth=3
	s_waitcnt lgkmcnt(0)
	s_delay_alu instid0(VALU_DEP_1)
	v_add_f64 v[20:21], v[17:18], v[15:16]
	ds_cmpstore_rtn_b64 v[20:21], v19, v[20:21], v[17:18]
	s_waitcnt lgkmcnt(0)
	v_cmp_eq_u64_e32 vcc_lo, v[20:21], v[17:18]
	v_dual_mov_b32 v17, v20 :: v_dual_mov_b32 v18, v21
	s_or_b32 s45, vcc_lo, s45
	s_delay_alu instid0(SALU_CYCLE_1)
	s_and_not1_b32 exec_lo, exec_lo, s45
	s_cbranch_execnz .LBB201_66
	s_branch .LBB201_59
.LBB201_67:                             ;   in Loop: Header=BB201_13 Depth=1
	s_or_b32 exec_lo, exec_lo, s23
.LBB201_68:                             ;   in Loop: Header=BB201_13 Depth=1
	s_delay_alu instid0(SALU_CYCLE_1)
	s_or_b32 exec_lo, exec_lo, s22
.LBB201_69:                             ;   in Loop: Header=BB201_13 Depth=1
	s_and_saveexec_b32 s8, s3
	s_cbranch_execz .LBB201_74
; %bb.70:                               ;   in Loop: Header=BB201_13 Depth=1
	s_mov_b32 s10, exec_lo
	s_brev_b32 s9, -2
.LBB201_71:                             ;   Parent Loop BB201_13 Depth=1
                                        ; =>  This Inner Loop Header: Depth=2
	s_ctz_i32_b32 s11, s10
	s_delay_alu instid0(SALU_CYCLE_1) | instskip(SKIP_1) | instid1(SALU_CYCLE_1)
	v_readlane_b32 s22, v54, s11
	s_lshl_b32 s11, 1, s11
	s_and_not1_b32 s10, s10, s11
	s_delay_alu instid0(VALU_DEP_1)
	s_min_i32 s9, s9, s22
	s_cmp_lg_u32 s10, 0
	s_cbranch_scc1 .LBB201_71
; %bb.72:                               ;   in Loop: Header=BB201_13 Depth=1
	v_mbcnt_lo_u32_b32 v13, exec_lo, 0
	s_mov_b32 s10, exec_lo
	s_delay_alu instid0(VALU_DEP_1)
	v_cmpx_eq_u32_e32 0, v13
	s_xor_b32 s10, exec_lo, s10
	s_cbranch_execz .LBB201_74
; %bb.73:                               ;   in Loop: Header=BB201_13 Depth=1
	v_mov_b32_e32 v13, s9
	ds_min_i32 v5, v13 offset:10304
.LBB201_74:                             ;   in Loop: Header=BB201_13 Depth=1
	s_or_b32 exec_lo, exec_lo, s8
	s_waitcnt lgkmcnt(0)
	s_waitcnt_vscnt null, 0x0
	s_barrier
	buffer_gl0_inv
	ds_load_b32 v14, v38
	s_waitcnt lgkmcnt(0)
	s_barrier
	buffer_gl0_inv
	s_and_saveexec_b32 s8, s4
	s_cbranch_execz .LBB201_76
; %bb.75:                               ;   in Loop: Header=BB201_13 Depth=1
	ds_load_b32 v13, v39
	s_waitcnt lgkmcnt(0)
	v_add_nc_u32_e32 v14, v13, v14
.LBB201_76:                             ;   in Loop: Header=BB201_13 Depth=1
	s_or_b32 exec_lo, exec_lo, s8
	s_barrier
	buffer_gl0_inv
	ds_store_b32 v38, v14
	s_waitcnt lgkmcnt(0)
	s_barrier
	buffer_gl0_inv
	s_and_saveexec_b32 s8, s5
	s_cbranch_execz .LBB201_78
; %bb.77:                               ;   in Loop: Header=BB201_13 Depth=1
	ds_load_b32 v13, v41
	s_waitcnt lgkmcnt(0)
	v_add_nc_u32_e32 v14, v13, v14
.LBB201_78:                             ;   in Loop: Header=BB201_13 Depth=1
	s_or_b32 exec_lo, exec_lo, s8
	s_barrier
	buffer_gl0_inv
	ds_store_b32 v38, v14
	;; [unrolled: 14-line block ×4, first 2 shown]
	s_waitcnt lgkmcnt(0)
	s_barrier
	buffer_gl0_inv
	ds_load_b32 v13, v5 offset:10300
	v_mov_b32_e32 v15, 0
	s_and_saveexec_b32 s8, s51
	s_cbranch_execz .LBB201_84
; %bb.83:                               ;   in Loop: Header=BB201_13 Depth=1
	ds_load_b32 v15, v39
.LBB201_84:                             ;   in Loop: Header=BB201_13 Depth=1
	s_or_b32 exec_lo, exec_lo, s8
	s_waitcnt lgkmcnt(0)
	v_cmp_eq_u32_e32 vcc_lo, v14, v15
	s_barrier
	buffer_gl0_inv
	s_and_b32 s9, s51, vcc_lo
	s_delay_alu instid0(SALU_CYCLE_1)
	s_and_saveexec_b32 s8, s9
	s_cbranch_execz .LBB201_86
; %bb.85:                               ;   in Loop: Header=BB201_13 Depth=1
	ds_store_b32 v38, v5
.LBB201_86:                             ;   in Loop: Header=BB201_13 Depth=1
	s_or_b32 exec_lo, exec_lo, s8
	v_add_co_u32 v14, vcc_lo, v11, -1
	v_add_co_ci_u32_e32 v15, vcc_lo, -1, v12, vcc_lo
	v_dual_mov_b32 v17, v50 :: v_dual_add_nc_u32 v16, s30, v52
	v_dual_mov_b32 v18, v31 :: v_dual_mov_b32 v19, v29
	s_mov_b32 s8, 0
	s_waitcnt lgkmcnt(0)
	s_barrier
	buffer_gl0_inv
	s_set_inst_prefetch_distance 0x1
	s_branch .LBB201_88
	.p2align	6
.LBB201_87:                             ;   in Loop: Header=BB201_88 Depth=2
	s_or_b32 exec_lo, exec_lo, s9
	v_add_nc_u32_e32 v20, 4, v19
	v_cmp_lt_u32_e32 vcc_lo, 11, v19
	v_add_nc_u32_e32 v18, 0x800, v18
	v_add_nc_u32_e32 v17, 16, v17
	s_delay_alu instid0(VALU_DEP_4) | instskip(SKIP_1) | instid1(SALU_CYCLE_1)
	v_mov_b32_e32 v19, v20
	s_or_b32 s8, vcc_lo, s8
	s_and_not1_b32 exec_lo, exec_lo, s8
	s_cbranch_execz .LBB201_12
.LBB201_88:                             ;   Parent Loop BB201_13 Depth=1
                                        ; =>  This Inner Loop Header: Depth=2
	ds_load_b32 v20, v17
	s_mov_b32 s9, exec_lo
	s_waitcnt lgkmcnt(0)
	v_cmpx_ne_u32_e32 0, v20
	s_cbranch_execz .LBB201_87
; %bb.89:                               ;   in Loop: Header=BB201_88 Depth=2
	v_ashrrev_i32_e32 v21, 31, v20
	v_add_co_u32 v22, vcc_lo, v11, v20
	v_add_nc_u32_e32 v24, v16, v19
	s_delay_alu instid0(VALU_DEP_3) | instskip(NEXT) | instid1(VALU_DEP_1)
	v_add_co_ci_u32_e32 v23, vcc_lo, v12, v21, vcc_lo
	v_lshlrev_b64 v[22:23], 2, v[22:23]
	s_delay_alu instid0(VALU_DEP_1) | instskip(NEXT) | instid1(VALU_DEP_2)
	v_add_co_u32 v22, vcc_lo, s55, v22
	v_add_co_ci_u32_e32 v23, vcc_lo, s56, v23, vcc_lo
	global_store_b32 v[22:23], v24, off
	s_and_b32 exec_lo, exec_lo, s2
	s_cbranch_execz .LBB201_87
; %bb.90:                               ;   in Loop: Header=BB201_88 Depth=2
	v_add_co_u32 v22, vcc_lo, v14, v20
	v_add_co_ci_u32_e32 v24, vcc_lo, v15, v21, vcc_lo
	s_delay_alu instid0(VALU_DEP_2) | instskip(NEXT) | instid1(VALU_DEP_1)
	v_mad_u64_u32 v[20:21], null, v22, s44, 0
	v_mad_u64_u32 v[22:23], null, v24, s44, v[21:22]
	ds_load_b64 v[23:24], v18
	v_mov_b32_e32 v21, v22
	s_delay_alu instid0(VALU_DEP_1) | instskip(NEXT) | instid1(VALU_DEP_1)
	v_lshlrev_b64 v[20:21], 3, v[20:21]
	v_add_co_u32 v20, vcc_lo, v45, v20
	s_delay_alu instid0(VALU_DEP_2)
	v_add_co_ci_u32_e32 v21, vcc_lo, v44, v21, vcc_lo
	s_waitcnt lgkmcnt(0)
	global_store_b64 v[20:21], v[23:24], off
	s_branch .LBB201_87
.LBB201_91:
	s_endpgm
	.section	.rodata,"a",@progbits
	.p2align	6, 0x0
	.amdhsa_kernel _ZN9rocsparseL38bsrgemm_block_per_row_atomic_multipassILj256ELj16ELj8ElidEEv20rocsparse_direction_T3_S2_PKS2_S4_NS_24const_host_device_scalarIT4_EEPKT2_S4_PKS6_SA_S4_SC_S7_SA_S4_SC_SA_PS2_PS6_PS8_21rocsparse_index_base_SG_SG_SG_bbb
		.amdhsa_group_segment_fixed_size 10312
		.amdhsa_private_segment_fixed_size 0
		.amdhsa_kernarg_size 172
		.amdhsa_user_sgpr_count 15
		.amdhsa_user_sgpr_dispatch_ptr 0
		.amdhsa_user_sgpr_queue_ptr 0
		.amdhsa_user_sgpr_kernarg_segment_ptr 1
		.amdhsa_user_sgpr_dispatch_id 0
		.amdhsa_user_sgpr_private_segment_size 0
		.amdhsa_wavefront_size32 1
		.amdhsa_uses_dynamic_stack 0
		.amdhsa_enable_private_segment 0
		.amdhsa_system_sgpr_workgroup_id_x 1
		.amdhsa_system_sgpr_workgroup_id_y 0
		.amdhsa_system_sgpr_workgroup_id_z 0
		.amdhsa_system_sgpr_workgroup_info 0
		.amdhsa_system_vgpr_workitem_id 0
		.amdhsa_next_free_vgpr 61
		.amdhsa_next_free_sgpr 58
		.amdhsa_reserve_vcc 1
		.amdhsa_float_round_mode_32 0
		.amdhsa_float_round_mode_16_64 0
		.amdhsa_float_denorm_mode_32 3
		.amdhsa_float_denorm_mode_16_64 3
		.amdhsa_dx10_clamp 1
		.amdhsa_ieee_mode 1
		.amdhsa_fp16_overflow 0
		.amdhsa_workgroup_processor_mode 1
		.amdhsa_memory_ordered 1
		.amdhsa_forward_progress 0
		.amdhsa_shared_vgpr_count 0
		.amdhsa_exception_fp_ieee_invalid_op 0
		.amdhsa_exception_fp_denorm_src 0
		.amdhsa_exception_fp_ieee_div_zero 0
		.amdhsa_exception_fp_ieee_overflow 0
		.amdhsa_exception_fp_ieee_underflow 0
		.amdhsa_exception_fp_ieee_inexact 0
		.amdhsa_exception_int_div_zero 0
	.end_amdhsa_kernel
	.section	.text._ZN9rocsparseL38bsrgemm_block_per_row_atomic_multipassILj256ELj16ELj8ElidEEv20rocsparse_direction_T3_S2_PKS2_S4_NS_24const_host_device_scalarIT4_EEPKT2_S4_PKS6_SA_S4_SC_S7_SA_S4_SC_SA_PS2_PS6_PS8_21rocsparse_index_base_SG_SG_SG_bbb,"axG",@progbits,_ZN9rocsparseL38bsrgemm_block_per_row_atomic_multipassILj256ELj16ELj8ElidEEv20rocsparse_direction_T3_S2_PKS2_S4_NS_24const_host_device_scalarIT4_EEPKT2_S4_PKS6_SA_S4_SC_S7_SA_S4_SC_SA_PS2_PS6_PS8_21rocsparse_index_base_SG_SG_SG_bbb,comdat
.Lfunc_end201:
	.size	_ZN9rocsparseL38bsrgemm_block_per_row_atomic_multipassILj256ELj16ELj8ElidEEv20rocsparse_direction_T3_S2_PKS2_S4_NS_24const_host_device_scalarIT4_EEPKT2_S4_PKS6_SA_S4_SC_S7_SA_S4_SC_SA_PS2_PS6_PS8_21rocsparse_index_base_SG_SG_SG_bbb, .Lfunc_end201-_ZN9rocsparseL38bsrgemm_block_per_row_atomic_multipassILj256ELj16ELj8ElidEEv20rocsparse_direction_T3_S2_PKS2_S4_NS_24const_host_device_scalarIT4_EEPKT2_S4_PKS6_SA_S4_SC_S7_SA_S4_SC_SA_PS2_PS6_PS8_21rocsparse_index_base_SG_SG_SG_bbb
                                        ; -- End function
	.section	.AMDGPU.csdata,"",@progbits
; Kernel info:
; codeLenInByte = 3728
; NumSgprs: 60
; NumVgprs: 61
; ScratchSize: 0
; MemoryBound: 0
; FloatMode: 240
; IeeeMode: 1
; LDSByteSize: 10312 bytes/workgroup (compile time only)
; SGPRBlocks: 7
; VGPRBlocks: 7
; NumSGPRsForWavesPerEU: 60
; NumVGPRsForWavesPerEU: 61
; Occupancy: 16
; WaveLimiterHint : 1
; COMPUTE_PGM_RSRC2:SCRATCH_EN: 0
; COMPUTE_PGM_RSRC2:USER_SGPR: 15
; COMPUTE_PGM_RSRC2:TRAP_HANDLER: 0
; COMPUTE_PGM_RSRC2:TGID_X_EN: 1
; COMPUTE_PGM_RSRC2:TGID_Y_EN: 0
; COMPUTE_PGM_RSRC2:TGID_Z_EN: 0
; COMPUTE_PGM_RSRC2:TIDIG_COMP_CNT: 0
	.section	.text._ZN9rocsparseL38bsrgemm_block_per_row_atomic_multipassILj256ELj32ELj8ElidEEv20rocsparse_direction_T3_S2_PKS2_S4_NS_24const_host_device_scalarIT4_EEPKT2_S4_PKS6_SA_S4_SC_S7_SA_S4_SC_SA_PS2_PS6_PS8_21rocsparse_index_base_SG_SG_SG_bbb,"axG",@progbits,_ZN9rocsparseL38bsrgemm_block_per_row_atomic_multipassILj256ELj32ELj8ElidEEv20rocsparse_direction_T3_S2_PKS2_S4_NS_24const_host_device_scalarIT4_EEPKT2_S4_PKS6_SA_S4_SC_S7_SA_S4_SC_SA_PS2_PS6_PS8_21rocsparse_index_base_SG_SG_SG_bbb,comdat
	.globl	_ZN9rocsparseL38bsrgemm_block_per_row_atomic_multipassILj256ELj32ELj8ElidEEv20rocsparse_direction_T3_S2_PKS2_S4_NS_24const_host_device_scalarIT4_EEPKT2_S4_PKS6_SA_S4_SC_S7_SA_S4_SC_SA_PS2_PS6_PS8_21rocsparse_index_base_SG_SG_SG_bbb ; -- Begin function _ZN9rocsparseL38bsrgemm_block_per_row_atomic_multipassILj256ELj32ELj8ElidEEv20rocsparse_direction_T3_S2_PKS2_S4_NS_24const_host_device_scalarIT4_EEPKT2_S4_PKS6_SA_S4_SC_S7_SA_S4_SC_SA_PS2_PS6_PS8_21rocsparse_index_base_SG_SG_SG_bbb
	.p2align	8
	.type	_ZN9rocsparseL38bsrgemm_block_per_row_atomic_multipassILj256ELj32ELj8ElidEEv20rocsparse_direction_T3_S2_PKS2_S4_NS_24const_host_device_scalarIT4_EEPKT2_S4_PKS6_SA_S4_SC_S7_SA_S4_SC_SA_PS2_PS6_PS8_21rocsparse_index_base_SG_SG_SG_bbb,@function
_ZN9rocsparseL38bsrgemm_block_per_row_atomic_multipassILj256ELj32ELj8ElidEEv20rocsparse_direction_T3_S2_PKS2_S4_NS_24const_host_device_scalarIT4_EEPKT2_S4_PKS6_SA_S4_SC_S7_SA_S4_SC_SA_PS2_PS6_PS8_21rocsparse_index_base_SG_SG_SG_bbb: ; @_ZN9rocsparseL38bsrgemm_block_per_row_atomic_multipassILj256ELj32ELj8ElidEEv20rocsparse_direction_T3_S2_PKS2_S4_NS_24const_host_device_scalarIT4_EEPKT2_S4_PKS6_SA_S4_SC_S7_SA_S4_SC_SA_PS2_PS6_PS8_21rocsparse_index_base_SG_SG_SG_bbb
; %bb.0:
	s_clause 0x3
	s_load_b32 s3, s[0:1], 0xa8
	s_load_b64 s[6:7], s[0:1], 0x20
	s_load_b128 s[36:39], s[0:1], 0x98
	s_load_b64 s[4:5], s[0:1], 0x58
	s_mov_b32 s2, s15
	s_waitcnt lgkmcnt(0)
	s_and_b32 s8, 1, s3
	s_bitcmp1_b32 s3, 16
	s_cselect_b32 s9, -1, 0
	s_cmp_eq_u32 s8, 1
	s_cselect_b32 s8, -1, 0
	s_delay_alu instid0(SALU_CYCLE_1)
	s_and_b32 s10, s8, exec_lo
	s_cselect_b32 s11, s7, 0
	s_cselect_b32 s10, s6, 0
	s_xor_b32 s12, s8, -1
	v_dual_mov_b32 v1, s10 :: v_dual_mov_b32 v2, s11
	s_or_b32 s12, s12, s9
	s_delay_alu instid0(SALU_CYCLE_1)
	s_and_b32 vcc_lo, exec_lo, s12
	s_cbranch_vccnz .LBB202_2
; %bb.1:
	v_dual_mov_b32 v1, s6 :: v_dual_mov_b32 v2, s7
	flat_load_b64 v[1:2], v[1:2]
.LBB202_2:
	s_load_b64 s[6:7], s[0:1], 0x18
	s_bitcmp1_b32 s3, 8
	s_cselect_b32 s33, -1, 0
	s_delay_alu instid0(SALU_CYCLE_1)
	s_and_b32 s3, s33, exec_lo
	s_cselect_b32 s11, s5, 0
	s_cselect_b32 s10, s4, 0
	s_xor_b32 s3, s33, -1
	v_dual_mov_b32 v3, s10 :: v_dual_mov_b32 v4, s11
	s_or_b32 s3, s3, s9
	s_delay_alu instid0(SALU_CYCLE_1)
	s_and_b32 vcc_lo, exec_lo, s3
	s_cbranch_vccnz .LBB202_4
; %bb.3:
	v_dual_mov_b32 v3, s4 :: v_dual_mov_b32 v4, s5
	flat_load_b64 v[3:4], v[3:4]
.LBB202_4:
	s_load_b64 s[4:5], s[0:1], 0x28
	s_waitcnt lgkmcnt(0)
	s_cmp_eq_u64 s[6:7], 0
	s_mov_b64 s[34:35], 0
	s_cbranch_scc1 .LBB202_6
; %bb.5:
	s_load_b64 s[10:11], s[0:1], 0x10
	s_waitcnt lgkmcnt(0)
	s_load_b32 s3, s[10:11], 0x0
	s_waitcnt lgkmcnt(0)
	s_add_i32 s2, s3, s2
	s_mov_b32 s3, 0
	s_delay_alu instid0(SALU_CYCLE_1) | instskip(NEXT) | instid1(SALU_CYCLE_1)
	s_lshl_b64 s[2:3], s[2:3], 2
	s_add_u32 s2, s6, s2
	s_addc_u32 s3, s7, s3
	s_load_b32 s2, s[2:3], 0x0
.LBB202_6:
	s_and_not1_b32 vcc_lo, exec_lo, s8
	s_cbranch_vccz .LBB202_9
; %bb.7:
	s_and_not1_b32 vcc_lo, exec_lo, s8
	s_mov_b64 s[44:45], 0
	s_cbranch_vccz .LBB202_10
.LBB202_8:
	s_load_b128 s[40:43], s[0:1], 0x0
	s_waitcnt lgkmcnt(0)
	s_cmp_lt_i32 s41, 1
	s_cbranch_scc0 .LBB202_11
	s_branch .LBB202_97
.LBB202_9:
	s_waitcnt lgkmcnt(0)
	s_ashr_i32 s3, s2, 31
	s_delay_alu instid0(SALU_CYCLE_1) | instskip(NEXT) | instid1(SALU_CYCLE_1)
	s_lshl_b64 s[6:7], s[2:3], 3
	s_add_u32 s6, s4, s6
	s_addc_u32 s7, s5, s7
	s_load_b64 s[6:7], s[6:7], 0x0
	s_waitcnt lgkmcnt(0)
	s_sub_u32 s34, s6, s36
	s_subb_u32 s35, s7, 0
	s_and_not1_b32 vcc_lo, exec_lo, s8
	s_mov_b64 s[44:45], 0
	s_cbranch_vccnz .LBB202_8
.LBB202_10:
	s_waitcnt lgkmcnt(0)
	s_ashr_i32 s3, s2, 31
	s_delay_alu instid0(SALU_CYCLE_1) | instskip(NEXT) | instid1(SALU_CYCLE_1)
	s_lshl_b64 s[6:7], s[2:3], 3
	s_add_u32 s4, s4, s6
	s_addc_u32 s5, s5, s7
	s_load_b64 s[4:5], s[4:5], 0x8
	s_waitcnt lgkmcnt(0)
	s_sub_u32 s44, s4, s36
	s_subb_u32 s45, s5, 0
	s_load_b128 s[40:43], s[0:1], 0x0
	s_waitcnt lgkmcnt(0)
	s_cmp_lt_i32 s41, 1
	s_cbranch_scc1 .LBB202_97
.LBB202_11:
	s_clause 0x4
	s_load_b256 s[16:23], s[0:1], 0x60
	s_load_b64 s[46:47], s[0:1], 0x90
	s_load_b128 s[12:15], s[0:1], 0x80
	s_load_b64 s[50:51], s[0:1], 0x50
	s_load_b256 s[24:31], s[0:1], 0x30
	v_bfe_u32 v9, v0, 3, 3
	v_dual_mov_b32 v5, 0 :: v_dual_and_b32 v10, 63, v0
	v_and_b32_e32 v32, 7, v0
	s_ashr_i32 s3, s2, 31
	s_delay_alu instid0(VALU_DEP_3)
	v_mul_lo_u32 v6, v9, s42
	s_lshl_b64 s[4:5], s[2:3], 3
	v_mov_b32_e32 v7, v5
	v_mul_lo_u32 v8, v32, s42
	v_and_b32_e32 v34, 56, v0
	v_max_i32_e32 v11, v32, v9
	v_mov_b32_e32 v9, v5
	v_lshrrev_b32_e32 v31, 6, v0
	v_lshlrev_b64 v[6:7], 3, v[6:7]
	v_cmp_lt_i64_e64 s9, s[34:35], s[44:45]
	s_waitcnt lgkmcnt(0)
	s_add_u32 s2, s22, s4
	s_addc_u32 s3, s23, s5
	v_lshlrev_b64 v[8:9], 3, v[8:9]
	s_load_b64 s[6:7], s[2:3], 0x0
	v_cmp_gt_i32_e64 s2, s42, v11
	v_add_co_u32 v11, vcc_lo, s26, v6
	v_add_co_ci_u32_e32 v13, vcc_lo, s27, v7, vcc_lo
	s_delay_alu instid0(VALU_DEP_4) | instskip(SKIP_3) | instid1(VALU_DEP_4)
	v_add_co_u32 v14, vcc_lo, s14, v8
	v_add_co_ci_u32_e32 v15, vcc_lo, s15, v9, vcc_lo
	v_add_co_u32 v16, vcc_lo, s14, v6
	v_add_co_ci_u32_e32 v17, vcc_lo, s15, v7, vcc_lo
	v_add_co_u32 v14, vcc_lo, v14, v34
	s_delay_alu instid0(VALU_DEP_4)
	v_add_co_ci_u32_e32 v15, vcc_lo, 0, v15, vcc_lo
	v_lshlrev_b32_e32 v12, 3, v32
	s_mov_b32 s49, 0
	s_waitcnt lgkmcnt(0)
	s_sub_u32 s22, s6, s38
	s_subb_u32 s23, s7, 0
	s_cmp_eq_u32 s40, 0
	v_add_co_u32 v16, vcc_lo, v16, v12
	v_add_co_ci_u32_e32 v17, vcc_lo, 0, v17, vcc_lo
	s_cselect_b32 vcc_lo, -1, 0
	s_cmp_lg_u32 s40, 0
	v_cmp_gt_u32_e64 s0, 32, v0
	s_delay_alu instid0(VALU_DEP_2) | instskip(SKIP_1) | instid1(VALU_DEP_1)
	v_cndmask_b32_e32 v47, v15, v17, vcc_lo
	v_add_co_u32 v36, s3, v11, v12
	v_add_co_ci_u32_e64 v37, s3, 0, v13, s3
	v_add_co_u32 v11, s3, s20, v8
	s_delay_alu instid0(VALU_DEP_1) | instskip(SKIP_1) | instid1(VALU_DEP_1)
	v_add_co_ci_u32_e64 v13, s3, s21, v9, s3
	v_sub_co_u32 v38, s3, v31, s39
	v_sub_co_ci_u32_e64 v39, null, 0, 0, s3
	s_delay_alu instid0(VALU_DEP_4) | instskip(NEXT) | instid1(VALU_DEP_1)
	v_add_co_u32 v11, s3, v11, v34
	v_add_co_ci_u32_e64 v13, s3, 0, v13, s3
	v_add_co_u32 v6, s3, s20, v6
	s_delay_alu instid0(VALU_DEP_1) | instskip(SKIP_1) | instid1(VALU_DEP_2)
	v_add_co_ci_u32_e64 v7, s3, s21, v7, s3
	s_cselect_b32 s40, -1, 0
	v_add_co_u32 v6, s3, v6, v12
	s_cmp_gt_i32 s42, 0
	s_delay_alu instid0(VALU_DEP_2) | instskip(SKIP_3) | instid1(VALU_DEP_2)
	v_add_co_ci_u32_e64 v7, s3, 0, v7, s3
	v_and_b32_e32 v18, 31, v0
	s_cselect_b32 s53, -1, 0
	s_add_u32 s16, s16, s4
	v_cndmask_b32_e32 v49, v13, v7, vcc_lo
	s_addc_u32 s17, s17, s5
	s_and_b32 s56, s8, s9
	v_dual_cndmask_b32 v50, v11, v6 :: v_dual_lshlrev_b32 v33, 3, v0
	v_cmp_eq_u32_e64 s3, 63, v10
	v_or_b32_e32 v10, 0x400, v0
	s_add_u32 s57, s28, 8
	v_dual_cndmask_b32 v48, v14, v16 :: v_dual_lshlrev_b32 v19, 2, v18
	s_addc_u32 s58, s29, 0
	v_add_co_u32 v7, vcc_lo, s50, v8
	s_add_u32 s59, s12, -4
	s_addc_u32 s60, s13, -1
	v_add_co_ci_u32_e32 v8, vcc_lo, s51, v9, vcc_lo
	s_movk_i32 s12, 0x7c0
	v_add_co_u32 v9, s13, s50, v12
	v_cmp_eq_u32_e64 s1, 0, v0
	v_add_co_u32 v20, s55, v18, -1
	v_lshl_or_b32 v42, v0, 2, 0x4800
	v_cmp_gt_u32_e64 s9, 0x700, v10
	v_cmp_gt_u32_e64 s10, 0x200, v0
	;; [unrolled: 1-line block ×3, first 2 shown]
	v_add_co_ci_u32_e64 v10, null, s51, 0, s13
	v_and_or_b32 v51, v33, s12, 0x4000
	s_mov_b32 s12, s49
	s_mov_b32 s13, s49
	v_lshlrev_b32_e32 v0, 9, v31
	v_dual_mov_b32 v14, s13 :: v_dual_add_nc_u32 v45, 0x47e0, v19
	v_dual_mov_b32 v11, s22 :: v_dual_add_nc_u32 v46, 0x47c0, v19
	v_or_b32_e32 v35, 0x4000, v33
	v_or_b32_e32 v40, 0x4800, v19
	v_lshl_add_u32 v41, v20, 2, 0x4800
	v_cmp_ne_u32_e64 s4, 0, v18
	v_cmp_lt_u32_e64 s5, 1, v18
	v_dual_mov_b32 v12, s23 :: v_dual_add_nc_u32 v43, 0x47f8, v19
	v_cmp_lt_u32_e64 s6, 3, v18
	v_dual_mov_b32 v55, 32 :: v_dual_add_nc_u32 v44, 0x47f0, v19
	v_cmp_lt_u32_e64 s7, 7, v18
	v_cmp_lt_u32_e64 s8, 15, v18
	v_lshl_or_b32 v52, v31, 2, 0x4800
	v_mov_b32_e32 v13, s12
	v_or3_b32 v0, v0, v34, 0x4000
	v_dual_mov_b32 v53, 1 :: v_dual_mov_b32 v54, 0
	s_mul_i32 s48, s42, s42
	s_mov_b32 s43, s49
	s_mov_b32 s52, s37
	;; [unrolled: 1-line block ×3, first 2 shown]
	s_lshl_b64 s[20:21], s[48:49], 3
	s_lshl_b64 s[22:23], s[42:43], 3
	s_branch .LBB202_13
.LBB202_12:                             ;   in Loop: Header=BB202_13 Depth=1
	s_set_inst_prefetch_distance 0x2
	s_or_b32 exec_lo, exec_lo, s12
	s_waitcnt_vscnt null, 0x0
	s_barrier
	buffer_gl0_inv
	ds_load_b32 v54, v5 offset:18560
	v_ashrrev_i32_e32 v15, 31, v6
	v_add_co_u32 v11, s12, v11, v6
	s_waitcnt lgkmcnt(0)
	s_barrier
	s_delay_alu instid0(VALU_DEP_2)
	v_add_co_ci_u32_e64 v12, s12, v12, v15, s12
	buffer_gl0_inv
	v_cmp_le_i32_e32 vcc_lo, s41, v54
	v_add_nc_u32_e32 v55, 32, v54
	s_cbranch_vccnz .LBB202_97
.LBB202_13:                             ; =>This Loop Header: Depth=1
                                        ;     Child Loop BB202_26 Depth 2
                                        ;       Child Loop BB202_38 Depth 3
                                        ;         Child Loop BB202_47 Depth 4
                                        ;         Child Loop BB202_52 Depth 4
	;; [unrolled: 1-line block ×3, first 2 shown]
                                        ;     Child Loop BB202_65 Depth 2
                                        ;       Child Loop BB202_70 Depth 3
                                        ;     Child Loop BB202_75 Depth 2
                                        ;     Child Loop BB202_94 Depth 2
	s_and_saveexec_b32 s12, s0
	s_cbranch_execz .LBB202_15
; %bb.14:                               ;   in Loop: Header=BB202_13 Depth=1
	ds_store_b32 v42, v5
.LBB202_15:                             ;   in Loop: Header=BB202_13 Depth=1
	s_or_b32 exec_lo, exec_lo, s12
	ds_store_2addr_stride64_b64 v33, v[13:14], v[13:14] offset1:4
	ds_store_2addr_stride64_b64 v33, v[13:14], v[13:14] offset0:8 offset1:12
	ds_store_b64 v33, v[13:14] offset:8192
	s_and_saveexec_b32 s12, s9
	s_delay_alu instid0(SALU_CYCLE_1)
	s_xor_b32 s12, exec_lo, s12
	s_cbranch_execz .LBB202_21
; %bb.16:                               ;   in Loop: Header=BB202_13 Depth=1
	v_mov_b32_e32 v6, v5
	ds_store_b64 v33, v[5:6] offset:10240
	s_and_saveexec_b32 s13, s10
	s_delay_alu instid0(SALU_CYCLE_1)
	s_xor_b32 s13, exec_lo, s13
	s_cbranch_execz .LBB202_20
; %bb.17:                               ;   in Loop: Header=BB202_13 Depth=1
	ds_store_b64 v33, v[5:6] offset:12288
	s_and_saveexec_b32 s14, s11
	s_delay_alu instid0(SALU_CYCLE_1)
	s_xor_b32 s14, exec_lo, s14
	s_cbranch_execz .LBB202_19
; %bb.18:                               ;   in Loop: Header=BB202_13 Depth=1
	v_mov_b32_e32 v6, v5
	ds_store_b64 v33, v[5:6] offset:14336
.LBB202_19:                             ;   in Loop: Header=BB202_13 Depth=1
	s_or_b32 exec_lo, exec_lo, s14
.LBB202_20:                             ;   in Loop: Header=BB202_13 Depth=1
	s_delay_alu instid0(SALU_CYCLE_1)
	s_or_b32 exec_lo, exec_lo, s13
.LBB202_21:                             ;   in Loop: Header=BB202_13 Depth=1
	s_delay_alu instid0(SALU_CYCLE_1)
	s_or_b32 exec_lo, exec_lo, s12
	s_and_saveexec_b32 s12, s1
	s_cbranch_execz .LBB202_23
; %bb.22:                               ;   in Loop: Header=BB202_13 Depth=1
	v_mov_b32_e32 v6, s41
	ds_store_b32 v5, v6 offset:18560
.LBB202_23:                             ;   in Loop: Header=BB202_13 Depth=1
	s_or_b32 exec_lo, exec_lo, s12
	v_mov_b32_e32 v6, s41
	s_and_not1_b32 vcc_lo, exec_lo, s56
	s_waitcnt vmcnt(0) lgkmcnt(0)
	s_barrier
	buffer_gl0_inv
	s_cbranch_vccnz .LBB202_60
; %bb.24:                               ;   in Loop: Header=BB202_13 Depth=1
	v_cmp_ne_u32_e64 s12, 0, v54
	v_mov_b32_e32 v6, s41
	s_mov_b64 s[26:27], s[34:35]
	s_branch .LBB202_26
.LBB202_25:                             ;   in Loop: Header=BB202_26 Depth=2
	s_or_b32 exec_lo, exec_lo, s14
	s_add_u32 s26, s26, 4
	s_addc_u32 s27, s27, 0
	s_delay_alu instid0(SALU_CYCLE_1) | instskip(NEXT) | instid1(VALU_DEP_1)
	v_cmp_lt_i64_e64 s13, s[26:27], s[44:45]
	s_and_b32 vcc_lo, exec_lo, s13
	s_cbranch_vccz .LBB202_60
.LBB202_26:                             ;   Parent Loop BB202_13 Depth=1
                                        ; =>  This Loop Header: Depth=2
                                        ;       Child Loop BB202_38 Depth 3
                                        ;         Child Loop BB202_47 Depth 4
                                        ;         Child Loop BB202_52 Depth 4
	;; [unrolled: 1-line block ×3, first 2 shown]
	v_add_co_u32 v15, s13, s26, v31
	s_delay_alu instid0(VALU_DEP_1) | instskip(NEXT) | instid1(VALU_DEP_1)
	v_add_co_ci_u32_e64 v16, null, s27, 0, s13
	s_waitcnt_vscnt null, 0x0
	s_barrier
	buffer_gl0_inv
	v_cmp_gt_i64_e64 s13, s[44:45], v[15:16]
	s_delay_alu instid0(VALU_DEP_1)
	s_and_saveexec_b32 s14, s13
	s_cbranch_execz .LBB202_30
; %bb.27:                               ;   in Loop: Header=BB202_26 Depth=2
	v_mov_b32_e32 v17, 0
	v_mov_b32_e32 v18, 0
	s_and_saveexec_b32 s15, s2
	s_cbranch_execz .LBB202_29
; %bb.28:                               ;   in Loop: Header=BB202_26 Depth=2
	v_mad_u64_u32 v[17:18], null, v15, s48, 0
	s_delay_alu instid0(VALU_DEP_1) | instskip(NEXT) | instid1(VALU_DEP_1)
	v_mad_u64_u32 v[19:20], null, v16, s48, v[18:19]
	v_mov_b32_e32 v18, v19
	s_delay_alu instid0(VALU_DEP_1) | instskip(NEXT) | instid1(VALU_DEP_1)
	v_lshlrev_b64 v[17:18], 3, v[17:18]
	v_add_co_u32 v17, vcc_lo, v36, v17
	s_delay_alu instid0(VALU_DEP_2)
	v_add_co_ci_u32_e32 v18, vcc_lo, v37, v18, vcc_lo
	global_load_b64 v[17:18], v[17:18], off
.LBB202_29:                             ;   in Loop: Header=BB202_26 Depth=2
	s_or_b32 exec_lo, exec_lo, s15
	s_waitcnt vmcnt(0)
	ds_store_b64 v35, v[17:18]
.LBB202_30:                             ;   in Loop: Header=BB202_26 Depth=2
	s_or_b32 exec_lo, exec_lo, s14
	v_mov_b32_e32 v17, 0
	v_mov_b32_e32 v18, 0
	s_waitcnt lgkmcnt(0)
	s_barrier
	buffer_gl0_inv
	s_and_saveexec_b32 s15, s13
	s_cbranch_execz .LBB202_57
; %bb.31:                               ;   in Loop: Header=BB202_26 Depth=2
	v_lshlrev_b64 v[17:18], 2, v[15:16]
	s_delay_alu instid0(VALU_DEP_1) | instskip(NEXT) | instid1(VALU_DEP_2)
	v_add_co_u32 v17, vcc_lo, s24, v17
	v_add_co_ci_u32_e32 v18, vcc_lo, s25, v18, vcc_lo
	s_and_b32 vcc_lo, exec_lo, s12
	global_load_b32 v17, v[17:18], off
	s_waitcnt vmcnt(0)
	v_subrev_nc_u32_e32 v19, s36, v17
	s_delay_alu instid0(VALU_DEP_1)
	v_ashrrev_i32_e32 v20, 31, v19
	s_cbranch_vccz .LBB202_59
; %bb.32:                               ;   in Loop: Header=BB202_26 Depth=2
	v_lshlrev_b64 v[17:18], 3, v[15:16]
	s_delay_alu instid0(VALU_DEP_1) | instskip(NEXT) | instid1(VALU_DEP_2)
	v_add_co_u32 v17, vcc_lo, s46, v17
	v_add_co_ci_u32_e32 v18, vcc_lo, s47, v18, vcc_lo
	global_load_b64 v[17:18], v[17:18], off
	s_cbranch_execnz .LBB202_34
.LBB202_33:                             ;   in Loop: Header=BB202_26 Depth=2
	s_waitcnt vmcnt(0)
	s_delay_alu instid0(VALU_DEP_1) | instskip(NEXT) | instid1(VALU_DEP_1)
	v_lshlrev_b64 v[17:18], 3, v[19:20]
	v_add_co_u32 v17, vcc_lo, s28, v17
	s_delay_alu instid0(VALU_DEP_2)
	v_add_co_ci_u32_e32 v18, vcc_lo, s29, v18, vcc_lo
	global_load_b64 v[17:18], v[17:18], off
	s_waitcnt vmcnt(0)
	v_sub_co_u32 v17, vcc_lo, v17, s52
	v_subrev_co_ci_u32_e32 v18, vcc_lo, 0, v18, vcc_lo
.LBB202_34:                             ;   in Loop: Header=BB202_26 Depth=2
	v_lshlrev_b64 v[19:20], 3, v[19:20]
	s_mov_b32 s43, exec_lo
	s_delay_alu instid0(VALU_DEP_1) | instskip(NEXT) | instid1(VALU_DEP_2)
	v_add_co_u32 v19, vcc_lo, s57, v19
	v_add_co_ci_u32_e32 v20, vcc_lo, s58, v20, vcc_lo
	global_load_b64 v[19:20], v[19:20], off
	s_waitcnt vmcnt(0)
	v_sub_co_u32 v19, vcc_lo, v19, s52
	v_subrev_co_ci_u32_e32 v20, vcc_lo, 0, v20, vcc_lo
	s_delay_alu instid0(VALU_DEP_1)
	v_cmpx_lt_i64_e64 v[17:18], v[19:20]
	s_cbranch_execz .LBB202_56
; %bb.35:                               ;   in Loop: Header=BB202_26 Depth=2
	v_mad_u64_u32 v[21:22], null, s20, v17, v[7:8]
	v_mul_lo_u32 v25, s20, v18
	v_mul_lo_u32 v26, s21, v17
	v_mad_u64_u32 v[23:24], null, s20, v17, v[9:10]
	s_mov_b32 s49, 0
	s_delay_alu instid0(VALU_DEP_2) | instskip(NEXT) | instid1(VALU_DEP_2)
	v_add3_u32 v22, v26, v22, v25
	v_add3_u32 v24, v26, v24, v25
	v_dual_mov_b32 v26, v18 :: v_dual_mov_b32 v25, v17
	s_branch .LBB202_38
.LBB202_36:                             ;   in Loop: Header=BB202_38 Depth=3
	s_or_b32 exec_lo, exec_lo, s61
	s_delay_alu instid0(SALU_CYCLE_1)
	s_or_b32 s50, s50, exec_lo
.LBB202_37:                             ;   in Loop: Header=BB202_38 Depth=3
	s_or_b32 exec_lo, exec_lo, s51
	v_add_co_u32 v17, vcc_lo, v17, 1
	v_add_co_ci_u32_e32 v18, vcc_lo, 0, v18, vcc_lo
	v_add_co_u32 v21, s14, v21, s20
	s_xor_b32 s50, s50, -1
	s_delay_alu instid0(VALU_DEP_2)
	v_cmp_ge_i64_e32 vcc_lo, v[17:18], v[19:20]
	v_add_co_ci_u32_e64 v22, s14, s21, v22, s14
	s_or_b32 s14, s50, vcc_lo
	v_add_co_u32 v23, vcc_lo, v23, s20
	v_add_co_ci_u32_e32 v24, vcc_lo, s21, v24, vcc_lo
	s_and_b32 s14, exec_lo, s14
	s_delay_alu instid0(SALU_CYCLE_1) | instskip(NEXT) | instid1(SALU_CYCLE_1)
	s_or_b32 s49, s14, s49
	s_and_not1_b32 exec_lo, exec_lo, s49
	s_cbranch_execz .LBB202_55
.LBB202_38:                             ;   Parent Loop BB202_13 Depth=1
                                        ;     Parent Loop BB202_26 Depth=2
                                        ; =>    This Loop Header: Depth=3
                                        ;         Child Loop BB202_47 Depth 4
                                        ;         Child Loop BB202_52 Depth 4
	;; [unrolled: 1-line block ×3, first 2 shown]
	v_lshlrev_b64 v[27:28], 2, v[17:18]
                                        ; implicit-def: $sgpr50
	s_delay_alu instid0(VALU_DEP_1) | instskip(NEXT) | instid1(VALU_DEP_2)
	v_add_co_u32 v27, vcc_lo, s30, v27
	v_add_co_ci_u32_e32 v28, vcc_lo, s31, v28, vcc_lo
	global_load_b32 v27, v[27:28], off
	s_waitcnt vmcnt(0)
	v_subrev_nc_u32_e32 v27, s37, v27
	s_delay_alu instid0(VALU_DEP_1) | instskip(SKIP_1) | instid1(VALU_DEP_2)
	v_cmp_lt_i32_e64 s14, v27, v54
	v_cmp_ge_i32_e32 vcc_lo, v27, v55
	s_or_b32 s14, s14, vcc_lo
	s_delay_alu instid0(SALU_CYCLE_1) | instskip(NEXT) | instid1(SALU_CYCLE_1)
	s_and_saveexec_b32 s51, s14
	s_xor_b32 s14, exec_lo, s51
	s_cbranch_execz .LBB202_42
; %bb.39:                               ;   in Loop: Header=BB202_38 Depth=3
	s_mov_b32 s50, -1
	s_and_saveexec_b32 s51, vcc_lo
; %bb.40:                               ;   in Loop: Header=BB202_38 Depth=3
	v_min_i32_e32 v6, v27, v6
	v_dual_mov_b32 v26, v18 :: v_dual_mov_b32 v25, v17
	s_xor_b32 s50, exec_lo, -1
; %bb.41:                               ;   in Loop: Header=BB202_38 Depth=3
	s_or_b32 exec_lo, exec_lo, s51
	s_delay_alu instid0(SALU_CYCLE_1)
	s_and_b32 s50, s50, exec_lo
                                        ; implicit-def: $vgpr27
.LBB202_42:                             ;   in Loop: Header=BB202_38 Depth=3
	s_and_not1_saveexec_b32 s51, s14
	s_cbranch_execz .LBB202_37
; %bb.43:                               ;   in Loop: Header=BB202_38 Depth=3
	v_sub_nc_u32_e32 v56, v27, v54
	s_delay_alu instid0(VALU_DEP_1)
	v_lshlrev_b32_e32 v27, 2, v56
	ds_store_b32 v27, v53 offset:18432
	s_and_saveexec_b32 s61, s2
	s_cbranch_execz .LBB202_36
; %bb.44:                               ;   in Loop: Header=BB202_38 Depth=3
	v_cndmask_b32_e64 v27, 0, 1, s53
	s_and_not1_b32 vcc_lo, exec_lo, s40
	s_delay_alu instid0(VALU_DEP_1)
	v_cmp_ne_u32_e64 s14, 1, v27
	s_cbranch_vccnz .LBB202_49
; %bb.45:                               ;   in Loop: Header=BB202_38 Depth=3
	v_mov_b32_e32 v27, 0
	v_mov_b32_e32 v28, 0
	s_delay_alu instid0(VALU_DEP_3)
	s_and_b32 vcc_lo, exec_lo, s14
	s_cbranch_vccnz .LBB202_48
; %bb.46:                               ;   in Loop: Header=BB202_38 Depth=3
	v_dual_mov_b32 v30, v22 :: v_dual_mov_b32 v29, v21
	v_mov_b32_e32 v57, v0
	s_mov_b32 s14, s42
.LBB202_47:                             ;   Parent Loop BB202_13 Depth=1
                                        ;     Parent Loop BB202_26 Depth=2
                                        ;       Parent Loop BB202_38 Depth=3
                                        ; =>      This Inner Loop Header: Depth=4
	global_load_b64 v[58:59], v[29:30], off
	ds_load_b64 v[60:61], v57
	v_add_co_u32 v29, vcc_lo, v29, 8
	v_add_nc_u32_e32 v57, 64, v57
	v_add_co_ci_u32_e32 v30, vcc_lo, 0, v30, vcc_lo
	s_add_i32 s14, s14, -1
	s_delay_alu instid0(SALU_CYCLE_1)
	s_cmp_lg_u32 s14, 0
	s_waitcnt vmcnt(0) lgkmcnt(0)
	v_fma_f64 v[27:28], v[60:61], v[58:59], v[27:28]
	s_cbranch_scc1 .LBB202_47
.LBB202_48:                             ;   in Loop: Header=BB202_38 Depth=3
	s_cbranch_execz .LBB202_50
	s_branch .LBB202_53
.LBB202_49:                             ;   in Loop: Header=BB202_38 Depth=3
                                        ; implicit-def: $vgpr27_vgpr28
.LBB202_50:                             ;   in Loop: Header=BB202_38 Depth=3
	v_mov_b32_e32 v27, 0
	v_mov_b32_e32 v28, 0
	s_and_not1_b32 vcc_lo, exec_lo, s53
	s_cbranch_vccnz .LBB202_53
; %bb.51:                               ;   in Loop: Header=BB202_38 Depth=3
	v_dual_mov_b32 v57, v51 :: v_dual_mov_b32 v30, v24
	v_mov_b32_e32 v29, v23
	s_mov_b32 s14, s42
.LBB202_52:                             ;   Parent Loop BB202_13 Depth=1
                                        ;     Parent Loop BB202_26 Depth=2
                                        ;       Parent Loop BB202_38 Depth=3
                                        ; =>      This Inner Loop Header: Depth=4
	global_load_b64 v[58:59], v[29:30], off
	ds_load_b64 v[60:61], v57
	v_add_co_u32 v29, vcc_lo, v29, s22
	v_add_co_ci_u32_e32 v30, vcc_lo, s23, v30, vcc_lo
	v_add_nc_u32_e32 v57, 8, v57
	s_add_i32 s14, s14, -1
	s_delay_alu instid0(SALU_CYCLE_1)
	s_cmp_eq_u32 s14, 0
	s_waitcnt vmcnt(0) lgkmcnt(0)
	v_fma_f64 v[27:28], v[60:61], v[58:59], v[27:28]
	s_cbranch_scc0 .LBB202_52
.LBB202_53:                             ;   in Loop: Header=BB202_38 Depth=3
	s_delay_alu instid0(VALU_DEP_1) | instskip(SKIP_2) | instid1(VALU_DEP_1)
	v_mul_f64 v[27:28], v[1:2], v[27:28]
	v_lshlrev_b32_e32 v29, 6, v56
	s_mov_b32 s14, 0
	v_or3_b32 v29, v29, v34, v32
	s_delay_alu instid0(VALU_DEP_1)
	v_lshlrev_b32_e32 v56, 3, v29
	ds_load_b64 v[29:30], v56
.LBB202_54:                             ;   Parent Loop BB202_13 Depth=1
                                        ;     Parent Loop BB202_26 Depth=2
                                        ;       Parent Loop BB202_38 Depth=3
                                        ; =>      This Inner Loop Header: Depth=4
	s_waitcnt lgkmcnt(0)
	v_add_f64 v[57:58], v[29:30], v[27:28]
	ds_cmpstore_rtn_b64 v[57:58], v56, v[57:58], v[29:30]
	s_waitcnt lgkmcnt(0)
	v_cmp_eq_u64_e32 vcc_lo, v[57:58], v[29:30]
	v_dual_mov_b32 v29, v57 :: v_dual_mov_b32 v30, v58
	s_or_b32 s14, vcc_lo, s14
	s_delay_alu instid0(SALU_CYCLE_1)
	s_and_not1_b32 exec_lo, exec_lo, s14
	s_cbranch_execnz .LBB202_54
	s_branch .LBB202_36
.LBB202_55:                             ;   in Loop: Header=BB202_26 Depth=2
	s_or_b32 exec_lo, exec_lo, s49
	v_dual_mov_b32 v17, v25 :: v_dual_mov_b32 v18, v26
.LBB202_56:                             ;   in Loop: Header=BB202_26 Depth=2
	s_or_b32 exec_lo, exec_lo, s43
.LBB202_57:                             ;   in Loop: Header=BB202_26 Depth=2
	s_delay_alu instid0(SALU_CYCLE_1)
	s_or_b32 exec_lo, exec_lo, s15
	s_waitcnt lgkmcnt(0)
	s_barrier
	buffer_gl0_inv
	s_and_saveexec_b32 s14, s13
	s_cbranch_execz .LBB202_25
; %bb.58:                               ;   in Loop: Header=BB202_26 Depth=2
	v_lshlrev_b64 v[15:16], 3, v[15:16]
	s_delay_alu instid0(VALU_DEP_1) | instskip(NEXT) | instid1(VALU_DEP_2)
	v_add_co_u32 v15, vcc_lo, s46, v15
	v_add_co_ci_u32_e32 v16, vcc_lo, s47, v16, vcc_lo
	global_store_b64 v[15:16], v[17:18], off
	s_branch .LBB202_25
.LBB202_59:                             ;   in Loop: Header=BB202_26 Depth=2
                                        ; implicit-def: $vgpr17_vgpr18
	s_branch .LBB202_33
.LBB202_60:                             ;   in Loop: Header=BB202_13 Depth=1
	s_and_not1_b32 vcc_lo, exec_lo, s33
	s_cbranch_vccnz .LBB202_73
; %bb.61:                               ;   in Loop: Header=BB202_13 Depth=1
	s_load_b128 s[12:15], s[16:17], 0x0
	s_mov_b32 s26, exec_lo
	s_waitcnt lgkmcnt(0)
	v_add_co_u32 v15, vcc_lo, s12, v38
	v_add_co_ci_u32_e32 v16, vcc_lo, s13, v39, vcc_lo
	s_sub_u32 s14, s14, s54
	s_subb_u32 s15, s15, 0
	s_delay_alu instid0(VALU_DEP_1) | instid1(SALU_CYCLE_1)
	v_cmpx_gt_i64_e64 s[14:15], v[15:16]
	s_cbranch_execz .LBB202_72
; %bb.62:                               ;   in Loop: Header=BB202_13 Depth=1
	s_mov_b32 s27, 0
	s_branch .LBB202_65
.LBB202_63:                             ;   in Loop: Header=BB202_65 Depth=2
	s_or_b32 exec_lo, exec_lo, s43
	s_delay_alu instid0(SALU_CYCLE_1)
	s_or_b32 s12, s12, exec_lo
.LBB202_64:                             ;   in Loop: Header=BB202_65 Depth=2
	s_or_b32 exec_lo, exec_lo, s13
	v_add_co_u32 v15, vcc_lo, v15, 4
	v_add_co_ci_u32_e32 v16, vcc_lo, 0, v16, vcc_lo
	s_xor_b32 s12, s12, -1
	s_delay_alu instid0(VALU_DEP_1) | instskip(SKIP_1) | instid1(SALU_CYCLE_1)
	v_cmp_le_i64_e32 vcc_lo, s[14:15], v[15:16]
	s_or_b32 s12, s12, vcc_lo
	s_and_b32 s12, exec_lo, s12
	s_delay_alu instid0(SALU_CYCLE_1) | instskip(NEXT) | instid1(SALU_CYCLE_1)
	s_or_b32 s27, s12, s27
	s_and_not1_b32 exec_lo, exec_lo, s27
	s_cbranch_execz .LBB202_71
.LBB202_65:                             ;   Parent Loop BB202_13 Depth=1
                                        ; =>  This Loop Header: Depth=2
                                        ;       Child Loop BB202_70 Depth 3
	v_lshlrev_b64 v[17:18], 2, v[15:16]
	s_delay_alu instid0(VALU_DEP_1) | instskip(NEXT) | instid1(VALU_DEP_2)
	v_add_co_u32 v17, vcc_lo, s18, v17
	v_add_co_ci_u32_e32 v18, vcc_lo, s19, v18, vcc_lo
	global_load_b32 v17, v[17:18], off
	s_waitcnt vmcnt(0)
	v_subrev_nc_u32_e32 v17, s39, v17
	s_delay_alu instid0(VALU_DEP_1) | instskip(SKIP_2) | instid1(VALU_DEP_2)
	v_cmp_lt_i32_e64 s12, v17, v54
	v_cmp_ge_i32_e64 s13, v17, v55
	v_cmp_lt_i32_e32 vcc_lo, v17, v55
	s_or_b32 s13, s12, s13
                                        ; implicit-def: $sgpr12
	s_delay_alu instid0(SALU_CYCLE_1) | instskip(NEXT) | instid1(SALU_CYCLE_1)
	s_and_saveexec_b32 s43, s13
	s_xor_b32 s13, exec_lo, s43
; %bb.66:                               ;   in Loop: Header=BB202_65 Depth=2
	v_min_i32_e32 v17, v17, v6
	s_and_b32 s12, vcc_lo, exec_lo
	s_delay_alu instid0(VALU_DEP_1)
	v_cndmask_b32_e32 v6, v17, v6, vcc_lo
                                        ; implicit-def: $vgpr17
; %bb.67:                               ;   in Loop: Header=BB202_65 Depth=2
	s_and_not1_saveexec_b32 s13, s13
	s_cbranch_execz .LBB202_64
; %bb.68:                               ;   in Loop: Header=BB202_65 Depth=2
	v_sub_nc_u32_e32 v19, v17, v54
	s_delay_alu instid0(VALU_DEP_1)
	v_lshlrev_b32_e32 v17, 2, v19
	ds_store_b32 v17, v53 offset:18432
	s_and_saveexec_b32 s43, s2
	s_cbranch_execz .LBB202_63
; %bb.69:                               ;   in Loop: Header=BB202_65 Depth=2
	v_mad_u64_u32 v[17:18], null, v15, s48, 0
	s_mov_b32 s49, 0
	s_delay_alu instid0(VALU_DEP_1) | instskip(SKIP_1) | instid1(VALU_DEP_1)
	v_mad_u64_u32 v[20:21], null, v16, s48, v[18:19]
	v_lshlrev_b32_e32 v19, 6, v19
	v_or3_b32 v19, v19, v34, v32
	s_delay_alu instid0(VALU_DEP_1) | instskip(NEXT) | instid1(VALU_DEP_1)
	v_dual_mov_b32 v18, v20 :: v_dual_lshlrev_b32 v21, 3, v19
	v_lshlrev_b64 v[17:18], 3, v[17:18]
	ds_load_b64 v[19:20], v21
	v_add_co_u32 v17, vcc_lo, v50, v17
	v_add_co_ci_u32_e32 v18, vcc_lo, v49, v18, vcc_lo
	global_load_b64 v[17:18], v[17:18], off
	s_waitcnt vmcnt(0)
	v_mul_f64 v[17:18], v[3:4], v[17:18]
.LBB202_70:                             ;   Parent Loop BB202_13 Depth=1
                                        ;     Parent Loop BB202_65 Depth=2
                                        ; =>    This Inner Loop Header: Depth=3
	s_waitcnt lgkmcnt(0)
	s_delay_alu instid0(VALU_DEP_1)
	v_add_f64 v[22:23], v[19:20], v[17:18]
	ds_cmpstore_rtn_b64 v[22:23], v21, v[22:23], v[19:20]
	s_waitcnt lgkmcnt(0)
	v_cmp_eq_u64_e32 vcc_lo, v[22:23], v[19:20]
	v_dual_mov_b32 v19, v22 :: v_dual_mov_b32 v20, v23
	s_or_b32 s49, vcc_lo, s49
	s_delay_alu instid0(SALU_CYCLE_1)
	s_and_not1_b32 exec_lo, exec_lo, s49
	s_cbranch_execnz .LBB202_70
	s_branch .LBB202_63
.LBB202_71:                             ;   in Loop: Header=BB202_13 Depth=1
	s_or_b32 exec_lo, exec_lo, s27
.LBB202_72:                             ;   in Loop: Header=BB202_13 Depth=1
	s_delay_alu instid0(SALU_CYCLE_1)
	s_or_b32 exec_lo, exec_lo, s26
.LBB202_73:                             ;   in Loop: Header=BB202_13 Depth=1
	s_and_saveexec_b32 s12, s3
	s_cbranch_execz .LBB202_78
; %bb.74:                               ;   in Loop: Header=BB202_13 Depth=1
	s_mov_b32 s14, exec_lo
	s_brev_b32 s13, -2
.LBB202_75:                             ;   Parent Loop BB202_13 Depth=1
                                        ; =>  This Inner Loop Header: Depth=2
	s_ctz_i32_b32 s15, s14
	s_delay_alu instid0(SALU_CYCLE_1) | instskip(SKIP_1) | instid1(SALU_CYCLE_1)
	v_readlane_b32 s26, v6, s15
	s_lshl_b32 s15, 1, s15
	s_and_not1_b32 s14, s14, s15
	s_delay_alu instid0(VALU_DEP_1)
	s_min_i32 s13, s13, s26
	s_cmp_lg_u32 s14, 0
	s_cbranch_scc1 .LBB202_75
; %bb.76:                               ;   in Loop: Header=BB202_13 Depth=1
	v_mbcnt_lo_u32_b32 v6, exec_lo, 0
	s_mov_b32 s14, exec_lo
	s_delay_alu instid0(VALU_DEP_1)
	v_cmpx_eq_u32_e32 0, v6
	s_xor_b32 s14, exec_lo, s14
	s_cbranch_execz .LBB202_78
; %bb.77:                               ;   in Loop: Header=BB202_13 Depth=1
	v_mov_b32_e32 v6, s13
	ds_min_i32 v5, v6 offset:18560
.LBB202_78:                             ;   in Loop: Header=BB202_13 Depth=1
	s_or_b32 exec_lo, exec_lo, s12
	s_waitcnt lgkmcnt(0)
	s_waitcnt_vscnt null, 0x0
	s_barrier
	buffer_gl0_inv
	ds_load_b32 v15, v40
	s_waitcnt lgkmcnt(0)
	s_barrier
	buffer_gl0_inv
	s_and_saveexec_b32 s12, s4
	s_cbranch_execz .LBB202_80
; %bb.79:                               ;   in Loop: Header=BB202_13 Depth=1
	ds_load_b32 v6, v41
	s_waitcnt lgkmcnt(0)
	v_add_nc_u32_e32 v15, v6, v15
.LBB202_80:                             ;   in Loop: Header=BB202_13 Depth=1
	s_or_b32 exec_lo, exec_lo, s12
	s_barrier
	buffer_gl0_inv
	ds_store_b32 v40, v15
	s_waitcnt lgkmcnt(0)
	s_barrier
	buffer_gl0_inv
	s_and_saveexec_b32 s12, s5
	s_cbranch_execz .LBB202_82
; %bb.81:                               ;   in Loop: Header=BB202_13 Depth=1
	ds_load_b32 v6, v43
	s_waitcnt lgkmcnt(0)
	v_add_nc_u32_e32 v15, v6, v15
.LBB202_82:                             ;   in Loop: Header=BB202_13 Depth=1
	s_or_b32 exec_lo, exec_lo, s12
	s_barrier
	buffer_gl0_inv
	ds_store_b32 v40, v15
	;; [unrolled: 14-line block ×5, first 2 shown]
	s_waitcnt lgkmcnt(0)
	s_barrier
	buffer_gl0_inv
	ds_load_b32 v6, v5 offset:18556
	v_mov_b32_e32 v16, 0
	s_and_saveexec_b32 s12, s55
	s_cbranch_execz .LBB202_90
; %bb.89:                               ;   in Loop: Header=BB202_13 Depth=1
	ds_load_b32 v16, v41
.LBB202_90:                             ;   in Loop: Header=BB202_13 Depth=1
	s_or_b32 exec_lo, exec_lo, s12
	s_waitcnt lgkmcnt(0)
	v_cmp_eq_u32_e32 vcc_lo, v15, v16
	s_barrier
	buffer_gl0_inv
	s_and_b32 s13, s55, vcc_lo
	s_delay_alu instid0(SALU_CYCLE_1)
	s_and_saveexec_b32 s12, s13
	s_cbranch_execz .LBB202_92
; %bb.91:                               ;   in Loop: Header=BB202_13 Depth=1
	ds_store_b32 v40, v5
.LBB202_92:                             ;   in Loop: Header=BB202_13 Depth=1
	s_or_b32 exec_lo, exec_lo, s12
	v_add_co_u32 v15, vcc_lo, v11, -1
	v_add_co_ci_u32_e32 v16, vcc_lo, -1, v12, vcc_lo
	v_dual_mov_b32 v18, v52 :: v_dual_add_nc_u32 v17, s38, v54
	v_dual_mov_b32 v19, v33 :: v_dual_mov_b32 v20, v31
	s_mov_b32 s12, 0
	s_waitcnt lgkmcnt(0)
	s_barrier
	buffer_gl0_inv
	s_set_inst_prefetch_distance 0x1
	s_branch .LBB202_94
	.p2align	6
.LBB202_93:                             ;   in Loop: Header=BB202_94 Depth=2
	s_or_b32 exec_lo, exec_lo, s13
	v_add_nc_u32_e32 v21, 4, v20
	v_cmp_lt_u32_e32 vcc_lo, 27, v20
	v_add_nc_u32_e32 v19, 0x800, v19
	v_add_nc_u32_e32 v18, 16, v18
	s_delay_alu instid0(VALU_DEP_4) | instskip(SKIP_1) | instid1(SALU_CYCLE_1)
	v_mov_b32_e32 v20, v21
	s_or_b32 s12, vcc_lo, s12
	s_and_not1_b32 exec_lo, exec_lo, s12
	s_cbranch_execz .LBB202_12
.LBB202_94:                             ;   Parent Loop BB202_13 Depth=1
                                        ; =>  This Inner Loop Header: Depth=2
	ds_load_b32 v21, v18
	s_mov_b32 s13, exec_lo
	s_waitcnt lgkmcnt(0)
	v_cmpx_ne_u32_e32 0, v21
	s_cbranch_execz .LBB202_93
; %bb.95:                               ;   in Loop: Header=BB202_94 Depth=2
	v_ashrrev_i32_e32 v22, 31, v21
	v_add_co_u32 v23, vcc_lo, v11, v21
	v_add_nc_u32_e32 v25, v17, v20
	s_delay_alu instid0(VALU_DEP_3) | instskip(NEXT) | instid1(VALU_DEP_1)
	v_add_co_ci_u32_e32 v24, vcc_lo, v12, v22, vcc_lo
	v_lshlrev_b64 v[23:24], 2, v[23:24]
	s_delay_alu instid0(VALU_DEP_1) | instskip(NEXT) | instid1(VALU_DEP_2)
	v_add_co_u32 v23, vcc_lo, s59, v23
	v_add_co_ci_u32_e32 v24, vcc_lo, s60, v24, vcc_lo
	global_store_b32 v[23:24], v25, off
	s_and_b32 exec_lo, exec_lo, s2
	s_cbranch_execz .LBB202_93
; %bb.96:                               ;   in Loop: Header=BB202_94 Depth=2
	v_add_co_u32 v23, vcc_lo, v15, v21
	v_add_co_ci_u32_e32 v25, vcc_lo, v16, v22, vcc_lo
	s_delay_alu instid0(VALU_DEP_2) | instskip(NEXT) | instid1(VALU_DEP_1)
	v_mad_u64_u32 v[21:22], null, v23, s48, 0
	v_mad_u64_u32 v[23:24], null, v25, s48, v[22:23]
	ds_load_b64 v[24:25], v19
	v_mov_b32_e32 v22, v23
	s_delay_alu instid0(VALU_DEP_1) | instskip(NEXT) | instid1(VALU_DEP_1)
	v_lshlrev_b64 v[21:22], 3, v[21:22]
	v_add_co_u32 v21, vcc_lo, v48, v21
	s_delay_alu instid0(VALU_DEP_2)
	v_add_co_ci_u32_e32 v22, vcc_lo, v47, v22, vcc_lo
	s_waitcnt lgkmcnt(0)
	global_store_b64 v[21:22], v[24:25], off
	s_branch .LBB202_93
.LBB202_97:
	s_endpgm
	.section	.rodata,"a",@progbits
	.p2align	6, 0x0
	.amdhsa_kernel _ZN9rocsparseL38bsrgemm_block_per_row_atomic_multipassILj256ELj32ELj8ElidEEv20rocsparse_direction_T3_S2_PKS2_S4_NS_24const_host_device_scalarIT4_EEPKT2_S4_PKS6_SA_S4_SC_S7_SA_S4_SC_SA_PS2_PS6_PS8_21rocsparse_index_base_SG_SG_SG_bbb
		.amdhsa_group_segment_fixed_size 18568
		.amdhsa_private_segment_fixed_size 0
		.amdhsa_kernarg_size 172
		.amdhsa_user_sgpr_count 15
		.amdhsa_user_sgpr_dispatch_ptr 0
		.amdhsa_user_sgpr_queue_ptr 0
		.amdhsa_user_sgpr_kernarg_segment_ptr 1
		.amdhsa_user_sgpr_dispatch_id 0
		.amdhsa_user_sgpr_private_segment_size 0
		.amdhsa_wavefront_size32 1
		.amdhsa_uses_dynamic_stack 0
		.amdhsa_enable_private_segment 0
		.amdhsa_system_sgpr_workgroup_id_x 1
		.amdhsa_system_sgpr_workgroup_id_y 0
		.amdhsa_system_sgpr_workgroup_id_z 0
		.amdhsa_system_sgpr_workgroup_info 0
		.amdhsa_system_vgpr_workitem_id 0
		.amdhsa_next_free_vgpr 62
		.amdhsa_next_free_sgpr 62
		.amdhsa_reserve_vcc 1
		.amdhsa_float_round_mode_32 0
		.amdhsa_float_round_mode_16_64 0
		.amdhsa_float_denorm_mode_32 3
		.amdhsa_float_denorm_mode_16_64 3
		.amdhsa_dx10_clamp 1
		.amdhsa_ieee_mode 1
		.amdhsa_fp16_overflow 0
		.amdhsa_workgroup_processor_mode 1
		.amdhsa_memory_ordered 1
		.amdhsa_forward_progress 0
		.amdhsa_shared_vgpr_count 0
		.amdhsa_exception_fp_ieee_invalid_op 0
		.amdhsa_exception_fp_denorm_src 0
		.amdhsa_exception_fp_ieee_div_zero 0
		.amdhsa_exception_fp_ieee_overflow 0
		.amdhsa_exception_fp_ieee_underflow 0
		.amdhsa_exception_fp_ieee_inexact 0
		.amdhsa_exception_int_div_zero 0
	.end_amdhsa_kernel
	.section	.text._ZN9rocsparseL38bsrgemm_block_per_row_atomic_multipassILj256ELj32ELj8ElidEEv20rocsparse_direction_T3_S2_PKS2_S4_NS_24const_host_device_scalarIT4_EEPKT2_S4_PKS6_SA_S4_SC_S7_SA_S4_SC_SA_PS2_PS6_PS8_21rocsparse_index_base_SG_SG_SG_bbb,"axG",@progbits,_ZN9rocsparseL38bsrgemm_block_per_row_atomic_multipassILj256ELj32ELj8ElidEEv20rocsparse_direction_T3_S2_PKS2_S4_NS_24const_host_device_scalarIT4_EEPKT2_S4_PKS6_SA_S4_SC_S7_SA_S4_SC_SA_PS2_PS6_PS8_21rocsparse_index_base_SG_SG_SG_bbb,comdat
.Lfunc_end202:
	.size	_ZN9rocsparseL38bsrgemm_block_per_row_atomic_multipassILj256ELj32ELj8ElidEEv20rocsparse_direction_T3_S2_PKS2_S4_NS_24const_host_device_scalarIT4_EEPKT2_S4_PKS6_SA_S4_SC_S7_SA_S4_SC_SA_PS2_PS6_PS8_21rocsparse_index_base_SG_SG_SG_bbb, .Lfunc_end202-_ZN9rocsparseL38bsrgemm_block_per_row_atomic_multipassILj256ELj32ELj8ElidEEv20rocsparse_direction_T3_S2_PKS2_S4_NS_24const_host_device_scalarIT4_EEPKT2_S4_PKS6_SA_S4_SC_S7_SA_S4_SC_SA_PS2_PS6_PS8_21rocsparse_index_base_SG_SG_SG_bbb
                                        ; -- End function
	.section	.AMDGPU.csdata,"",@progbits
; Kernel info:
; codeLenInByte = 3924
; NumSgprs: 64
; NumVgprs: 62
; ScratchSize: 0
; MemoryBound: 0
; FloatMode: 240
; IeeeMode: 1
; LDSByteSize: 18568 bytes/workgroup (compile time only)
; SGPRBlocks: 7
; VGPRBlocks: 7
; NumSGPRsForWavesPerEU: 64
; NumVGPRsForWavesPerEU: 62
; Occupancy: 14
; WaveLimiterHint : 1
; COMPUTE_PGM_RSRC2:SCRATCH_EN: 0
; COMPUTE_PGM_RSRC2:USER_SGPR: 15
; COMPUTE_PGM_RSRC2:TRAP_HANDLER: 0
; COMPUTE_PGM_RSRC2:TGID_X_EN: 1
; COMPUTE_PGM_RSRC2:TGID_Y_EN: 0
; COMPUTE_PGM_RSRC2:TGID_Z_EN: 0
; COMPUTE_PGM_RSRC2:TIDIG_COMP_CNT: 0
	.section	.text._ZN9rocsparseL31bsrgemm_block_per_row_multipassILj256ELj8ELj16ElidEEv20rocsparse_direction_T3_S2_PKS2_S4_NS_24const_host_device_scalarIT4_EEPKT2_S4_PKS6_SA_S4_SC_S7_SA_S4_SC_SA_PS2_PS6_PS8_21rocsparse_index_base_SG_SG_SG_bbb,"axG",@progbits,_ZN9rocsparseL31bsrgemm_block_per_row_multipassILj256ELj8ELj16ElidEEv20rocsparse_direction_T3_S2_PKS2_S4_NS_24const_host_device_scalarIT4_EEPKT2_S4_PKS6_SA_S4_SC_S7_SA_S4_SC_SA_PS2_PS6_PS8_21rocsparse_index_base_SG_SG_SG_bbb,comdat
	.globl	_ZN9rocsparseL31bsrgemm_block_per_row_multipassILj256ELj8ELj16ElidEEv20rocsparse_direction_T3_S2_PKS2_S4_NS_24const_host_device_scalarIT4_EEPKT2_S4_PKS6_SA_S4_SC_S7_SA_S4_SC_SA_PS2_PS6_PS8_21rocsparse_index_base_SG_SG_SG_bbb ; -- Begin function _ZN9rocsparseL31bsrgemm_block_per_row_multipassILj256ELj8ELj16ElidEEv20rocsparse_direction_T3_S2_PKS2_S4_NS_24const_host_device_scalarIT4_EEPKT2_S4_PKS6_SA_S4_SC_S7_SA_S4_SC_SA_PS2_PS6_PS8_21rocsparse_index_base_SG_SG_SG_bbb
	.p2align	8
	.type	_ZN9rocsparseL31bsrgemm_block_per_row_multipassILj256ELj8ELj16ElidEEv20rocsparse_direction_T3_S2_PKS2_S4_NS_24const_host_device_scalarIT4_EEPKT2_S4_PKS6_SA_S4_SC_S7_SA_S4_SC_SA_PS2_PS6_PS8_21rocsparse_index_base_SG_SG_SG_bbb,@function
_ZN9rocsparseL31bsrgemm_block_per_row_multipassILj256ELj8ELj16ElidEEv20rocsparse_direction_T3_S2_PKS2_S4_NS_24const_host_device_scalarIT4_EEPKT2_S4_PKS6_SA_S4_SC_S7_SA_S4_SC_SA_PS2_PS6_PS8_21rocsparse_index_base_SG_SG_SG_bbb: ; @_ZN9rocsparseL31bsrgemm_block_per_row_multipassILj256ELj8ELj16ElidEEv20rocsparse_direction_T3_S2_PKS2_S4_NS_24const_host_device_scalarIT4_EEPKT2_S4_PKS6_SA_S4_SC_S7_SA_S4_SC_SA_PS2_PS6_PS8_21rocsparse_index_base_SG_SG_SG_bbb
; %bb.0:
	s_clause 0x3
	s_load_b32 s3, s[0:1], 0xa8
	s_load_b64 s[6:7], s[0:1], 0x20
	s_load_b128 s[24:27], s[0:1], 0x98
	s_load_b64 s[4:5], s[0:1], 0x58
	s_mov_b32 s2, s15
	s_waitcnt lgkmcnt(0)
	s_and_b32 s9, 1, s3
	s_bitcmp1_b32 s3, 16
	s_cselect_b32 s8, -1, 0
	s_cmp_eq_u32 s9, 1
	s_cselect_b32 s44, -1, 0
	s_delay_alu instid0(SALU_CYCLE_1)
	s_and_b32 s9, s44, exec_lo
	s_cselect_b32 s11, s7, 0
	s_cselect_b32 s10, s6, 0
	s_xor_b32 s9, s44, -1
	v_dual_mov_b32 v1, s10 :: v_dual_mov_b32 v2, s11
	s_or_b32 s9, s9, s8
	s_delay_alu instid0(SALU_CYCLE_1)
	s_and_b32 vcc_lo, exec_lo, s9
	s_cbranch_vccnz .LBB203_2
; %bb.1:
	v_dual_mov_b32 v1, s6 :: v_dual_mov_b32 v2, s7
	flat_load_b64 v[1:2], v[1:2]
.LBB203_2:
	s_load_b64 s[6:7], s[0:1], 0x18
	s_bitcmp1_b32 s3, 8
	s_cselect_b32 s33, -1, 0
	s_delay_alu instid0(SALU_CYCLE_1)
	s_and_b32 s3, s33, exec_lo
	s_cselect_b32 s11, s5, 0
	s_cselect_b32 s10, s4, 0
	s_xor_b32 s3, s33, -1
	v_dual_mov_b32 v3, s10 :: v_dual_mov_b32 v4, s11
	s_or_b32 s3, s3, s8
	s_delay_alu instid0(SALU_CYCLE_1)
	s_and_b32 vcc_lo, exec_lo, s3
	s_cbranch_vccnz .LBB203_4
; %bb.3:
	v_dual_mov_b32 v3, s4 :: v_dual_mov_b32 v4, s5
	flat_load_b64 v[3:4], v[3:4]
.LBB203_4:
	s_load_b64 s[4:5], s[0:1], 0x28
	s_waitcnt lgkmcnt(0)
	s_cmp_eq_u64 s[6:7], 0
	s_mov_b64 s[34:35], 0
	s_cbranch_scc1 .LBB203_6
; %bb.5:
	s_load_b64 s[8:9], s[0:1], 0x10
	s_waitcnt lgkmcnt(0)
	s_load_b32 s3, s[8:9], 0x0
	s_waitcnt lgkmcnt(0)
	s_add_i32 s2, s3, s2
	s_mov_b32 s3, 0
	s_delay_alu instid0(SALU_CYCLE_1) | instskip(NEXT) | instid1(SALU_CYCLE_1)
	s_lshl_b64 s[2:3], s[2:3], 2
	s_add_u32 s2, s6, s2
	s_addc_u32 s3, s7, s3
	s_load_b32 s2, s[2:3], 0x0
.LBB203_6:
	s_and_not1_b32 vcc_lo, exec_lo, s44
	s_cbranch_vccz .LBB203_9
; %bb.7:
	s_and_not1_b32 vcc_lo, exec_lo, s44
	s_mov_b64 s[36:37], 0
	s_cbranch_vccz .LBB203_10
.LBB203_8:
	s_load_b128 s[4:7], s[0:1], 0x0
	s_waitcnt lgkmcnt(0)
	s_cmp_lt_i32 s5, 1
	s_cbranch_scc0 .LBB203_11
	s_branch .LBB203_98
.LBB203_9:
	s_waitcnt lgkmcnt(0)
	s_ashr_i32 s3, s2, 31
	s_delay_alu instid0(SALU_CYCLE_1) | instskip(NEXT) | instid1(SALU_CYCLE_1)
	s_lshl_b64 s[6:7], s[2:3], 3
	s_add_u32 s6, s4, s6
	s_addc_u32 s7, s5, s7
	s_load_b64 s[6:7], s[6:7], 0x0
	s_waitcnt lgkmcnt(0)
	s_sub_u32 s34, s6, s24
	s_subb_u32 s35, s7, 0
	s_and_not1_b32 vcc_lo, exec_lo, s44
	s_mov_b64 s[36:37], 0
	s_cbranch_vccnz .LBB203_8
.LBB203_10:
	s_waitcnt lgkmcnt(0)
	s_ashr_i32 s3, s2, 31
	s_delay_alu instid0(SALU_CYCLE_1) | instskip(NEXT) | instid1(SALU_CYCLE_1)
	s_lshl_b64 s[6:7], s[2:3], 3
	s_add_u32 s4, s4, s6
	s_addc_u32 s5, s5, s7
	s_load_b64 s[4:5], s[4:5], 0x8
	s_waitcnt lgkmcnt(0)
	s_sub_u32 s36, s4, s24
	s_subb_u32 s37, s5, 0
	s_load_b128 s[4:7], s[0:1], 0x0
	s_waitcnt lgkmcnt(0)
	s_cmp_lt_i32 s5, 1
	s_cbranch_scc1 .LBB203_98
.LBB203_11:
	s_clause 0x4
	s_load_b256 s[16:23], s[0:1], 0x60
	s_load_b64 s[38:39], s[0:1], 0x90
	s_load_b128 s[28:31], s[0:1], 0x80
	s_load_b64 s[42:43], s[0:1], 0x50
	s_load_b256 s[8:15], s[0:1], 0x30
	v_and_b32_e32 v35, 15, v0
	s_ashr_i32 s3, s2, 31
	v_lshrrev_b32_e32 v12, 4, v0
	v_mov_b32_e32 v5, 0
	s_lshl_b64 s[46:47], s[2:3], 3
	v_mul_lo_u32 v6, v35, s6
	v_and_b32_e32 v36, 0xf0, v0
	v_mul_lo_u32 v8, v12, s6
	v_mov_b32_e32 v7, v5
	v_cmp_gt_u32_e32 vcc_lo, s6, v35
	v_cmp_gt_i32_e64 s1, s6, v12
	s_mul_i32 s40, s6, s6
	s_mov_b32 s41, 0
	v_lshlrev_b64 v[10:11], 3, v[6:7]
	v_lshlrev_b32_e32 v6, 3, v12
	s_waitcnt lgkmcnt(0)
	s_add_u32 s2, s22, s46
	s_addc_u32 s3, s23, s47
	v_mov_b32_e32 v9, v5
	s_load_b64 s[22:23], s[2:3], 0x0
	v_add_co_u32 v7, s2, s20, v10
	s_mul_hi_u32 s7, s34, s40
	s_delay_alu instid0(VALU_DEP_2) | instskip(SKIP_4) | instid1(VALU_DEP_4)
	v_lshlrev_b64 v[15:16], 3, v[8:9]
	v_add_co_ci_u32_e64 v8, s2, s21, v11, s2
	v_cmp_gt_u32_e64 s0, 8, v0
	v_cmp_gt_u32_e64 s3, 0x100, v0
	s_mov_b32 s59, 8
	v_add_co_u32 v9, s2, s20, v15
	s_delay_alu instid0(VALU_DEP_1) | instskip(SKIP_1) | instid1(VALU_DEP_1)
	v_add_co_ci_u32_e64 v12, s2, s21, v16, s2
	v_add_co_u32 v7, s2, v7, v6
	v_add_co_ci_u32_e64 v8, s2, 0, v8, s2
	v_lshlrev_b32_e32 v13, 3, v35
	v_cmp_lt_i64_e64 s2, s[34:35], s[36:37]
	s_waitcnt lgkmcnt(0)
	s_sub_u32 s60, s22, s26
	s_subb_u32 s61, s23, 0
	s_and_b32 s48, vcc_lo, s1
	v_add_co_u32 v14, s1, s30, v10
	s_delay_alu instid0(VALU_DEP_1) | instskip(SKIP_2) | instid1(VALU_DEP_3)
	v_add_co_ci_u32_e64 v17, s1, s31, v11, s1
	v_add_co_u32 v9, vcc_lo, v9, v13
	s_cmp_eq_u32 s4, 0
	v_add_co_u32 v37, s1, v14, v6
	v_add_co_ci_u32_e32 v12, vcc_lo, 0, v12, vcc_lo
	s_cselect_b32 vcc_lo, -1, 0
	s_cmp_lg_u32 s4, 0
	v_add_co_ci_u32_e64 v38, s1, 0, v17, s1
	s_delay_alu instid0(VALU_DEP_2)
	v_cndmask_b32_e32 v8, v8, v12, vcc_lo
	v_add_co_u32 v14, s1, s30, v15
	s_cselect_b32 s49, -1, 0
	s_cmp_gt_i32 s6, 0
	v_add_co_ci_u32_e64 v17, s1, s31, v16, s1
	s_cselect_b32 s51, -1, 0
	s_add_u32 s20, s16, s46
	s_addc_u32 s21, s17, s47
	s_and_b32 s52, s44, s2
	v_add_co_u32 v39, s1, v14, v13
	s_add_u32 s53, s12, 8
	s_addc_u32 s54, s13, 0
	s_mul_i32 s4, s35, s40
	v_add_co_ci_u32_e64 v40, s1, 0, v17, s1
	s_add_u32 s55, s28, -4
	s_addc_u32 s56, s29, -1
	s_add_i32 s17, s7, s4
	s_mul_i32 s16, s34, s40
	s_lshl_b64 s[30:31], s[40:41], 3
	s_lshl_b64 s[16:17], s[16:17], 3
	v_cndmask_b32_e32 v7, v7, v9, vcc_lo
	v_dual_cndmask_b32 v43, v38, v40 :: v_dual_mov_b32 v46, 1
	v_cndmask_b32_e32 v44, v37, v39, vcc_lo
	v_add_co_u32 v9, vcc_lo, s42, v10
	s_add_u32 s4, s10, s16
	v_or_b32_e32 v14, 0x400, v0
	v_or_b32_e32 v18, v36, v35
	v_add_co_ci_u32_e32 v10, vcc_lo, s43, v11, vcc_lo
	s_addc_u32 s44, s11, s17
	s_mov_b32 s7, s41
	v_add_co_u32 v11, s10, s4, v6
	s_mov_b32 s22, s27
	s_mov_b32 s23, s41
	v_add_co_ci_u32_e64 v12, null, s44, 0, s10
	s_lshl_b64 s[10:11], s[6:7], 3
	v_add_co_u32 v13, s7, s42, v13
	s_mov_b32 s42, s41
	v_cmp_gt_u32_e64 s1, 0x700, v14
	v_add_co_ci_u32_e64 v14, null, s43, 0, s7
	s_lshl_b64 s[16:17], s[22:23], 2
	v_add_co_u32 v15, vcc_lo, s4, v15
	s_mov_b32 s43, s41
	v_dual_mov_b32 v19, s60 :: v_dual_lshlrev_b32 v42, 3, v18
	v_mov_b32_e32 v17, s42
	v_dual_mov_b32 v20, s61 :: v_dual_lshlrev_b32 v41, 3, v0
	v_cmp_gt_u32_e64 s2, 0x200, v0
	v_add_co_ci_u32_e32 v16, vcc_lo, s44, v16, vcc_lo
	s_sub_u32 s7, s18, s16
	v_mov_b32_e32 v18, s43
	v_cndmask_b32_e64 v45, 0, 1, s51
	s_subb_u32 s23, s19, s17
	s_sub_u32 s57, 1, s27
	s_mov_b32 s50, s25
	s_subb_u32 s58, 0, 0
	s_branch .LBB203_14
.LBB203_12:                             ;   in Loop: Header=BB203_14 Depth=1
	s_or_b32 exec_lo, exec_lo, s4
.LBB203_13:                             ;   in Loop: Header=BB203_14 Depth=1
	s_min_i32 s41, s60, s5
	s_waitcnt lgkmcnt(0)
	v_dual_mov_b32 v19, v21 :: v_dual_mov_b32 v20, v22
	s_add_i32 s59, s41, 8
	s_cmp_lt_i32 s60, s5
	s_waitcnt_vscnt null, 0x0
	s_barrier
	buffer_gl0_inv
	s_barrier
	buffer_gl0_inv
	s_cbranch_scc0 .LBB203_98
.LBB203_14:                             ; =>This Loop Header: Depth=1
                                        ;     Child Loop BB203_24 Depth 2
                                        ;       Child Loop BB203_29 Depth 3
                                        ;         Child Loop BB203_38 Depth 4
                                        ;         Child Loop BB203_43 Depth 4
                                        ;     Child Loop BB203_57 Depth 2
	s_and_saveexec_b32 s4, s0
	s_cbranch_execz .LBB203_16
; %bb.15:                               ;   in Loop: Header=BB203_14 Depth=1
	ds_store_b8 v0, v5 offset:16384
.LBB203_16:                             ;   in Loop: Header=BB203_14 Depth=1
	s_or_b32 exec_lo, exec_lo, s4
	ds_store_2addr_stride64_b64 v41, v[17:18], v[17:18] offset1:4
	ds_store_2addr_stride64_b64 v41, v[17:18], v[17:18] offset0:8 offset1:12
	ds_store_b64 v41, v[17:18] offset:8192
	s_and_saveexec_b32 s4, s1
	s_delay_alu instid0(SALU_CYCLE_1)
	s_xor_b32 s4, exec_lo, s4
	s_cbranch_execz .LBB203_22
; %bb.17:                               ;   in Loop: Header=BB203_14 Depth=1
	v_mov_b32_e32 v6, v5
	ds_store_b64 v41, v[5:6] offset:10240
	s_and_saveexec_b32 s16, s2
	s_delay_alu instid0(SALU_CYCLE_1)
	s_xor_b32 s16, exec_lo, s16
	s_cbranch_execz .LBB203_21
; %bb.18:                               ;   in Loop: Header=BB203_14 Depth=1
	ds_store_b64 v41, v[5:6] offset:12288
	s_and_saveexec_b32 s17, s3
	s_delay_alu instid0(SALU_CYCLE_1)
	s_xor_b32 s17, exec_lo, s17
	s_cbranch_execz .LBB203_20
; %bb.19:                               ;   in Loop: Header=BB203_14 Depth=1
	v_mov_b32_e32 v6, v5
	ds_store_b64 v41, v[5:6] offset:14336
.LBB203_20:                             ;   in Loop: Header=BB203_14 Depth=1
	s_or_b32 exec_lo, exec_lo, s17
.LBB203_21:                             ;   in Loop: Header=BB203_14 Depth=1
	s_delay_alu instid0(SALU_CYCLE_1)
	s_or_b32 exec_lo, exec_lo, s16
.LBB203_22:                             ;   in Loop: Header=BB203_14 Depth=1
	s_delay_alu instid0(SALU_CYCLE_1) | instskip(NEXT) | instid1(SALU_CYCLE_1)
	s_or_b32 exec_lo, exec_lo, s4
	s_and_not1_b32 vcc_lo, exec_lo, s52
	s_mov_b32 s60, s5
	s_waitcnt vmcnt(0) lgkmcnt(0)
	s_barrier
	buffer_gl0_inv
	s_cbranch_vccnz .LBB203_52
; %bb.23:                               ;   in Loop: Header=BB203_14 Depth=1
	v_dual_mov_b32 v22, v16 :: v_dual_mov_b32 v21, v15
	v_dual_mov_b32 v24, v12 :: v_dual_mov_b32 v23, v11
	s_cmp_lg_u32 s41, 0
	s_mov_b32 s62, s5
	s_cselect_b32 s61, -1, 0
	s_mov_b64 s[16:17], s[34:35]
.LBB203_24:                             ;   Parent Loop BB203_14 Depth=1
                                        ; =>  This Loop Header: Depth=2
                                        ;       Child Loop BB203_29 Depth 3
                                        ;         Child Loop BB203_38 Depth 4
                                        ;         Child Loop BB203_43 Depth 4
	s_delay_alu instid0(SALU_CYCLE_1) | instskip(NEXT) | instid1(SALU_CYCLE_1)
	s_lshl_b64 s[18:19], s[16:17], 2
	s_add_u32 s18, s8, s18
	s_addc_u32 s19, s9, s19
	s_and_b32 vcc_lo, exec_lo, s61
	s_load_b32 s4, s[18:19], 0x0
	s_waitcnt lgkmcnt(0)
	s_sub_i32 s42, s4, s24
	s_cbranch_vccz .LBB203_51
; %bb.25:                               ;   in Loop: Header=BB203_24 Depth=2
	s_lshl_b64 s[18:19], s[16:17], 3
	s_delay_alu instid0(SALU_CYCLE_1)
	s_add_u32 s18, s38, s18
	s_addc_u32 s19, s39, s19
	s_ashr_i32 s43, s42, 31
	global_load_b64 v[25:26], v5, s[18:19]
	s_waitcnt vmcnt(0)
	v_readfirstlane_b32 s18, v25
	v_readfirstlane_b32 s19, v26
	s_cbranch_execnz .LBB203_27
.LBB203_26:                             ;   in Loop: Header=BB203_24 Depth=2
	s_ashr_i32 s43, s42, 31
	s_delay_alu instid0(SALU_CYCLE_1) | instskip(NEXT) | instid1(SALU_CYCLE_1)
	s_lshl_b64 s[18:19], s[42:43], 3
	s_add_u32 s18, s12, s18
	s_addc_u32 s19, s13, s19
	s_load_b64 s[18:19], s[18:19], 0x0
	s_waitcnt lgkmcnt(0)
	s_sub_u32 s18, s18, s50
	s_subb_u32 s19, s19, 0
.LBB203_27:                             ;   in Loop: Header=BB203_24 Depth=2
	s_lshl_b64 s[42:43], s[42:43], 3
	s_delay_alu instid0(SALU_CYCLE_1)
	s_add_u32 s42, s53, s42
	s_addc_u32 s43, s54, s43
	s_load_b64 s[42:43], s[42:43], 0x0
	s_waitcnt lgkmcnt(0)
	s_sub_u32 s42, s42, s50
	s_subb_u32 s43, s43, 0
	s_delay_alu instid0(SALU_CYCLE_1) | instskip(NEXT) | instid1(VALU_DEP_1)
	v_cmp_ge_i64_e64 s4, s[18:19], s[42:43]
	s_and_b32 vcc_lo, exec_lo, s4
	s_cbranch_vccnz .LBB203_48
; %bb.28:                               ;   in Loop: Header=BB203_24 Depth=2
	v_mad_u64_u32 v[25:26], null, s30, s18, v[9:10]
	v_mad_u64_u32 v[27:28], null, s30, s18, v[13:14]
	s_mul_i32 s4, s31, s18
	s_mul_i32 s44, s30, s19
	s_delay_alu instid0(SALU_CYCLE_1)
	s_add_i32 s44, s44, s4
	s_delay_alu instid0(VALU_DEP_2) | instid1(SALU_CYCLE_1)
	v_add_nc_u32_e32 v26, s44, v26
	s_delay_alu instid0(VALU_DEP_2)
	v_add_nc_u32_e32 v28, s44, v28
	s_mov_b64 s[44:45], s[18:19]
.LBB203_29:                             ;   Parent Loop BB203_14 Depth=1
                                        ;     Parent Loop BB203_24 Depth=2
                                        ; =>    This Loop Header: Depth=3
                                        ;         Child Loop BB203_38 Depth 4
                                        ;         Child Loop BB203_43 Depth 4
	s_lshl_b64 s[46:47], s[18:19], 2
	s_mov_b32 s64, -1
	s_add_u32 s46, s14, s46
	s_addc_u32 s47, s15, s47
                                        ; implicit-def: $sgpr60
	s_load_b32 s4, s[46:47], 0x0
                                        ; implicit-def: $sgpr46_sgpr47
	s_waitcnt lgkmcnt(0)
	s_sub_i32 s63, s4, s25
	s_delay_alu instid0(SALU_CYCLE_1) | instskip(SKIP_3) | instid1(SALU_CYCLE_1)
	s_cmp_lt_i32 s63, s41
	s_cselect_b32 s4, -1, 0
	s_cmp_ge_i32 s63, s59
	s_cselect_b32 s65, -1, 0
	s_or_b32 s4, s4, s65
	s_delay_alu instid0(SALU_CYCLE_1)
	s_and_b32 vcc_lo, exec_lo, s4
                                        ; implicit-def: $sgpr4
	s_cbranch_vccz .LBB203_33
; %bb.30:                               ;   in Loop: Header=BB203_29 Depth=3
	s_mov_b32 s4, -1
	s_and_not1_b32 vcc_lo, exec_lo, s65
	s_mov_b64 s[46:47], s[44:45]
	s_mov_b32 s60, s62
	s_cbranch_vccnz .LBB203_32
; %bb.31:                               ;   in Loop: Header=BB203_29 Depth=3
	s_min_i32 s60, s63, s62
	s_mov_b32 s4, 0
	s_mov_b64 s[46:47], s[18:19]
.LBB203_32:                             ;   in Loop: Header=BB203_29 Depth=3
	s_mov_b32 s64, 0
.LBB203_33:                             ;   in Loop: Header=BB203_29 Depth=3
	s_delay_alu instid0(SALU_CYCLE_1)
	s_and_not1_b32 vcc_lo, exec_lo, s64
	s_cbranch_vccnz .LBB203_46
; %bb.34:                               ;   in Loop: Header=BB203_29 Depth=3
	s_sub_i32 s47, s63, s41
	s_delay_alu instid0(SALU_CYCLE_1)
	v_mov_b32_e32 v6, s47
	ds_store_b8 v6, v46 offset:16384
	s_and_saveexec_b32 s46, s48
	s_cbranch_execz .LBB203_45
; %bb.35:                               ;   in Loop: Header=BB203_29 Depth=3
	v_cmp_ne_u32_e64 s4, 1, v45
	s_and_not1_b32 vcc_lo, exec_lo, s49
	s_cbranch_vccnz .LBB203_40
; %bb.36:                               ;   in Loop: Header=BB203_29 Depth=3
	v_mov_b32_e32 v29, 0
	v_mov_b32_e32 v30, 0
	s_and_b32 vcc_lo, exec_lo, s4
	s_cbranch_vccnz .LBB203_39
; %bb.37:                               ;   in Loop: Header=BB203_29 Depth=3
	v_dual_mov_b32 v32, v24 :: v_dual_mov_b32 v31, v23
	v_dual_mov_b32 v34, v26 :: v_dual_mov_b32 v33, v25
	s_mov_b32 s4, s6
.LBB203_38:                             ;   Parent Loop BB203_14 Depth=1
                                        ;     Parent Loop BB203_24 Depth=2
                                        ;       Parent Loop BB203_29 Depth=3
                                        ; =>      This Inner Loop Header: Depth=4
	global_load_b64 v[47:48], v[31:32], off
	global_load_b64 v[49:50], v[33:34], off
	v_add_co_u32 v33, vcc_lo, v33, 8
	v_add_co_ci_u32_e32 v34, vcc_lo, 0, v34, vcc_lo
	v_add_co_u32 v31, vcc_lo, v31, s10
	v_add_co_ci_u32_e32 v32, vcc_lo, s11, v32, vcc_lo
	s_add_i32 s4, s4, -1
	s_delay_alu instid0(SALU_CYCLE_1)
	s_cmp_lg_u32 s4, 0
	s_waitcnt vmcnt(0)
	v_fma_f64 v[29:30], v[47:48], v[49:50], v[29:30]
	s_cbranch_scc1 .LBB203_38
.LBB203_39:                             ;   in Loop: Header=BB203_29 Depth=3
	s_cbranch_execz .LBB203_41
	s_branch .LBB203_44
.LBB203_40:                             ;   in Loop: Header=BB203_29 Depth=3
                                        ; implicit-def: $vgpr29_vgpr30
.LBB203_41:                             ;   in Loop: Header=BB203_29 Depth=3
	v_mov_b32_e32 v29, 0
	v_mov_b32_e32 v30, 0
	s_and_not1_b32 vcc_lo, exec_lo, s51
	s_cbranch_vccnz .LBB203_44
; %bb.42:                               ;   in Loop: Header=BB203_29 Depth=3
	v_dual_mov_b32 v32, v22 :: v_dual_mov_b32 v31, v21
	v_dual_mov_b32 v34, v28 :: v_dual_mov_b32 v33, v27
	s_mov_b32 s4, s6
.LBB203_43:                             ;   Parent Loop BB203_14 Depth=1
                                        ;     Parent Loop BB203_24 Depth=2
                                        ;       Parent Loop BB203_29 Depth=3
                                        ; =>      This Inner Loop Header: Depth=4
	global_load_b64 v[47:48], v[31:32], off
	global_load_b64 v[49:50], v[33:34], off
	v_add_co_u32 v33, vcc_lo, v33, s10
	v_add_co_ci_u32_e32 v34, vcc_lo, s11, v34, vcc_lo
	v_add_co_u32 v31, vcc_lo, v31, 8
	v_add_co_ci_u32_e32 v32, vcc_lo, 0, v32, vcc_lo
	s_add_i32 s4, s4, -1
	s_delay_alu instid0(SALU_CYCLE_1)
	s_cmp_eq_u32 s4, 0
	s_waitcnt vmcnt(0)
	v_fma_f64 v[29:30], v[47:48], v[49:50], v[29:30]
	s_cbranch_scc0 .LBB203_43
.LBB203_44:                             ;   in Loop: Header=BB203_29 Depth=3
	s_lshl_b32 s4, s47, 8
	s_delay_alu instid0(SALU_CYCLE_1) | instskip(NEXT) | instid1(VALU_DEP_1)
	v_or3_b32 v6, s4, v36, v35
	v_lshlrev_b32_e32 v6, 3, v6
	ds_load_b64 v[31:32], v6
	s_waitcnt lgkmcnt(0)
	v_fma_f64 v[29:30], v[1:2], v[29:30], v[31:32]
	ds_store_b64 v6, v[29:30]
.LBB203_45:                             ;   in Loop: Header=BB203_29 Depth=3
	s_or_b32 exec_lo, exec_lo, s46
	s_mov_b32 s4, -1
	s_mov_b64 s[46:47], s[44:45]
	s_mov_b32 s60, s62
	s_waitcnt lgkmcnt(0)
	s_waitcnt_vscnt null, 0x0
	s_barrier
	buffer_gl0_inv
.LBB203_46:                             ;   in Loop: Header=BB203_29 Depth=3
	s_add_u32 s18, s18, 1
	s_addc_u32 s19, s19, 0
	v_add_co_u32 v25, vcc_lo, v25, s30
	v_cmp_lt_i64_e64 s44, s[18:19], s[42:43]
	v_add_co_ci_u32_e32 v26, vcc_lo, s31, v26, vcc_lo
	v_add_co_u32 v27, vcc_lo, v27, s30
	v_add_co_ci_u32_e32 v28, vcc_lo, s31, v28, vcc_lo
	s_delay_alu instid0(VALU_DEP_4) | instskip(NEXT) | instid1(SALU_CYCLE_1)
	s_and_b32 s4, s4, s44
	s_and_b32 vcc_lo, exec_lo, s4
	s_cbranch_vccz .LBB203_49
; %bb.47:                               ;   in Loop: Header=BB203_29 Depth=3
	s_mov_b64 s[44:45], s[46:47]
	s_mov_b32 s62, s60
	s_branch .LBB203_29
.LBB203_48:                             ;   in Loop: Header=BB203_24 Depth=2
	s_mov_b64 s[46:47], s[18:19]
	s_mov_b32 s60, s62
.LBB203_49:                             ;   in Loop: Header=BB203_24 Depth=2
	s_lshl_b64 s[18:19], s[16:17], 3
	v_add_co_u32 v23, vcc_lo, v23, s30
	s_add_u32 s18, s38, s18
	s_addc_u32 s19, s39, s19
	s_add_u32 s16, s16, 1
	s_addc_u32 s17, s17, 0
	v_add_co_ci_u32_e32 v24, vcc_lo, s31, v24, vcc_lo
	v_cmp_lt_i64_e64 s4, s[16:17], s[36:37]
	v_add_co_u32 v21, vcc_lo, v21, s30
	v_dual_mov_b32 v25, s46 :: v_dual_mov_b32 v26, s47
	v_add_co_ci_u32_e32 v22, vcc_lo, s31, v22, vcc_lo
	s_delay_alu instid0(VALU_DEP_4)
	s_and_b32 vcc_lo, exec_lo, s4
	global_store_b64 v5, v[25:26], s[18:19]
	s_cbranch_vccz .LBB203_52
; %bb.50:                               ;   in Loop: Header=BB203_24 Depth=2
	s_mov_b32 s62, s60
	s_branch .LBB203_24
.LBB203_51:                             ;   in Loop: Header=BB203_24 Depth=2
                                        ; implicit-def: $sgpr18_sgpr19
	s_branch .LBB203_26
.LBB203_52:                             ;   in Loop: Header=BB203_14 Depth=1
	s_and_not1_b32 vcc_lo, exec_lo, s33
	s_cbranch_vccnz .LBB203_62
; %bb.53:                               ;   in Loop: Header=BB203_14 Depth=1
	s_load_b128 s[16:19], s[20:21], 0x0
	s_waitcnt lgkmcnt(0)
	v_cmp_ge_i64_e64 s4, s[16:17], s[18:19]
	s_delay_alu instid0(VALU_DEP_1)
	s_and_b32 vcc_lo, exec_lo, s4
	s_cbranch_vccnz .LBB203_62
; %bb.54:                               ;   in Loop: Header=BB203_14 Depth=1
	s_sub_u32 s18, s18, s22
	s_subb_u32 s19, s19, 0
	s_sub_u32 s4, s16, s22
	s_subb_u32 s44, s17, 0
	v_mad_u64_u32 v[21:22], null, s30, s4, v[7:8]
	s_lshl_b64 s[42:43], s[16:17], 2
	s_mul_i32 s4, s31, s4
	s_mul_i32 s44, s30, s44
	s_add_u32 s42, s7, s42
	s_addc_u32 s43, s23, s43
	s_add_u32 s16, s57, s16
	s_delay_alu instid0(VALU_DEP_1)
	v_add3_u32 v22, s44, s4, v22
	s_addc_u32 s17, s58, s17
	s_branch .LBB203_57
.LBB203_55:                             ;   in Loop: Header=BB203_57 Depth=2
	s_or_b32 exec_lo, exec_lo, s4
	s_mov_b32 s44, -1
	s_mov_b32 s4, s60
	s_waitcnt lgkmcnt(0)
	s_waitcnt_vscnt null, 0x0
	s_barrier
	buffer_gl0_inv
.LBB203_56:                             ;   in Loop: Header=BB203_57 Depth=2
	v_cmp_lt_i64_e64 s45, s[16:17], s[18:19]
	v_add_co_u32 v21, vcc_lo, v21, s30
	v_add_co_ci_u32_e32 v22, vcc_lo, s31, v22, vcc_lo
	s_mov_b32 s60, s4
	s_delay_alu instid0(VALU_DEP_3)
	s_and_b32 s44, s44, s45
	s_add_u32 s42, s42, 4
	s_addc_u32 s43, s43, 0
	s_add_u32 s16, s16, 1
	s_addc_u32 s17, s17, 0
	s_and_b32 vcc_lo, exec_lo, s44
	s_cbranch_vccz .LBB203_62
.LBB203_57:                             ;   Parent Loop BB203_14 Depth=1
                                        ; =>  This Inner Loop Header: Depth=2
	s_load_b32 s4, s[42:43], 0x0
	s_waitcnt lgkmcnt(0)
	s_sub_i32 s45, s4, s27
	s_delay_alu instid0(SALU_CYCLE_1)
	s_cmp_lt_i32 s45, s41
	s_cselect_b32 s4, -1, 0
	s_cmp_lt_i32 s45, s59
	s_cselect_b32 s44, -1, 0
	s_cmp_ge_i32 s45, s59
	s_cselect_b32 s46, -1, 0
	s_delay_alu instid0(SALU_CYCLE_1)
	s_or_b32 s4, s4, s46
	s_mov_b32 s46, -1
	s_and_b32 vcc_lo, exec_lo, s4
                                        ; implicit-def: $sgpr4
	s_cbranch_vccz .LBB203_59
; %bb.58:                               ;   in Loop: Header=BB203_57 Depth=2
	s_min_i32 s4, s45, s60
	s_and_b32 s46, s44, exec_lo
	s_cselect_b32 s4, s60, s4
	s_mov_b32 s46, 0
.LBB203_59:                             ;   in Loop: Header=BB203_57 Depth=2
	s_delay_alu instid0(SALU_CYCLE_1)
	s_and_not1_b32 vcc_lo, exec_lo, s46
	s_cbranch_vccnz .LBB203_56
; %bb.60:                               ;   in Loop: Header=BB203_57 Depth=2
	s_sub_i32 s44, s45, s41
	s_delay_alu instid0(SALU_CYCLE_1)
	v_mov_b32_e32 v6, s44
	ds_store_b8 v6, v46 offset:16384
	s_and_saveexec_b32 s4, s48
	s_cbranch_execz .LBB203_55
; %bb.61:                               ;   in Loop: Header=BB203_57 Depth=2
	global_load_b64 v[23:24], v[21:22], off
	s_lshl_b32 s44, s44, 8
	s_delay_alu instid0(SALU_CYCLE_1) | instskip(NEXT) | instid1(VALU_DEP_1)
	v_or3_b32 v6, s44, v36, v35
	v_lshlrev_b32_e32 v6, 3, v6
	ds_load_b64 v[25:26], v6
	s_waitcnt vmcnt(0) lgkmcnt(0)
	v_fma_f64 v[23:24], v[3:4], v[23:24], v[25:26]
	ds_store_b64 v6, v[23:24]
	s_branch .LBB203_55
.LBB203_62:                             ;   in Loop: Header=BB203_14 Depth=1
	s_waitcnt_vscnt null, 0x0
	s_barrier
	buffer_gl0_inv
	ds_load_u8 v6, v5 offset:16384
	s_add_i32 s16, s41, s26
	s_mov_b32 s17, 0
	s_waitcnt lgkmcnt(0)
	v_cmp_eq_u32_e32 vcc_lo, 0, v6
	s_cbranch_vccnz .LBB203_66
; %bb.63:                               ;   in Loop: Header=BB203_14 Depth=1
	v_lshlrev_b64 v[21:22], 2, v[19:20]
	v_mov_b32_e32 v6, s16
	s_delay_alu instid0(VALU_DEP_2) | instskip(NEXT) | instid1(VALU_DEP_3)
	v_add_co_u32 v21, vcc_lo, s28, v21
	v_add_co_ci_u32_e32 v22, vcc_lo, s29, v22, vcc_lo
	global_store_b32 v[21:22], v6, off
	s_and_saveexec_b32 s4, s48
	s_cbranch_execz .LBB203_65
; %bb.64:                               ;   in Loop: Header=BB203_14 Depth=1
	v_mad_u64_u32 v[21:22], null, v19, s40, 0
	s_delay_alu instid0(VALU_DEP_1) | instskip(NEXT) | instid1(VALU_DEP_1)
	v_mov_b32_e32 v6, v22
	v_mad_u64_u32 v[22:23], null, v20, s40, v[6:7]
	ds_load_b64 v[23:24], v41
	v_lshlrev_b64 v[21:22], 3, v[21:22]
	s_delay_alu instid0(VALU_DEP_1) | instskip(NEXT) | instid1(VALU_DEP_2)
	v_add_co_u32 v21, vcc_lo, v44, v21
	v_add_co_ci_u32_e32 v22, vcc_lo, v43, v22, vcc_lo
	s_waitcnt lgkmcnt(0)
	global_store_b64 v[21:22], v[23:24], off
.LBB203_65:                             ;   in Loop: Header=BB203_14 Depth=1
	s_or_b32 exec_lo, exec_lo, s4
	s_mov_b32 s17, 1
.LBB203_66:                             ;   in Loop: Header=BB203_14 Depth=1
	ds_load_u8 v6, v5 offset:16385
	s_waitcnt lgkmcnt(0)
	v_cmp_eq_u32_e32 vcc_lo, 0, v6
	v_add_co_u32 v6, s4, v19, -1
	s_delay_alu instid0(VALU_DEP_1)
	v_add_co_ci_u32_e64 v23, s4, -1, v20, s4
	s_cbranch_vccz .LBB203_72
; %bb.67:                               ;   in Loop: Header=BB203_14 Depth=1
	ds_load_u8 v21, v5 offset:16386
	s_waitcnt lgkmcnt(0)
	v_cmp_eq_u32_e32 vcc_lo, 0, v21
	s_cbranch_vccz .LBB203_75
.LBB203_68:                             ;   in Loop: Header=BB203_14 Depth=1
	ds_load_u8 v21, v5 offset:16387
	s_waitcnt lgkmcnt(0)
	v_cmp_eq_u32_e32 vcc_lo, 0, v21
	s_cbranch_vccz .LBB203_78
.LBB203_69:                             ;   in Loop: Header=BB203_14 Depth=1
	ds_load_u8 v21, v5 offset:16388
	s_waitcnt lgkmcnt(0)
	v_cmp_eq_u32_e32 vcc_lo, 0, v21
	s_cbranch_vccz .LBB203_81
.LBB203_70:                             ;   in Loop: Header=BB203_14 Depth=1
	ds_load_u8 v21, v5 offset:16389
	s_waitcnt lgkmcnt(0)
	v_cmp_eq_u32_e32 vcc_lo, 0, v21
	s_cbranch_vccz .LBB203_84
.LBB203_71:                             ;   in Loop: Header=BB203_14 Depth=1
	ds_load_u8 v21, v5 offset:16390
	s_waitcnt lgkmcnt(0)
	v_cmp_eq_u32_e32 vcc_lo, 0, v21
	s_cbranch_vccz .LBB203_87
	s_branch .LBB203_90
.LBB203_72:                             ;   in Loop: Header=BB203_14 Depth=1
	s_add_i32 s17, s17, 1
	s_add_i32 s4, s16, 1
	v_add_co_u32 v21, vcc_lo, v19, s17
	v_add_co_ci_u32_e32 v22, vcc_lo, 0, v20, vcc_lo
	v_mov_b32_e32 v24, s4
	s_delay_alu instid0(VALU_DEP_2) | instskip(NEXT) | instid1(VALU_DEP_1)
	v_lshlrev_b64 v[21:22], 2, v[21:22]
	v_add_co_u32 v21, vcc_lo, s55, v21
	s_delay_alu instid0(VALU_DEP_2)
	v_add_co_ci_u32_e32 v22, vcc_lo, s56, v22, vcc_lo
	global_store_b32 v[21:22], v24, off
	s_and_saveexec_b32 s4, s48
	s_cbranch_execz .LBB203_74
; %bb.73:                               ;   in Loop: Header=BB203_14 Depth=1
	v_add_co_u32 v24, vcc_lo, v6, s17
	v_add_co_ci_u32_e32 v26, vcc_lo, 0, v23, vcc_lo
	s_delay_alu instid0(VALU_DEP_2) | instskip(NEXT) | instid1(VALU_DEP_1)
	v_mad_u64_u32 v[21:22], null, v24, s40, 0
	v_mad_u64_u32 v[24:25], null, v26, s40, v[22:23]
	ds_load_b64 v[25:26], v42 offset:2048
	v_mov_b32_e32 v22, v24
	s_delay_alu instid0(VALU_DEP_1) | instskip(NEXT) | instid1(VALU_DEP_1)
	v_lshlrev_b64 v[21:22], 3, v[21:22]
	v_add_co_u32 v21, vcc_lo, v44, v21
	s_delay_alu instid0(VALU_DEP_2)
	v_add_co_ci_u32_e32 v22, vcc_lo, v43, v22, vcc_lo
	s_waitcnt lgkmcnt(0)
	global_store_b64 v[21:22], v[25:26], off
.LBB203_74:                             ;   in Loop: Header=BB203_14 Depth=1
	s_or_b32 exec_lo, exec_lo, s4
	ds_load_u8 v21, v5 offset:16386
	s_waitcnt lgkmcnt(0)
	v_cmp_eq_u32_e32 vcc_lo, 0, v21
	s_cbranch_vccnz .LBB203_68
.LBB203_75:                             ;   in Loop: Header=BB203_14 Depth=1
	s_add_i32 s17, s17, 1
	s_add_i32 s4, s16, 2
	v_add_co_u32 v21, vcc_lo, v19, s17
	v_add_co_ci_u32_e32 v22, vcc_lo, 0, v20, vcc_lo
	v_mov_b32_e32 v24, s4
	s_delay_alu instid0(VALU_DEP_2) | instskip(NEXT) | instid1(VALU_DEP_1)
	v_lshlrev_b64 v[21:22], 2, v[21:22]
	v_add_co_u32 v21, vcc_lo, s55, v21
	s_delay_alu instid0(VALU_DEP_2)
	v_add_co_ci_u32_e32 v22, vcc_lo, s56, v22, vcc_lo
	global_store_b32 v[21:22], v24, off
	s_and_saveexec_b32 s4, s48
	s_cbranch_execz .LBB203_77
; %bb.76:                               ;   in Loop: Header=BB203_14 Depth=1
	v_add_co_u32 v24, vcc_lo, v6, s17
	v_add_co_ci_u32_e32 v26, vcc_lo, 0, v23, vcc_lo
	s_delay_alu instid0(VALU_DEP_2) | instskip(NEXT) | instid1(VALU_DEP_1)
	v_mad_u64_u32 v[21:22], null, v24, s40, 0
	v_mad_u64_u32 v[24:25], null, v26, s40, v[22:23]
	ds_load_b64 v[25:26], v42 offset:4096
	v_mov_b32_e32 v22, v24
	s_delay_alu instid0(VALU_DEP_1) | instskip(NEXT) | instid1(VALU_DEP_1)
	v_lshlrev_b64 v[21:22], 3, v[21:22]
	v_add_co_u32 v21, vcc_lo, v44, v21
	s_delay_alu instid0(VALU_DEP_2)
	v_add_co_ci_u32_e32 v22, vcc_lo, v43, v22, vcc_lo
	s_waitcnt lgkmcnt(0)
	global_store_b64 v[21:22], v[25:26], off
.LBB203_77:                             ;   in Loop: Header=BB203_14 Depth=1
	s_or_b32 exec_lo, exec_lo, s4
	ds_load_u8 v21, v5 offset:16387
	s_waitcnt lgkmcnt(0)
	v_cmp_eq_u32_e32 vcc_lo, 0, v21
	s_cbranch_vccnz .LBB203_69
.LBB203_78:                             ;   in Loop: Header=BB203_14 Depth=1
	s_add_i32 s17, s17, 1
	s_add_i32 s4, s16, 3
	v_add_co_u32 v21, vcc_lo, v19, s17
	v_add_co_ci_u32_e32 v22, vcc_lo, 0, v20, vcc_lo
	v_mov_b32_e32 v24, s4
	s_delay_alu instid0(VALU_DEP_2) | instskip(NEXT) | instid1(VALU_DEP_1)
	v_lshlrev_b64 v[21:22], 2, v[21:22]
	v_add_co_u32 v21, vcc_lo, s55, v21
	s_delay_alu instid0(VALU_DEP_2)
	v_add_co_ci_u32_e32 v22, vcc_lo, s56, v22, vcc_lo
	global_store_b32 v[21:22], v24, off
	s_and_saveexec_b32 s4, s48
	s_cbranch_execz .LBB203_80
; %bb.79:                               ;   in Loop: Header=BB203_14 Depth=1
	v_add_co_u32 v24, vcc_lo, v6, s17
	v_add_co_ci_u32_e32 v26, vcc_lo, 0, v23, vcc_lo
	s_delay_alu instid0(VALU_DEP_2) | instskip(NEXT) | instid1(VALU_DEP_1)
	v_mad_u64_u32 v[21:22], null, v24, s40, 0
	v_mad_u64_u32 v[24:25], null, v26, s40, v[22:23]
	ds_load_b64 v[25:26], v42 offset:6144
	v_mov_b32_e32 v22, v24
	s_delay_alu instid0(VALU_DEP_1) | instskip(NEXT) | instid1(VALU_DEP_1)
	v_lshlrev_b64 v[21:22], 3, v[21:22]
	v_add_co_u32 v21, vcc_lo, v44, v21
	s_delay_alu instid0(VALU_DEP_2)
	v_add_co_ci_u32_e32 v22, vcc_lo, v43, v22, vcc_lo
	s_waitcnt lgkmcnt(0)
	global_store_b64 v[21:22], v[25:26], off
.LBB203_80:                             ;   in Loop: Header=BB203_14 Depth=1
	s_or_b32 exec_lo, exec_lo, s4
	ds_load_u8 v21, v5 offset:16388
	s_waitcnt lgkmcnt(0)
	v_cmp_eq_u32_e32 vcc_lo, 0, v21
	s_cbranch_vccnz .LBB203_70
.LBB203_81:                             ;   in Loop: Header=BB203_14 Depth=1
	s_add_i32 s17, s17, 1
	s_add_i32 s4, s16, 4
	v_add_co_u32 v21, vcc_lo, v19, s17
	v_add_co_ci_u32_e32 v22, vcc_lo, 0, v20, vcc_lo
	v_mov_b32_e32 v24, s4
	s_delay_alu instid0(VALU_DEP_2) | instskip(NEXT) | instid1(VALU_DEP_1)
	v_lshlrev_b64 v[21:22], 2, v[21:22]
	v_add_co_u32 v21, vcc_lo, s55, v21
	s_delay_alu instid0(VALU_DEP_2)
	v_add_co_ci_u32_e32 v22, vcc_lo, s56, v22, vcc_lo
	global_store_b32 v[21:22], v24, off
	s_and_saveexec_b32 s4, s48
	s_cbranch_execz .LBB203_83
; %bb.82:                               ;   in Loop: Header=BB203_14 Depth=1
	v_add_co_u32 v24, vcc_lo, v6, s17
	v_add_co_ci_u32_e32 v26, vcc_lo, 0, v23, vcc_lo
	s_delay_alu instid0(VALU_DEP_2) | instskip(NEXT) | instid1(VALU_DEP_1)
	v_mad_u64_u32 v[21:22], null, v24, s40, 0
	v_mad_u64_u32 v[24:25], null, v26, s40, v[22:23]
	ds_load_b64 v[25:26], v41 offset:8192
	v_mov_b32_e32 v22, v24
	s_delay_alu instid0(VALU_DEP_1) | instskip(NEXT) | instid1(VALU_DEP_1)
	v_lshlrev_b64 v[21:22], 3, v[21:22]
	v_add_co_u32 v21, vcc_lo, v44, v21
	s_delay_alu instid0(VALU_DEP_2)
	v_add_co_ci_u32_e32 v22, vcc_lo, v43, v22, vcc_lo
	s_waitcnt lgkmcnt(0)
	global_store_b64 v[21:22], v[25:26], off
.LBB203_83:                             ;   in Loop: Header=BB203_14 Depth=1
	s_or_b32 exec_lo, exec_lo, s4
	ds_load_u8 v21, v5 offset:16389
	s_waitcnt lgkmcnt(0)
	v_cmp_eq_u32_e32 vcc_lo, 0, v21
	s_cbranch_vccnz .LBB203_71
.LBB203_84:                             ;   in Loop: Header=BB203_14 Depth=1
	s_add_i32 s17, s17, 1
	s_add_i32 s4, s16, 5
	v_add_co_u32 v21, vcc_lo, v19, s17
	v_add_co_ci_u32_e32 v22, vcc_lo, 0, v20, vcc_lo
	v_mov_b32_e32 v24, s4
	s_delay_alu instid0(VALU_DEP_2) | instskip(NEXT) | instid1(VALU_DEP_1)
	v_lshlrev_b64 v[21:22], 2, v[21:22]
	v_add_co_u32 v21, vcc_lo, s55, v21
	s_delay_alu instid0(VALU_DEP_2)
	v_add_co_ci_u32_e32 v22, vcc_lo, s56, v22, vcc_lo
	global_store_b32 v[21:22], v24, off
	s_and_saveexec_b32 s4, s48
	s_cbranch_execz .LBB203_86
; %bb.85:                               ;   in Loop: Header=BB203_14 Depth=1
	v_add_co_u32 v24, vcc_lo, v6, s17
	v_add_co_ci_u32_e32 v26, vcc_lo, 0, v23, vcc_lo
	s_delay_alu instid0(VALU_DEP_2) | instskip(NEXT) | instid1(VALU_DEP_1)
	v_mad_u64_u32 v[21:22], null, v24, s40, 0
	v_mad_u64_u32 v[24:25], null, v26, s40, v[22:23]
	ds_load_b64 v[25:26], v42 offset:10240
	v_mov_b32_e32 v22, v24
	s_delay_alu instid0(VALU_DEP_1) | instskip(NEXT) | instid1(VALU_DEP_1)
	v_lshlrev_b64 v[21:22], 3, v[21:22]
	v_add_co_u32 v21, vcc_lo, v44, v21
	s_delay_alu instid0(VALU_DEP_2)
	v_add_co_ci_u32_e32 v22, vcc_lo, v43, v22, vcc_lo
	s_waitcnt lgkmcnt(0)
	global_store_b64 v[21:22], v[25:26], off
.LBB203_86:                             ;   in Loop: Header=BB203_14 Depth=1
	s_or_b32 exec_lo, exec_lo, s4
	ds_load_u8 v21, v5 offset:16390
	s_waitcnt lgkmcnt(0)
	v_cmp_eq_u32_e32 vcc_lo, 0, v21
	s_cbranch_vccnz .LBB203_90
.LBB203_87:                             ;   in Loop: Header=BB203_14 Depth=1
	s_add_i32 s17, s17, 1
	s_add_i32 s4, s16, 6
	v_add_co_u32 v21, vcc_lo, v19, s17
	v_add_co_ci_u32_e32 v22, vcc_lo, 0, v20, vcc_lo
	v_mov_b32_e32 v24, s4
	s_delay_alu instid0(VALU_DEP_2) | instskip(NEXT) | instid1(VALU_DEP_1)
	v_lshlrev_b64 v[21:22], 2, v[21:22]
	v_add_co_u32 v21, vcc_lo, s55, v21
	s_delay_alu instid0(VALU_DEP_2)
	v_add_co_ci_u32_e32 v22, vcc_lo, s56, v22, vcc_lo
	global_store_b32 v[21:22], v24, off
	s_and_saveexec_b32 s4, s48
	s_cbranch_execz .LBB203_89
; %bb.88:                               ;   in Loop: Header=BB203_14 Depth=1
	v_add_co_u32 v24, vcc_lo, v6, s17
	v_add_co_ci_u32_e32 v26, vcc_lo, 0, v23, vcc_lo
	s_delay_alu instid0(VALU_DEP_2) | instskip(NEXT) | instid1(VALU_DEP_1)
	v_mad_u64_u32 v[21:22], null, v24, s40, 0
	v_mad_u64_u32 v[24:25], null, v26, s40, v[22:23]
	ds_load_b64 v[25:26], v42 offset:12288
	v_mov_b32_e32 v22, v24
	s_delay_alu instid0(VALU_DEP_1) | instskip(NEXT) | instid1(VALU_DEP_1)
	v_lshlrev_b64 v[21:22], 3, v[21:22]
	v_add_co_u32 v21, vcc_lo, v44, v21
	s_delay_alu instid0(VALU_DEP_2)
	v_add_co_ci_u32_e32 v22, vcc_lo, v43, v22, vcc_lo
	s_waitcnt lgkmcnt(0)
	global_store_b64 v[21:22], v[25:26], off
.LBB203_89:                             ;   in Loop: Header=BB203_14 Depth=1
	s_or_b32 exec_lo, exec_lo, s4
.LBB203_90:                             ;   in Loop: Header=BB203_14 Depth=1
	ds_load_u8 v21, v5 offset:16391
	s_waitcnt lgkmcnt(0)
	v_and_b32_e32 v21, 1, v21
	s_delay_alu instid0(VALU_DEP_1)
	v_cmp_eq_u32_e32 vcc_lo, 1, v21
	s_cbranch_vccnz .LBB203_92
; %bb.91:                               ;   in Loop: Header=BB203_14 Depth=1
	v_add_co_u32 v21, vcc_lo, s17, v19
	v_add_co_ci_u32_e32 v22, vcc_lo, 0, v20, vcc_lo
	s_cbranch_execnz .LBB203_13
	s_branch .LBB203_93
.LBB203_92:                             ;   in Loop: Header=BB203_14 Depth=1
                                        ; implicit-def: $vgpr21_vgpr22
.LBB203_93:                             ;   in Loop: Header=BB203_14 Depth=1
	s_add_i32 s17, s17, 1
	s_add_i32 s4, s16, 7
	v_add_co_u32 v21, vcc_lo, v19, s17
	v_add_co_ci_u32_e32 v22, vcc_lo, 0, v20, vcc_lo
	v_mov_b32_e32 v24, s4
	s_delay_alu instid0(VALU_DEP_2) | instskip(NEXT) | instid1(VALU_DEP_1)
	v_lshlrev_b64 v[19:20], 2, v[21:22]
	v_add_co_u32 v19, vcc_lo, s55, v19
	s_delay_alu instid0(VALU_DEP_2)
	v_add_co_ci_u32_e32 v20, vcc_lo, s56, v20, vcc_lo
	global_store_b32 v[19:20], v24, off
	s_and_saveexec_b32 s4, s48
	s_cbranch_execz .LBB203_12
; %bb.94:                               ;   in Loop: Header=BB203_14 Depth=1
	v_add_co_u32 v6, vcc_lo, v6, s17
	v_add_co_ci_u32_e32 v26, vcc_lo, 0, v23, vcc_lo
	ds_load_b64 v[19:20], v42 offset:14336
	v_mad_u64_u32 v[23:24], null, v6, s40, 0
	s_and_not1_b32 vcc_lo, exec_lo, s49
	s_delay_alu instid0(VALU_DEP_1) | instskip(NEXT) | instid1(VALU_DEP_1)
	v_mov_b32_e32 v6, v24
	v_mad_u64_u32 v[24:25], null, v26, s40, v[6:7]
	s_delay_alu instid0(VALU_DEP_1)
	v_lshlrev_b64 v[23:24], 3, v[23:24]
	s_cbranch_vccnz .LBB203_96
; %bb.95:                               ;   in Loop: Header=BB203_14 Depth=1
	s_delay_alu instid0(VALU_DEP_1) | instskip(NEXT) | instid1(VALU_DEP_2)
	v_add_co_u32 v25, vcc_lo, v37, v23
	v_add_co_ci_u32_e32 v26, vcc_lo, v38, v24, vcc_lo
	s_waitcnt lgkmcnt(0)
	global_store_b64 v[25:26], v[19:20], off
	s_cbranch_execnz .LBB203_12
	s_branch .LBB203_97
.LBB203_96:                             ;   in Loop: Header=BB203_14 Depth=1
.LBB203_97:                             ;   in Loop: Header=BB203_14 Depth=1
	s_delay_alu instid0(VALU_DEP_1) | instskip(NEXT) | instid1(VALU_DEP_2)
	v_add_co_u32 v23, vcc_lo, v39, v23
	v_add_co_ci_u32_e32 v24, vcc_lo, v40, v24, vcc_lo
	s_waitcnt lgkmcnt(0)
	global_store_b64 v[23:24], v[19:20], off
	s_branch .LBB203_12
.LBB203_98:
	s_endpgm
	.section	.rodata,"a",@progbits
	.p2align	6, 0x0
	.amdhsa_kernel _ZN9rocsparseL31bsrgemm_block_per_row_multipassILj256ELj8ELj16ElidEEv20rocsparse_direction_T3_S2_PKS2_S4_NS_24const_host_device_scalarIT4_EEPKT2_S4_PKS6_SA_S4_SC_S7_SA_S4_SC_SA_PS2_PS6_PS8_21rocsparse_index_base_SG_SG_SG_bbb
		.amdhsa_group_segment_fixed_size 16392
		.amdhsa_private_segment_fixed_size 0
		.amdhsa_kernarg_size 172
		.amdhsa_user_sgpr_count 15
		.amdhsa_user_sgpr_dispatch_ptr 0
		.amdhsa_user_sgpr_queue_ptr 0
		.amdhsa_user_sgpr_kernarg_segment_ptr 1
		.amdhsa_user_sgpr_dispatch_id 0
		.amdhsa_user_sgpr_private_segment_size 0
		.amdhsa_wavefront_size32 1
		.amdhsa_uses_dynamic_stack 0
		.amdhsa_enable_private_segment 0
		.amdhsa_system_sgpr_workgroup_id_x 1
		.amdhsa_system_sgpr_workgroup_id_y 0
		.amdhsa_system_sgpr_workgroup_id_z 0
		.amdhsa_system_sgpr_workgroup_info 0
		.amdhsa_system_vgpr_workitem_id 0
		.amdhsa_next_free_vgpr 51
		.amdhsa_next_free_sgpr 66
		.amdhsa_reserve_vcc 1
		.amdhsa_float_round_mode_32 0
		.amdhsa_float_round_mode_16_64 0
		.amdhsa_float_denorm_mode_32 3
		.amdhsa_float_denorm_mode_16_64 3
		.amdhsa_dx10_clamp 1
		.amdhsa_ieee_mode 1
		.amdhsa_fp16_overflow 0
		.amdhsa_workgroup_processor_mode 1
		.amdhsa_memory_ordered 1
		.amdhsa_forward_progress 0
		.amdhsa_shared_vgpr_count 0
		.amdhsa_exception_fp_ieee_invalid_op 0
		.amdhsa_exception_fp_denorm_src 0
		.amdhsa_exception_fp_ieee_div_zero 0
		.amdhsa_exception_fp_ieee_overflow 0
		.amdhsa_exception_fp_ieee_underflow 0
		.amdhsa_exception_fp_ieee_inexact 0
		.amdhsa_exception_int_div_zero 0
	.end_amdhsa_kernel
	.section	.text._ZN9rocsparseL31bsrgemm_block_per_row_multipassILj256ELj8ELj16ElidEEv20rocsparse_direction_T3_S2_PKS2_S4_NS_24const_host_device_scalarIT4_EEPKT2_S4_PKS6_SA_S4_SC_S7_SA_S4_SC_SA_PS2_PS6_PS8_21rocsparse_index_base_SG_SG_SG_bbb,"axG",@progbits,_ZN9rocsparseL31bsrgemm_block_per_row_multipassILj256ELj8ELj16ElidEEv20rocsparse_direction_T3_S2_PKS2_S4_NS_24const_host_device_scalarIT4_EEPKT2_S4_PKS6_SA_S4_SC_S7_SA_S4_SC_SA_PS2_PS6_PS8_21rocsparse_index_base_SG_SG_SG_bbb,comdat
.Lfunc_end203:
	.size	_ZN9rocsparseL31bsrgemm_block_per_row_multipassILj256ELj8ELj16ElidEEv20rocsparse_direction_T3_S2_PKS2_S4_NS_24const_host_device_scalarIT4_EEPKT2_S4_PKS6_SA_S4_SC_S7_SA_S4_SC_SA_PS2_PS6_PS8_21rocsparse_index_base_SG_SG_SG_bbb, .Lfunc_end203-_ZN9rocsparseL31bsrgemm_block_per_row_multipassILj256ELj8ELj16ElidEEv20rocsparse_direction_T3_S2_PKS2_S4_NS_24const_host_device_scalarIT4_EEPKT2_S4_PKS6_SA_S4_SC_S7_SA_S4_SC_SA_PS2_PS6_PS8_21rocsparse_index_base_SG_SG_SG_bbb
                                        ; -- End function
	.section	.AMDGPU.csdata,"",@progbits
; Kernel info:
; codeLenInByte = 4168
; NumSgprs: 68
; NumVgprs: 51
; ScratchSize: 0
; MemoryBound: 1
; FloatMode: 240
; IeeeMode: 1
; LDSByteSize: 16392 bytes/workgroup (compile time only)
; SGPRBlocks: 8
; VGPRBlocks: 6
; NumSGPRsForWavesPerEU: 68
; NumVGPRsForWavesPerEU: 51
; Occupancy: 14
; WaveLimiterHint : 1
; COMPUTE_PGM_RSRC2:SCRATCH_EN: 0
; COMPUTE_PGM_RSRC2:USER_SGPR: 15
; COMPUTE_PGM_RSRC2:TRAP_HANDLER: 0
; COMPUTE_PGM_RSRC2:TGID_X_EN: 1
; COMPUTE_PGM_RSRC2:TGID_Y_EN: 0
; COMPUTE_PGM_RSRC2:TGID_Z_EN: 0
; COMPUTE_PGM_RSRC2:TIDIG_COMP_CNT: 0
	.section	.text._ZN9rocsparseL31bsrgemm_block_per_row_multipassILj256ELj2ELj32ElidEEv20rocsparse_direction_T3_S2_PKS2_S4_NS_24const_host_device_scalarIT4_EEPKT2_S4_PKS6_SA_S4_SC_S7_SA_S4_SC_SA_PS2_PS6_PS8_21rocsparse_index_base_SG_SG_SG_bbb,"axG",@progbits,_ZN9rocsparseL31bsrgemm_block_per_row_multipassILj256ELj2ELj32ElidEEv20rocsparse_direction_T3_S2_PKS2_S4_NS_24const_host_device_scalarIT4_EEPKT2_S4_PKS6_SA_S4_SC_S7_SA_S4_SC_SA_PS2_PS6_PS8_21rocsparse_index_base_SG_SG_SG_bbb,comdat
	.globl	_ZN9rocsparseL31bsrgemm_block_per_row_multipassILj256ELj2ELj32ElidEEv20rocsparse_direction_T3_S2_PKS2_S4_NS_24const_host_device_scalarIT4_EEPKT2_S4_PKS6_SA_S4_SC_S7_SA_S4_SC_SA_PS2_PS6_PS8_21rocsparse_index_base_SG_SG_SG_bbb ; -- Begin function _ZN9rocsparseL31bsrgemm_block_per_row_multipassILj256ELj2ELj32ElidEEv20rocsparse_direction_T3_S2_PKS2_S4_NS_24const_host_device_scalarIT4_EEPKT2_S4_PKS6_SA_S4_SC_S7_SA_S4_SC_SA_PS2_PS6_PS8_21rocsparse_index_base_SG_SG_SG_bbb
	.p2align	8
	.type	_ZN9rocsparseL31bsrgemm_block_per_row_multipassILj256ELj2ELj32ElidEEv20rocsparse_direction_T3_S2_PKS2_S4_NS_24const_host_device_scalarIT4_EEPKT2_S4_PKS6_SA_S4_SC_S7_SA_S4_SC_SA_PS2_PS6_PS8_21rocsparse_index_base_SG_SG_SG_bbb,@function
_ZN9rocsparseL31bsrgemm_block_per_row_multipassILj256ELj2ELj32ElidEEv20rocsparse_direction_T3_S2_PKS2_S4_NS_24const_host_device_scalarIT4_EEPKT2_S4_PKS6_SA_S4_SC_S7_SA_S4_SC_SA_PS2_PS6_PS8_21rocsparse_index_base_SG_SG_SG_bbb: ; @_ZN9rocsparseL31bsrgemm_block_per_row_multipassILj256ELj2ELj32ElidEEv20rocsparse_direction_T3_S2_PKS2_S4_NS_24const_host_device_scalarIT4_EEPKT2_S4_PKS6_SA_S4_SC_S7_SA_S4_SC_SA_PS2_PS6_PS8_21rocsparse_index_base_SG_SG_SG_bbb
; %bb.0:
	s_clause 0x3
	s_load_b32 s3, s[0:1], 0xa8
	s_load_b64 s[6:7], s[0:1], 0x20
	s_load_b128 s[20:23], s[0:1], 0x98
	s_load_b64 s[4:5], s[0:1], 0x58
	s_mov_b32 s2, s15
	s_waitcnt lgkmcnt(0)
	s_and_b32 s9, 1, s3
	s_bitcmp1_b32 s3, 16
	s_cselect_b32 s8, -1, 0
	s_cmp_eq_u32 s9, 1
	s_cselect_b32 s48, -1, 0
	s_delay_alu instid0(SALU_CYCLE_1)
	s_and_b32 s9, s48, exec_lo
	s_cselect_b32 s11, s7, 0
	s_cselect_b32 s10, s6, 0
	s_xor_b32 s9, s48, -1
	v_dual_mov_b32 v1, s10 :: v_dual_mov_b32 v2, s11
	s_or_b32 s9, s9, s8
	s_delay_alu instid0(SALU_CYCLE_1)
	s_and_b32 vcc_lo, exec_lo, s9
	s_cbranch_vccnz .LBB204_2
; %bb.1:
	v_dual_mov_b32 v1, s6 :: v_dual_mov_b32 v2, s7
	flat_load_b64 v[1:2], v[1:2]
.LBB204_2:
	s_load_b64 s[6:7], s[0:1], 0x18
	s_bitcmp1_b32 s3, 8
	s_cselect_b32 s33, -1, 0
	s_delay_alu instid0(SALU_CYCLE_1)
	s_and_b32 s3, s33, exec_lo
	s_cselect_b32 s11, s5, 0
	s_cselect_b32 s10, s4, 0
	s_xor_b32 s3, s33, -1
	v_dual_mov_b32 v3, s10 :: v_dual_mov_b32 v4, s11
	s_or_b32 s3, s3, s8
	s_delay_alu instid0(SALU_CYCLE_1)
	s_and_b32 vcc_lo, exec_lo, s3
	s_cbranch_vccnz .LBB204_4
; %bb.3:
	v_dual_mov_b32 v3, s4 :: v_dual_mov_b32 v4, s5
	flat_load_b64 v[3:4], v[3:4]
.LBB204_4:
	s_load_b64 s[4:5], s[0:1], 0x28
	s_waitcnt lgkmcnt(0)
	s_cmp_eq_u64 s[6:7], 0
	s_mov_b64 s[34:35], 0
	s_cbranch_scc1 .LBB204_6
; %bb.5:
	s_load_b64 s[8:9], s[0:1], 0x10
	s_waitcnt lgkmcnt(0)
	s_load_b32 s3, s[8:9], 0x0
	s_waitcnt lgkmcnt(0)
	s_add_i32 s2, s3, s2
	s_mov_b32 s3, 0
	s_delay_alu instid0(SALU_CYCLE_1) | instskip(NEXT) | instid1(SALU_CYCLE_1)
	s_lshl_b64 s[2:3], s[2:3], 2
	s_add_u32 s2, s6, s2
	s_addc_u32 s3, s7, s3
	s_load_b32 s2, s[2:3], 0x0
.LBB204_6:
	s_and_not1_b32 vcc_lo, exec_lo, s48
	s_cbranch_vccz .LBB204_9
; %bb.7:
	s_and_not1_b32 vcc_lo, exec_lo, s48
	s_mov_b64 s[40:41], 0
	s_cbranch_vccz .LBB204_10
.LBB204_8:
	s_load_b128 s[24:27], s[0:1], 0x0
	s_waitcnt lgkmcnt(0)
	s_cmp_lt_i32 s25, 1
	s_cbranch_scc0 .LBB204_11
	s_branch .LBB204_127
.LBB204_9:
	s_waitcnt lgkmcnt(0)
	s_ashr_i32 s3, s2, 31
	s_delay_alu instid0(SALU_CYCLE_1) | instskip(NEXT) | instid1(SALU_CYCLE_1)
	s_lshl_b64 s[6:7], s[2:3], 3
	s_add_u32 s6, s4, s6
	s_addc_u32 s7, s5, s7
	s_load_b64 s[6:7], s[6:7], 0x0
	s_waitcnt lgkmcnt(0)
	s_sub_u32 s34, s6, s20
	s_subb_u32 s35, s7, 0
	s_and_not1_b32 vcc_lo, exec_lo, s48
	s_mov_b64 s[40:41], 0
	s_cbranch_vccnz .LBB204_8
.LBB204_10:
	s_waitcnt lgkmcnt(0)
	s_ashr_i32 s3, s2, 31
	s_delay_alu instid0(SALU_CYCLE_1) | instskip(NEXT) | instid1(SALU_CYCLE_1)
	s_lshl_b64 s[6:7], s[2:3], 3
	s_add_u32 s4, s4, s6
	s_addc_u32 s5, s5, s7
	s_load_b64 s[4:5], s[4:5], 0x8
	s_waitcnt lgkmcnt(0)
	s_sub_u32 s40, s4, s20
	s_subb_u32 s41, s5, 0
	s_load_b128 s[24:27], s[0:1], 0x0
	s_waitcnt lgkmcnt(0)
	s_cmp_lt_i32 s25, 1
	s_cbranch_scc1 .LBB204_127
.LBB204_11:
	s_clause 0x4
	s_load_b256 s[4:11], s[0:1], 0x60
	s_load_b64 s[42:43], s[0:1], 0x90
	s_load_b128 s[28:31], s[0:1], 0x80
	s_load_b64 s[36:37], s[0:1], 0x50
	s_load_b256 s[12:19], s[0:1], 0x30
	s_ashr_i32 s3, s2, 31
	v_lshrrev_b32_e32 v11, 3, v0
	s_lshl_b64 s[2:3], s[2:3], 3
	v_mov_b32_e32 v5, 0
	v_and_b32_e32 v49, 7, v0
	v_cmp_lt_i64_e64 s27, s[34:35], s[40:41]
	v_mul_lo_u32 v6, v11, s26
	v_lshlrev_b32_e32 v52, 5, v11
	v_mov_b32_e32 v10, v5
	v_mov_b32_e32 v7, v5
	v_mul_lo_u32 v9, v49, s26
	v_cmp_gt_i32_e32 vcc_lo, s26, v11
	v_or_b32_e32 v20, 16, v49
	v_or_b32_e32 v21, 24, v49
	v_lshlrev_b64 v[13:14], 3, v[6:7]
	s_waitcnt lgkmcnt(0)
	s_add_u32 s10, s10, s2
	s_addc_u32 s11, s11, s3
	v_lshlrev_b32_e32 v6, 3, v49
	s_load_b64 s[38:39], s[10:11], 0x0
	v_lshlrev_b64 v[7:8], 3, v[9:10]
	v_dual_mov_b32 v12, v5 :: v_dual_and_b32 v19, 0xf8, v0
	s_delay_alu instid0(VALU_DEP_3) | instskip(NEXT) | instid1(VALU_DEP_1)
	v_add_co_u32 v50, s1, v13, v6
	v_add_co_ci_u32_e64 v51, s1, 0, v14, s1
	s_delay_alu instid0(VALU_DEP_3) | instskip(NEXT) | instid1(VALU_DEP_1)
	v_add_co_u32 v23, s1, v19, v7
	v_add_co_ci_u32_e64 v24, s1, 0, v8, s1
	v_add_co_u32 v53, s46, s30, v19
	v_or_b32_e32 v10, 8, v49
	v_add_co_ci_u32_e64 v54, null, s31, 0, s46
	s_mul_i32 s44, s26, s26
	s_mov_b32 s45, 0
	s_mov_b32 s10, s23
	s_waitcnt lgkmcnt(0)
	s_sub_u32 s38, s38, s22
	s_subb_u32 s39, s39, 0
	s_cmp_eq_u32 s24, 0
	s_mov_b32 s11, s45
	s_cselect_b32 s1, -1, 0
	s_cmp_lg_u32 s24, 0
	v_cmp_gt_u32_e64 s0, 2, v0
	s_cselect_b32 s24, -1, 0
	s_cmp_gt_i32 s26, 0
	v_lshlrev_b32_e32 v61, 3, v0
	s_cselect_b32 s53, -1, 0
	s_add_u32 s46, s4, s2
	v_add_co_u32 v55, s2, s30, v13
	s_delay_alu instid0(VALU_DEP_1)
	v_add_co_ci_u32_e64 v56, s2, s31, v14, s2
	s_addc_u32 s47, s5, s3
	v_cmp_gt_u32_e64 s2, s26, v49
	v_cmp_gt_u32_e64 s3, s26, v10
	s_and_b32 s54, s48, s27
	s_lshl_b32 s4, s26, 3
	s_mul_i32 s5, s35, s44
	s_and_b32 s55, vcc_lo, s2
	v_cmp_gt_u32_e64 s2, s26, v20
	s_and_b32 s56, vcc_lo, s3
	v_cmp_gt_u32_e64 s3, s26, v21
	s_mul_hi_u32 s27, s34, s44
	v_dual_mov_b32 v16, v5 :: v_dual_add_nc_u32 v11, s4, v9
	s_and_b32 s57, vcc_lo, s2
	s_delay_alu instid0(VALU_DEP_2)
	s_and_b32 s58, vcc_lo, s3
	s_add_u32 s59, s16, 8
	s_addc_u32 s60, s17, 0
	s_add_u32 s61, s28, -4
	v_or_b32_e32 v9, v52, v49
	s_addc_u32 s62, s29, -1
	s_add_i32 s31, s27, s5
	s_mul_i32 s30, s34, s44
	v_or_b32_e32 v10, v52, v10
	s_lshl_b64 s[48:49], s[30:31], 3
	s_lshl_b64 s[30:31], s[44:45], 3
	s_add_u32 s5, s14, s48
	s_addc_u32 s48, s15, s49
	s_mov_b32 s49, s45
	v_lshlrev_b32_e32 v57, 3, v9
	v_or_b32_e32 v9, 0x400, v0
	v_dual_mov_b32 v18, v5 :: v_dual_add_nc_u32 v15, s4, v11
	v_add_co_u32 v62, vcc_lo, s36, v7
	v_lshlrev_b64 v[11:12], 3, v[11:12]
	s_delay_alu instid0(VALU_DEP_4)
	v_cmp_gt_u32_e64 s2, 0x700, v9
	v_add_co_ci_u32_e32 v63, vcc_lo, s37, v8, vcc_lo
	s_mov_b32 s27, s45
	v_add_co_u32 v9, s14, s5, v19
	v_add_co_u32 v13, vcc_lo, s5, v13
	v_lshlrev_b32_e32 v58, 3, v10
	v_add_co_ci_u32_e64 v10, null, s48, 0, s14
	s_lshl_b64 s[14:15], s[26:27], 3
	v_add_co_u32 v64, s27, s36, v6
	v_add_co_ci_u32_e32 v14, vcc_lo, s48, v14, vcc_lo
	v_add_nc_u32_e32 v17, s4, v15
	v_or_b32_e32 v21, v52, v21
	v_add_co_ci_u32_e64 v65, null, s37, 0, s27
	v_add_co_u32 v66, vcc_lo, s36, v11
	v_lshlrev_b64 v[15:16], 3, v[15:16]
	v_add_co_ci_u32_e32 v67, vcc_lo, s37, v12, vcc_lo
	v_add_co_u32 v68, vcc_lo, v64, 64
	v_add_co_ci_u32_e32 v69, vcc_lo, 0, v65, vcc_lo
	s_mov_b32 s48, s45
	v_dual_mov_b32 v21, s38 :: v_dual_lshlrev_b32 v60, 3, v21
	v_add_co_u32 v70, vcc_lo, s36, v15
	v_mov_b32_e32 v22, s39
	v_lshlrev_b64 v[17:18], 3, v[17:18]
	v_add_co_ci_u32_e32 v71, vcc_lo, s37, v16, vcc_lo
	v_add_co_u32 v72, vcc_lo, 0x80, v64
	v_add_co_ci_u32_e32 v73, vcc_lo, 0, v65, vcc_lo
	s_delay_alu instid0(VALU_DEP_4)
	v_add_co_u32 v74, vcc_lo, s36, v17
	v_add_co_ci_u32_e32 v75, vcc_lo, s37, v18, vcc_lo
	v_add_co_u32 v76, vcc_lo, 0xc0, v64
	v_add_co_ci_u32_e32 v77, vcc_lo, 0, v65, vcc_lo
	v_add_co_u32 v78, vcc_lo, v19, v11
	v_or_b32_e32 v20, v52, v20
	v_add_co_ci_u32_e32 v79, vcc_lo, 0, v12, vcc_lo
	v_add_co_u32 v80, vcc_lo, v19, v15
	v_add_co_ci_u32_e32 v81, vcc_lo, 0, v16, vcc_lo
	s_lshl_b64 s[36:37], s[10:11], 2
	v_add_co_u32 v82, vcc_lo, v19, v17
	v_dual_mov_b32 v84, 1 :: v_dual_lshlrev_b32 v59, 3, v20
	v_mov_b32_e32 v19, s48
	v_cmp_gt_u32_e64 s3, 0x200, v0
	v_cmp_gt_u32_e64 s4, 0x100, v0
	s_sub_u32 s11, s6, s36
	v_add_co_ci_u32_e32 v83, vcc_lo, 0, v18, vcc_lo
	v_mov_b32_e32 v20, s49
	v_cndmask_b32_e64 v85, v24, v51, s1
	v_cndmask_b32_e64 v86, v23, v50, s1
	s_subb_u32 s27, s7, s37
	s_sub_u32 s63, 1, s23
	s_mov_b32 s65, 2
	s_mov_b32 s52, s21
	s_subb_u32 s64, 0, 0
	s_branch .LBB204_14
.LBB204_12:                             ;   in Loop: Header=BB204_14 Depth=1
	s_or_b32 exec_lo, exec_lo, s6
.LBB204_13:                             ;   in Loop: Header=BB204_14 Depth=1
	s_min_i32 s45, s5, s25
	s_waitcnt lgkmcnt(0)
	v_dual_mov_b32 v21, v23 :: v_dual_mov_b32 v22, v24
	s_add_i32 s65, s45, 2
	s_cmp_lt_i32 s5, s25
	s_waitcnt_vscnt null, 0x0
	s_barrier
	buffer_gl0_inv
	s_barrier
	buffer_gl0_inv
	s_cbranch_scc0 .LBB204_127
.LBB204_14:                             ; =>This Loop Header: Depth=1
                                        ;     Child Loop BB204_24 Depth 2
                                        ;       Child Loop BB204_29 Depth 3
                                        ;         Child Loop BB204_41 Depth 4
                                        ;         Child Loop BB204_46 Depth 4
	;; [unrolled: 1-line block ×8, first 2 shown]
                                        ;     Child Loop BB204_88 Depth 2
	s_and_saveexec_b32 s5, s0
	s_cbranch_execz .LBB204_16
; %bb.15:                               ;   in Loop: Header=BB204_14 Depth=1
	ds_store_b8 v0, v5 offset:16384
.LBB204_16:                             ;   in Loop: Header=BB204_14 Depth=1
	s_or_b32 exec_lo, exec_lo, s5
	ds_store_2addr_stride64_b64 v61, v[19:20], v[19:20] offset1:4
	ds_store_2addr_stride64_b64 v61, v[19:20], v[19:20] offset0:8 offset1:12
	ds_store_b64 v61, v[19:20] offset:8192
	s_and_saveexec_b32 s5, s2
	s_delay_alu instid0(SALU_CYCLE_1)
	s_xor_b32 s5, exec_lo, s5
	s_cbranch_execz .LBB204_22
; %bb.17:                               ;   in Loop: Header=BB204_14 Depth=1
	v_mov_b32_e32 v6, v5
	ds_store_b64 v61, v[5:6] offset:10240
	s_and_saveexec_b32 s6, s3
	s_delay_alu instid0(SALU_CYCLE_1)
	s_xor_b32 s6, exec_lo, s6
	s_cbranch_execz .LBB204_21
; %bb.18:                               ;   in Loop: Header=BB204_14 Depth=1
	ds_store_b64 v61, v[5:6] offset:12288
	s_and_saveexec_b32 s7, s4
	s_delay_alu instid0(SALU_CYCLE_1)
	s_xor_b32 s7, exec_lo, s7
	s_cbranch_execz .LBB204_20
; %bb.19:                               ;   in Loop: Header=BB204_14 Depth=1
	v_mov_b32_e32 v6, v5
	ds_store_b64 v61, v[5:6] offset:14336
.LBB204_20:                             ;   in Loop: Header=BB204_14 Depth=1
	s_or_b32 exec_lo, exec_lo, s7
.LBB204_21:                             ;   in Loop: Header=BB204_14 Depth=1
	s_delay_alu instid0(SALU_CYCLE_1)
	s_or_b32 exec_lo, exec_lo, s6
.LBB204_22:                             ;   in Loop: Header=BB204_14 Depth=1
	s_delay_alu instid0(SALU_CYCLE_1) | instskip(NEXT) | instid1(SALU_CYCLE_1)
	s_or_b32 exec_lo, exec_lo, s5
	s_and_not1_b32 vcc_lo, exec_lo, s54
	s_mov_b32 s5, s25
	s_waitcnt vmcnt(0) lgkmcnt(0)
	s_barrier
	buffer_gl0_inv
	s_cbranch_vccnz .LBB204_85
; %bb.23:                               ;   in Loop: Header=BB204_14 Depth=1
	v_dual_mov_b32 v24, v14 :: v_dual_mov_b32 v23, v13
	v_dual_mov_b32 v26, v10 :: v_dual_mov_b32 v25, v9
	s_cmp_lg_u32 s45, 0
	s_mov_b32 s67, s25
	s_cselect_b32 s66, -1, 0
	s_mov_b64 s[6:7], s[34:35]
.LBB204_24:                             ;   Parent Loop BB204_14 Depth=1
                                        ; =>  This Loop Header: Depth=2
                                        ;       Child Loop BB204_29 Depth 3
                                        ;         Child Loop BB204_41 Depth 4
                                        ;         Child Loop BB204_46 Depth 4
	;; [unrolled: 1-line block ×8, first 2 shown]
	s_delay_alu instid0(SALU_CYCLE_1) | instskip(NEXT) | instid1(SALU_CYCLE_1)
	s_lshl_b64 s[36:37], s[6:7], 2
	s_add_u32 s36, s12, s36
	s_addc_u32 s37, s13, s37
	s_and_b32 vcc_lo, exec_lo, s66
	s_load_b32 s5, s[36:37], 0x0
	s_waitcnt lgkmcnt(0)
	s_sub_i32 s38, s5, s20
	s_cbranch_vccz .LBB204_84
; %bb.25:                               ;   in Loop: Header=BB204_24 Depth=2
	s_lshl_b64 s[36:37], s[6:7], 3
	s_delay_alu instid0(SALU_CYCLE_1)
	s_add_u32 s36, s42, s36
	s_addc_u32 s37, s43, s37
	s_ashr_i32 s39, s38, 31
	global_load_b64 v[27:28], v5, s[36:37]
	s_waitcnt vmcnt(0)
	v_readfirstlane_b32 s36, v27
	v_readfirstlane_b32 s37, v28
	s_cbranch_execnz .LBB204_27
.LBB204_26:                             ;   in Loop: Header=BB204_24 Depth=2
	s_ashr_i32 s39, s38, 31
	s_delay_alu instid0(SALU_CYCLE_1) | instskip(NEXT) | instid1(SALU_CYCLE_1)
	s_lshl_b64 s[36:37], s[38:39], 3
	s_add_u32 s36, s16, s36
	s_addc_u32 s37, s17, s37
	s_load_b64 s[36:37], s[36:37], 0x0
	s_waitcnt lgkmcnt(0)
	s_sub_u32 s36, s36, s52
	s_subb_u32 s37, s37, 0
.LBB204_27:                             ;   in Loop: Header=BB204_24 Depth=2
	s_lshl_b64 s[38:39], s[38:39], 3
	s_delay_alu instid0(SALU_CYCLE_1)
	s_add_u32 s38, s59, s38
	s_addc_u32 s39, s60, s39
	s_load_b64 s[38:39], s[38:39], 0x0
	s_waitcnt lgkmcnt(0)
	s_sub_u32 s38, s38, s52
	s_subb_u32 s39, s39, 0
	s_delay_alu instid0(SALU_CYCLE_1) | instskip(NEXT) | instid1(VALU_DEP_1)
	v_cmp_ge_i64_e64 s5, s[36:37], s[38:39]
	s_and_b32 vcc_lo, exec_lo, s5
	s_cbranch_vccnz .LBB204_81
; %bb.28:                               ;   in Loop: Header=BB204_24 Depth=2
	s_mul_i32 s5, s30, s37
	s_mul_hi_u32 s48, s30, s36
	s_mul_i32 s49, s31, s36
	s_add_i32 s5, s48, s5
	s_mul_i32 s48, s30, s36
	s_add_i32 s5, s5, s49
	v_add_co_u32 v27, vcc_lo, v62, s48
	v_add_co_ci_u32_e32 v28, vcc_lo, s5, v63, vcc_lo
	v_add_co_u32 v29, vcc_lo, v64, s48
	v_add_co_ci_u32_e32 v30, vcc_lo, s5, v65, vcc_lo
	;; [unrolled: 2-line block ×8, first 2 shown]
	s_mov_b64 s[48:49], s[36:37]
.LBB204_29:                             ;   Parent Loop BB204_14 Depth=1
                                        ;     Parent Loop BB204_24 Depth=2
                                        ; =>    This Loop Header: Depth=3
                                        ;         Child Loop BB204_41 Depth 4
                                        ;         Child Loop BB204_46 Depth 4
                                        ;         Child Loop BB204_51 Depth 4
                                        ;         Child Loop BB204_56 Depth 4
                                        ;         Child Loop BB204_61 Depth 4
                                        ;         Child Loop BB204_66 Depth 4
                                        ;         Child Loop BB204_71 Depth 4
                                        ;         Child Loop BB204_76 Depth 4
	s_lshl_b64 s[50:51], s[36:37], 2
	s_mov_b32 s70, -1
	s_add_u32 s50, s18, s50
	s_addc_u32 s51, s19, s51
                                        ; implicit-def: $sgpr68
	s_load_b32 s5, s[50:51], 0x0
                                        ; implicit-def: $sgpr50_sgpr51
	s_waitcnt lgkmcnt(0)
	s_sub_i32 s69, s5, s21
	s_delay_alu instid0(SALU_CYCLE_1) | instskip(SKIP_3) | instid1(SALU_CYCLE_1)
	s_cmp_lt_i32 s69, s45
	s_cselect_b32 s5, -1, 0
	s_cmp_ge_i32 s69, s65
	s_cselect_b32 s71, -1, 0
	s_or_b32 s5, s5, s71
	s_delay_alu instid0(SALU_CYCLE_1)
	s_and_b32 vcc_lo, exec_lo, s5
                                        ; implicit-def: $sgpr5
	s_cbranch_vccz .LBB204_33
; %bb.30:                               ;   in Loop: Header=BB204_29 Depth=3
	s_mov_b32 s68, -1
	s_and_not1_b32 vcc_lo, exec_lo, s71
	s_mov_b64 s[50:51], s[48:49]
	s_mov_b32 s5, s67
	s_cbranch_vccnz .LBB204_32
; %bb.31:                               ;   in Loop: Header=BB204_29 Depth=3
	s_min_i32 s5, s69, s67
	s_mov_b32 s68, 0
	s_mov_b64 s[50:51], s[36:37]
.LBB204_32:                             ;   in Loop: Header=BB204_29 Depth=3
	s_mov_b32 s70, 0
.LBB204_33:                             ;   in Loop: Header=BB204_29 Depth=3
	s_delay_alu instid0(SALU_CYCLE_1)
	s_and_not1_b32 vcc_lo, exec_lo, s70
	s_cbranch_vccnz .LBB204_79
; %bb.34:                               ;   in Loop: Header=BB204_29 Depth=3
	s_sub_i32 s5, s69, s45
	s_delay_alu instid0(SALU_CYCLE_1)
	v_mov_b32_e32 v43, s5
	v_lshl_or_b32 v6, s5, 10, v52
	ds_store_b8 v43, v84 offset:16384
	s_and_saveexec_b32 s5, s55
	s_cbranch_execnz .LBB204_38
; %bb.35:                               ;   in Loop: Header=BB204_29 Depth=3
	s_or_b32 exec_lo, exec_lo, s5
	s_and_saveexec_b32 s5, s56
	s_cbranch_execnz .LBB204_48
.LBB204_36:                             ;   in Loop: Header=BB204_29 Depth=3
	s_or_b32 exec_lo, exec_lo, s5
	s_and_saveexec_b32 s5, s57
	s_cbranch_execnz .LBB204_58
.LBB204_37:                             ;   in Loop: Header=BB204_29 Depth=3
	s_or_b32 exec_lo, exec_lo, s5
	s_and_saveexec_b32 s50, s58
	s_cbranch_execnz .LBB204_68
	s_branch .LBB204_78
.LBB204_38:                             ;   in Loop: Header=BB204_29 Depth=3
	s_and_not1_b32 vcc_lo, exec_lo, s24
	s_cbranch_vccnz .LBB204_43
; %bb.39:                               ;   in Loop: Header=BB204_29 Depth=3
	v_mov_b32_e32 v43, 0
	v_mov_b32_e32 v44, 0
	s_and_not1_b32 vcc_lo, exec_lo, s53
	s_cbranch_vccnz .LBB204_42
; %bb.40:                               ;   in Loop: Header=BB204_29 Depth=3
	v_dual_mov_b32 v46, v26 :: v_dual_mov_b32 v45, v25
	v_dual_mov_b32 v48, v28 :: v_dual_mov_b32 v47, v27
	s_mov_b32 s50, s26
.LBB204_41:                             ;   Parent Loop BB204_14 Depth=1
                                        ;     Parent Loop BB204_24 Depth=2
                                        ;       Parent Loop BB204_29 Depth=3
                                        ; =>      This Inner Loop Header: Depth=4
	global_load_b64 v[87:88], v[45:46], off
	global_load_b64 v[89:90], v[47:48], off
	v_add_co_u32 v47, vcc_lo, v47, 8
	v_add_co_ci_u32_e32 v48, vcc_lo, 0, v48, vcc_lo
	v_add_co_u32 v45, vcc_lo, v45, s14
	v_add_co_ci_u32_e32 v46, vcc_lo, s15, v46, vcc_lo
	s_add_i32 s50, s50, -1
	s_delay_alu instid0(SALU_CYCLE_1)
	s_cmp_lg_u32 s50, 0
	s_waitcnt vmcnt(0)
	v_fma_f64 v[43:44], v[87:88], v[89:90], v[43:44]
	s_cbranch_scc1 .LBB204_41
.LBB204_42:                             ;   in Loop: Header=BB204_29 Depth=3
	s_cbranch_execz .LBB204_44
	s_branch .LBB204_47
.LBB204_43:                             ;   in Loop: Header=BB204_29 Depth=3
                                        ; implicit-def: $vgpr43_vgpr44
.LBB204_44:                             ;   in Loop: Header=BB204_29 Depth=3
	v_mov_b32_e32 v43, 0
	v_mov_b32_e32 v44, 0
	s_and_not1_b32 vcc_lo, exec_lo, s53
	s_cbranch_vccnz .LBB204_47
; %bb.45:                               ;   in Loop: Header=BB204_29 Depth=3
	v_dual_mov_b32 v46, v24 :: v_dual_mov_b32 v45, v23
	v_dual_mov_b32 v48, v30 :: v_dual_mov_b32 v47, v29
	s_mov_b32 s50, s26
.LBB204_46:                             ;   Parent Loop BB204_14 Depth=1
                                        ;     Parent Loop BB204_24 Depth=2
                                        ;       Parent Loop BB204_29 Depth=3
                                        ; =>      This Inner Loop Header: Depth=4
	global_load_b64 v[87:88], v[45:46], off
	global_load_b64 v[89:90], v[47:48], off
	v_add_co_u32 v47, vcc_lo, v47, s14
	v_add_co_ci_u32_e32 v48, vcc_lo, s15, v48, vcc_lo
	v_add_co_u32 v45, vcc_lo, v45, 8
	v_add_co_ci_u32_e32 v46, vcc_lo, 0, v46, vcc_lo
	s_add_i32 s50, s50, -1
	s_delay_alu instid0(SALU_CYCLE_1)
	s_cmp_eq_u32 s50, 0
	s_waitcnt vmcnt(0)
	v_fma_f64 v[43:44], v[87:88], v[89:90], v[43:44]
	s_cbranch_scc0 .LBB204_46
.LBB204_47:                             ;   in Loop: Header=BB204_29 Depth=3
	v_or_b32_e32 v45, v6, v49
	s_delay_alu instid0(VALU_DEP_1)
	v_lshlrev_b32_e32 v47, 3, v45
	ds_load_b64 v[45:46], v47
	s_waitcnt lgkmcnt(0)
	v_fma_f64 v[43:44], v[1:2], v[43:44], v[45:46]
	ds_store_b64 v47, v[43:44]
	s_or_b32 exec_lo, exec_lo, s5
	s_and_saveexec_b32 s5, s56
	s_cbranch_execz .LBB204_36
.LBB204_48:                             ;   in Loop: Header=BB204_29 Depth=3
	s_and_not1_b32 vcc_lo, exec_lo, s24
	s_cbranch_vccnz .LBB204_53
; %bb.49:                               ;   in Loop: Header=BB204_29 Depth=3
	v_mov_b32_e32 v43, 0
	v_mov_b32_e32 v44, 0
	s_and_not1_b32 vcc_lo, exec_lo, s53
	s_cbranch_vccnz .LBB204_52
; %bb.50:                               ;   in Loop: Header=BB204_29 Depth=3
	v_dual_mov_b32 v46, v26 :: v_dual_mov_b32 v45, v25
	v_dual_mov_b32 v48, v32 :: v_dual_mov_b32 v47, v31
	s_mov_b32 s50, s26
.LBB204_51:                             ;   Parent Loop BB204_14 Depth=1
                                        ;     Parent Loop BB204_24 Depth=2
                                        ;       Parent Loop BB204_29 Depth=3
                                        ; =>      This Inner Loop Header: Depth=4
	global_load_b64 v[87:88], v[45:46], off
	global_load_b64 v[89:90], v[47:48], off
	v_add_co_u32 v47, vcc_lo, v47, 8
	v_add_co_ci_u32_e32 v48, vcc_lo, 0, v48, vcc_lo
	v_add_co_u32 v45, vcc_lo, v45, s14
	v_add_co_ci_u32_e32 v46, vcc_lo, s15, v46, vcc_lo
	s_add_i32 s50, s50, -1
	s_delay_alu instid0(SALU_CYCLE_1)
	s_cmp_eq_u32 s50, 0
	s_waitcnt vmcnt(0)
	v_fma_f64 v[43:44], v[87:88], v[89:90], v[43:44]
	s_cbranch_scc0 .LBB204_51
.LBB204_52:                             ;   in Loop: Header=BB204_29 Depth=3
	s_cbranch_execz .LBB204_54
	s_branch .LBB204_57
.LBB204_53:                             ;   in Loop: Header=BB204_29 Depth=3
                                        ; implicit-def: $vgpr43_vgpr44
.LBB204_54:                             ;   in Loop: Header=BB204_29 Depth=3
	v_mov_b32_e32 v43, 0
	v_mov_b32_e32 v44, 0
	s_and_not1_b32 vcc_lo, exec_lo, s53
	s_cbranch_vccnz .LBB204_57
; %bb.55:                               ;   in Loop: Header=BB204_29 Depth=3
	v_dual_mov_b32 v46, v24 :: v_dual_mov_b32 v45, v23
	v_dual_mov_b32 v48, v34 :: v_dual_mov_b32 v47, v33
	s_mov_b32 s50, s26
.LBB204_56:                             ;   Parent Loop BB204_14 Depth=1
                                        ;     Parent Loop BB204_24 Depth=2
                                        ;       Parent Loop BB204_29 Depth=3
                                        ; =>      This Inner Loop Header: Depth=4
	global_load_b64 v[87:88], v[45:46], off
	global_load_b64 v[89:90], v[47:48], off
	v_add_co_u32 v47, vcc_lo, v47, s14
	v_add_co_ci_u32_e32 v48, vcc_lo, s15, v48, vcc_lo
	v_add_co_u32 v45, vcc_lo, v45, 8
	v_add_co_ci_u32_e32 v46, vcc_lo, 0, v46, vcc_lo
	s_add_i32 s50, s50, -1
	s_delay_alu instid0(SALU_CYCLE_1)
	s_cmp_eq_u32 s50, 0
	s_waitcnt vmcnt(0)
	v_fma_f64 v[43:44], v[87:88], v[89:90], v[43:44]
	s_cbranch_scc0 .LBB204_56
.LBB204_57:                             ;   in Loop: Header=BB204_29 Depth=3
	v_add_lshl_u32 v47, v6, v49, 3
	ds_load_b64 v[45:46], v47 offset:64
	s_waitcnt lgkmcnt(0)
	v_fma_f64 v[43:44], v[1:2], v[43:44], v[45:46]
	ds_store_b64 v47, v[43:44] offset:64
	s_or_b32 exec_lo, exec_lo, s5
	s_and_saveexec_b32 s5, s57
	s_cbranch_execz .LBB204_37
.LBB204_58:                             ;   in Loop: Header=BB204_29 Depth=3
	s_and_not1_b32 vcc_lo, exec_lo, s24
	s_cbranch_vccnz .LBB204_63
; %bb.59:                               ;   in Loop: Header=BB204_29 Depth=3
	v_mov_b32_e32 v43, 0
	v_mov_b32_e32 v44, 0
	s_and_not1_b32 vcc_lo, exec_lo, s53
	s_cbranch_vccnz .LBB204_62
; %bb.60:                               ;   in Loop: Header=BB204_29 Depth=3
	v_dual_mov_b32 v46, v26 :: v_dual_mov_b32 v45, v25
	v_dual_mov_b32 v48, v36 :: v_dual_mov_b32 v47, v35
	s_mov_b32 s50, s26
.LBB204_61:                             ;   Parent Loop BB204_14 Depth=1
                                        ;     Parent Loop BB204_24 Depth=2
                                        ;       Parent Loop BB204_29 Depth=3
                                        ; =>      This Inner Loop Header: Depth=4
	global_load_b64 v[87:88], v[45:46], off
	global_load_b64 v[89:90], v[47:48], off
	v_add_co_u32 v47, vcc_lo, v47, 8
	v_add_co_ci_u32_e32 v48, vcc_lo, 0, v48, vcc_lo
	v_add_co_u32 v45, vcc_lo, v45, s14
	v_add_co_ci_u32_e32 v46, vcc_lo, s15, v46, vcc_lo
	s_add_i32 s50, s50, -1
	s_delay_alu instid0(SALU_CYCLE_1)
	s_cmp_eq_u32 s50, 0
	s_waitcnt vmcnt(0)
	v_fma_f64 v[43:44], v[87:88], v[89:90], v[43:44]
	s_cbranch_scc0 .LBB204_61
.LBB204_62:                             ;   in Loop: Header=BB204_29 Depth=3
	s_cbranch_execz .LBB204_64
	s_branch .LBB204_67
.LBB204_63:                             ;   in Loop: Header=BB204_29 Depth=3
                                        ; implicit-def: $vgpr43_vgpr44
.LBB204_64:                             ;   in Loop: Header=BB204_29 Depth=3
	v_mov_b32_e32 v43, 0
	v_mov_b32_e32 v44, 0
	s_and_not1_b32 vcc_lo, exec_lo, s53
	s_cbranch_vccnz .LBB204_67
; %bb.65:                               ;   in Loop: Header=BB204_29 Depth=3
	v_dual_mov_b32 v46, v24 :: v_dual_mov_b32 v45, v23
	v_dual_mov_b32 v48, v38 :: v_dual_mov_b32 v47, v37
	s_mov_b32 s50, s26
.LBB204_66:                             ;   Parent Loop BB204_14 Depth=1
                                        ;     Parent Loop BB204_24 Depth=2
                                        ;       Parent Loop BB204_29 Depth=3
                                        ; =>      This Inner Loop Header: Depth=4
	global_load_b64 v[87:88], v[45:46], off
	global_load_b64 v[89:90], v[47:48], off
	v_add_co_u32 v47, vcc_lo, v47, s14
	v_add_co_ci_u32_e32 v48, vcc_lo, s15, v48, vcc_lo
	v_add_co_u32 v45, vcc_lo, v45, 8
	v_add_co_ci_u32_e32 v46, vcc_lo, 0, v46, vcc_lo
	s_add_i32 s50, s50, -1
	s_delay_alu instid0(SALU_CYCLE_1)
	s_cmp_eq_u32 s50, 0
	s_waitcnt vmcnt(0)
	v_fma_f64 v[43:44], v[87:88], v[89:90], v[43:44]
	s_cbranch_scc0 .LBB204_66
.LBB204_67:                             ;   in Loop: Header=BB204_29 Depth=3
	v_add_lshl_u32 v47, v6, v49, 3
	ds_load_b64 v[45:46], v47 offset:128
	s_waitcnt lgkmcnt(0)
	v_fma_f64 v[43:44], v[1:2], v[43:44], v[45:46]
	ds_store_b64 v47, v[43:44] offset:128
	s_or_b32 exec_lo, exec_lo, s5
	s_and_saveexec_b32 s50, s58
	s_cbranch_execz .LBB204_78
.LBB204_68:                             ;   in Loop: Header=BB204_29 Depth=3
	v_cndmask_b32_e64 v43, 0, 1, s53
	s_and_not1_b32 vcc_lo, exec_lo, s24
	s_delay_alu instid0(VALU_DEP_1)
	v_cmp_ne_u32_e64 s5, 1, v43
	s_cbranch_vccnz .LBB204_73
; %bb.69:                               ;   in Loop: Header=BB204_29 Depth=3
	v_mov_b32_e32 v43, 0
	v_mov_b32_e32 v44, 0
	s_delay_alu instid0(VALU_DEP_3)
	s_and_b32 vcc_lo, exec_lo, s5
	s_cbranch_vccnz .LBB204_72
; %bb.70:                               ;   in Loop: Header=BB204_29 Depth=3
	v_dual_mov_b32 v46, v26 :: v_dual_mov_b32 v45, v25
	v_dual_mov_b32 v48, v40 :: v_dual_mov_b32 v47, v39
	s_mov_b32 s5, s26
.LBB204_71:                             ;   Parent Loop BB204_14 Depth=1
                                        ;     Parent Loop BB204_24 Depth=2
                                        ;       Parent Loop BB204_29 Depth=3
                                        ; =>      This Inner Loop Header: Depth=4
	global_load_b64 v[87:88], v[45:46], off
	global_load_b64 v[89:90], v[47:48], off
	v_add_co_u32 v47, vcc_lo, v47, 8
	v_add_co_ci_u32_e32 v48, vcc_lo, 0, v48, vcc_lo
	v_add_co_u32 v45, vcc_lo, v45, s14
	v_add_co_ci_u32_e32 v46, vcc_lo, s15, v46, vcc_lo
	s_add_i32 s5, s5, -1
	s_delay_alu instid0(SALU_CYCLE_1)
	s_cmp_eq_u32 s5, 0
	s_waitcnt vmcnt(0)
	v_fma_f64 v[43:44], v[87:88], v[89:90], v[43:44]
	s_cbranch_scc0 .LBB204_71
.LBB204_72:                             ;   in Loop: Header=BB204_29 Depth=3
	s_cbranch_execz .LBB204_74
	s_branch .LBB204_77
.LBB204_73:                             ;   in Loop: Header=BB204_29 Depth=3
                                        ; implicit-def: $vgpr43_vgpr44
.LBB204_74:                             ;   in Loop: Header=BB204_29 Depth=3
	v_mov_b32_e32 v43, 0
	v_mov_b32_e32 v44, 0
	s_and_not1_b32 vcc_lo, exec_lo, s53
	s_cbranch_vccnz .LBB204_77
; %bb.75:                               ;   in Loop: Header=BB204_29 Depth=3
	v_dual_mov_b32 v46, v24 :: v_dual_mov_b32 v45, v23
	v_dual_mov_b32 v48, v42 :: v_dual_mov_b32 v47, v41
	s_mov_b32 s5, s26
.LBB204_76:                             ;   Parent Loop BB204_14 Depth=1
                                        ;     Parent Loop BB204_24 Depth=2
                                        ;       Parent Loop BB204_29 Depth=3
                                        ; =>      This Inner Loop Header: Depth=4
	global_load_b64 v[87:88], v[45:46], off
	global_load_b64 v[89:90], v[47:48], off
	v_add_co_u32 v47, vcc_lo, v47, s14
	v_add_co_ci_u32_e32 v48, vcc_lo, s15, v48, vcc_lo
	v_add_co_u32 v45, vcc_lo, v45, 8
	v_add_co_ci_u32_e32 v46, vcc_lo, 0, v46, vcc_lo
	s_add_i32 s5, s5, -1
	s_delay_alu instid0(SALU_CYCLE_1)
	s_cmp_eq_u32 s5, 0
	s_waitcnt vmcnt(0)
	v_fma_f64 v[43:44], v[87:88], v[89:90], v[43:44]
	s_cbranch_scc0 .LBB204_76
.LBB204_77:                             ;   in Loop: Header=BB204_29 Depth=3
	v_add_lshl_u32 v6, v6, v49, 3
	ds_load_b64 v[45:46], v6 offset:192
	s_waitcnt lgkmcnt(0)
	v_fma_f64 v[43:44], v[1:2], v[43:44], v[45:46]
	ds_store_b64 v6, v[43:44] offset:192
.LBB204_78:                             ;   in Loop: Header=BB204_29 Depth=3
	s_or_b32 exec_lo, exec_lo, s50
	s_mov_b32 s68, -1
	s_mov_b64 s[50:51], s[48:49]
	s_mov_b32 s5, s67
	s_waitcnt lgkmcnt(0)
	s_waitcnt_vscnt null, 0x0
	s_barrier
	buffer_gl0_inv
.LBB204_79:                             ;   in Loop: Header=BB204_29 Depth=3
	v_add_co_u32 v27, vcc_lo, v27, s30
	v_add_co_ci_u32_e32 v28, vcc_lo, s31, v28, vcc_lo
	v_add_co_u32 v29, vcc_lo, v29, s30
	v_add_co_ci_u32_e32 v30, vcc_lo, s31, v30, vcc_lo
	;; [unrolled: 2-line block ×5, first 2 shown]
	s_add_u32 s36, s36, 1
	v_add_co_u32 v37, vcc_lo, v37, s30
	s_addc_u32 s37, s37, 0
	v_add_co_ci_u32_e32 v38, vcc_lo, s31, v38, vcc_lo
	v_cmp_lt_i64_e64 s48, s[36:37], s[38:39]
	v_add_co_u32 v39, vcc_lo, v39, s30
	v_add_co_ci_u32_e32 v40, vcc_lo, s31, v40, vcc_lo
	v_add_co_u32 v41, vcc_lo, v41, s30
	v_add_co_ci_u32_e32 v42, vcc_lo, s31, v42, vcc_lo
	s_and_b32 s48, s68, s48
	s_delay_alu instid0(SALU_CYCLE_1)
	s_and_b32 vcc_lo, exec_lo, s48
	s_cbranch_vccz .LBB204_82
; %bb.80:                               ;   in Loop: Header=BB204_29 Depth=3
	s_mov_b64 s[48:49], s[50:51]
	s_mov_b32 s67, s5
	s_branch .LBB204_29
.LBB204_81:                             ;   in Loop: Header=BB204_24 Depth=2
	s_mov_b64 s[50:51], s[36:37]
	s_mov_b32 s5, s67
.LBB204_82:                             ;   in Loop: Header=BB204_24 Depth=2
	s_lshl_b64 s[36:37], s[6:7], 3
	v_add_co_u32 v25, vcc_lo, v25, s30
	s_add_u32 s36, s42, s36
	s_addc_u32 s37, s43, s37
	s_add_u32 s6, s6, 1
	s_addc_u32 s7, s7, 0
	v_add_co_ci_u32_e32 v26, vcc_lo, s31, v26, vcc_lo
	v_cmp_lt_i64_e64 s38, s[6:7], s[40:41]
	v_add_co_u32 v23, vcc_lo, v23, s30
	v_dual_mov_b32 v27, s50 :: v_dual_mov_b32 v28, s51
	v_add_co_ci_u32_e32 v24, vcc_lo, s31, v24, vcc_lo
	s_delay_alu instid0(VALU_DEP_4)
	s_and_b32 vcc_lo, exec_lo, s38
	global_store_b64 v5, v[27:28], s[36:37]
	s_cbranch_vccz .LBB204_85
; %bb.83:                               ;   in Loop: Header=BB204_24 Depth=2
	s_mov_b32 s67, s5
	s_branch .LBB204_24
.LBB204_84:                             ;   in Loop: Header=BB204_24 Depth=2
                                        ; implicit-def: $sgpr36_sgpr37
	s_branch .LBB204_26
.LBB204_85:                             ;   in Loop: Header=BB204_14 Depth=1
	s_and_not1_b32 vcc_lo, exec_lo, s33
	s_cbranch_vccnz .LBB204_103
; %bb.86:                               ;   in Loop: Header=BB204_14 Depth=1
	s_load_b128 s[36:39], s[46:47], 0x0
	s_waitcnt lgkmcnt(0)
	v_cmp_ge_i64_e64 s6, s[36:37], s[38:39]
	s_delay_alu instid0(VALU_DEP_1)
	s_and_b32 vcc_lo, exec_lo, s6
	s_cbranch_vccnz .LBB204_103
; %bb.87:                               ;   in Loop: Header=BB204_14 Depth=1
	s_sub_u32 s6, s38, s10
	s_subb_u32 s7, s39, 0
	s_sub_u32 s48, s36, s10
	s_subb_u32 s49, s37, 0
	s_lshl_b64 s[38:39], s[36:37], 2
	s_mul_i32 s49, s30, s49
	s_mul_hi_u32 s50, s30, s48
	s_add_u32 s38, s11, s38
	s_addc_u32 s39, s27, s39
	s_add_i32 s49, s50, s49
	s_mul_i32 s50, s31, s48
	s_mul_i32 s48, s30, s48
	s_add_i32 s49, s49, s50
	s_add_u32 s48, s8, s48
	s_addc_u32 s49, s9, s49
	s_add_u32 s36, s63, s36
	s_addc_u32 s37, s64, s37
.LBB204_88:                             ;   Parent Loop BB204_14 Depth=1
                                        ; =>  This Inner Loop Header: Depth=2
	s_load_b32 s50, s[38:39], 0x0
	s_waitcnt lgkmcnt(0)
	s_sub_i32 s66, s50, s23
	s_delay_alu instid0(SALU_CYCLE_1)
	s_cmp_lt_i32 s66, s45
	s_cselect_b32 s50, -1, 0
	s_cmp_lt_i32 s66, s65
	s_cselect_b32 s51, -1, 0
	s_cmp_ge_i32 s66, s65
	s_cselect_b32 s67, -1, 0
	s_delay_alu instid0(SALU_CYCLE_1)
	s_or_b32 s50, s50, s67
	s_mov_b32 s67, -1
	s_and_b32 vcc_lo, exec_lo, s50
                                        ; implicit-def: $sgpr50
	s_cbranch_vccz .LBB204_90
; %bb.89:                               ;   in Loop: Header=BB204_88 Depth=2
	s_min_i32 s50, s66, s5
	s_and_b32 s67, s51, exec_lo
	s_cselect_b32 s50, s5, s50
	s_mov_b32 s67, 0
.LBB204_90:                             ;   in Loop: Header=BB204_88 Depth=2
	s_delay_alu instid0(SALU_CYCLE_1)
	s_and_not1_b32 vcc_lo, exec_lo, s67
	s_cbranch_vccnz .LBB204_97
; %bb.91:                               ;   in Loop: Header=BB204_88 Depth=2
	s_sub_i32 s50, s66, s45
	s_delay_alu instid0(SALU_CYCLE_1)
	v_mov_b32_e32 v23, s50
	v_lshl_or_b32 v6, s50, 10, v52
	ds_store_b8 v23, v84 offset:16384
	s_and_saveexec_b32 s50, s55
	s_cbranch_execnz .LBB204_99
; %bb.92:                               ;   in Loop: Header=BB204_88 Depth=2
	s_or_b32 exec_lo, exec_lo, s50
	v_add_lshl_u32 v6, v6, v49, 3
	s_and_saveexec_b32 s50, s56
	s_cbranch_execnz .LBB204_100
.LBB204_93:                             ;   in Loop: Header=BB204_88 Depth=2
	s_or_b32 exec_lo, exec_lo, s50
	s_and_saveexec_b32 s50, s57
	s_cbranch_execnz .LBB204_101
.LBB204_94:                             ;   in Loop: Header=BB204_88 Depth=2
	s_or_b32 exec_lo, exec_lo, s50
	s_and_saveexec_b32 s50, s58
	s_cbranch_execz .LBB204_96
.LBB204_95:                             ;   in Loop: Header=BB204_88 Depth=2
	v_add_co_u32 v23, vcc_lo, s48, v50
	v_add_co_ci_u32_e32 v24, vcc_lo, s49, v51, vcc_lo
	s_delay_alu instid0(VALU_DEP_2) | instskip(NEXT) | instid1(VALU_DEP_2)
	v_add_co_u32 v23, vcc_lo, 0xc0, v23
	v_add_co_ci_u32_e32 v24, vcc_lo, 0, v24, vcc_lo
	v_add_co_u32 v25, vcc_lo, s48, v82
	v_add_co_ci_u32_e32 v26, vcc_lo, s49, v83, vcc_lo
	s_delay_alu instid0(VALU_DEP_2) | instskip(NEXT) | instid1(VALU_DEP_2)
	v_cndmask_b32_e64 v23, v25, v23, s1
	v_cndmask_b32_e64 v24, v26, v24, s1
	ds_load_b64 v[25:26], v6 offset:192
	global_load_b64 v[23:24], v[23:24], off
	s_waitcnt vmcnt(0) lgkmcnt(0)
	v_fma_f64 v[23:24], v[3:4], v[23:24], v[25:26]
	ds_store_b64 v6, v[23:24] offset:192
.LBB204_96:                             ;   in Loop: Header=BB204_88 Depth=2
	s_or_b32 exec_lo, exec_lo, s50
	s_mov_b32 s51, -1
	s_mov_b32 s50, s5
	s_waitcnt lgkmcnt(0)
	s_waitcnt_vscnt null, 0x0
	s_barrier
	buffer_gl0_inv
.LBB204_97:                             ;   in Loop: Header=BB204_88 Depth=2
	v_cmp_lt_i64_e64 s5, s[36:37], s[6:7]
	s_delay_alu instid0(VALU_DEP_1)
	s_and_b32 s5, s51, s5
	s_add_u32 s38, s38, 4
	s_addc_u32 s39, s39, 0
	s_add_u32 s48, s48, s30
	s_addc_u32 s49, s49, s31
	;; [unrolled: 2-line block ×3, first 2 shown]
	s_and_b32 vcc_lo, exec_lo, s5
	s_cbranch_vccz .LBB204_102
; %bb.98:                               ;   in Loop: Header=BB204_88 Depth=2
	s_mov_b32 s5, s50
	s_branch .LBB204_88
.LBB204_99:                             ;   in Loop: Header=BB204_88 Depth=2
	v_add_co_u32 v23, vcc_lo, s48, v86
	v_add_co_ci_u32_e32 v24, vcc_lo, s49, v85, vcc_lo
	v_or_b32_e32 v25, v6, v49
	global_load_b64 v[23:24], v[23:24], off
	v_lshlrev_b32_e32 v27, 3, v25
	ds_load_b64 v[25:26], v27
	s_waitcnt vmcnt(0) lgkmcnt(0)
	v_fma_f64 v[23:24], v[3:4], v[23:24], v[25:26]
	ds_store_b64 v27, v[23:24]
	s_or_b32 exec_lo, exec_lo, s50
	v_add_lshl_u32 v6, v6, v49, 3
	s_and_saveexec_b32 s50, s56
	s_cbranch_execz .LBB204_93
.LBB204_100:                            ;   in Loop: Header=BB204_88 Depth=2
	v_add_co_u32 v23, vcc_lo, s48, v50
	v_add_co_ci_u32_e32 v24, vcc_lo, s49, v51, vcc_lo
	s_delay_alu instid0(VALU_DEP_2) | instskip(NEXT) | instid1(VALU_DEP_2)
	v_add_co_u32 v23, vcc_lo, v23, 64
	v_add_co_ci_u32_e32 v24, vcc_lo, 0, v24, vcc_lo
	v_add_co_u32 v25, vcc_lo, s48, v78
	v_add_co_ci_u32_e32 v26, vcc_lo, s49, v79, vcc_lo
	s_delay_alu instid0(VALU_DEP_2) | instskip(NEXT) | instid1(VALU_DEP_2)
	v_cndmask_b32_e64 v23, v25, v23, s1
	v_cndmask_b32_e64 v24, v26, v24, s1
	ds_load_b64 v[25:26], v6 offset:64
	global_load_b64 v[23:24], v[23:24], off
	s_waitcnt vmcnt(0) lgkmcnt(0)
	v_fma_f64 v[23:24], v[3:4], v[23:24], v[25:26]
	ds_store_b64 v6, v[23:24] offset:64
	s_or_b32 exec_lo, exec_lo, s50
	s_and_saveexec_b32 s50, s57
	s_cbranch_execz .LBB204_94
.LBB204_101:                            ;   in Loop: Header=BB204_88 Depth=2
	v_add_co_u32 v23, vcc_lo, s48, v50
	v_add_co_ci_u32_e32 v24, vcc_lo, s49, v51, vcc_lo
	s_delay_alu instid0(VALU_DEP_2) | instskip(NEXT) | instid1(VALU_DEP_2)
	v_add_co_u32 v23, vcc_lo, 0x80, v23
	v_add_co_ci_u32_e32 v24, vcc_lo, 0, v24, vcc_lo
	v_add_co_u32 v25, vcc_lo, s48, v80
	v_add_co_ci_u32_e32 v26, vcc_lo, s49, v81, vcc_lo
	s_delay_alu instid0(VALU_DEP_2) | instskip(NEXT) | instid1(VALU_DEP_2)
	v_cndmask_b32_e64 v23, v25, v23, s1
	v_cndmask_b32_e64 v24, v26, v24, s1
	ds_load_b64 v[25:26], v6 offset:128
	global_load_b64 v[23:24], v[23:24], off
	s_waitcnt vmcnt(0) lgkmcnt(0)
	v_fma_f64 v[23:24], v[3:4], v[23:24], v[25:26]
	ds_store_b64 v6, v[23:24] offset:128
	s_or_b32 exec_lo, exec_lo, s50
	s_and_saveexec_b32 s50, s58
	s_cbranch_execnz .LBB204_95
	s_branch .LBB204_96
.LBB204_102:                            ;   in Loop: Header=BB204_14 Depth=1
	s_mov_b32 s5, s50
.LBB204_103:                            ;   in Loop: Header=BB204_14 Depth=1
	s_waitcnt_vscnt null, 0x0
	s_barrier
	buffer_gl0_inv
	ds_load_u8 v6, v5 offset:16384
	s_add_i32 s6, s45, s22
	s_mov_b32 s7, 0
	s_waitcnt lgkmcnt(0)
	v_cmp_eq_u32_e32 vcc_lo, 0, v6
	s_cbranch_vccnz .LBB204_110
; %bb.104:                              ;   in Loop: Header=BB204_14 Depth=1
	v_mad_u64_u32 v[23:24], null, v21, s44, 0
	s_delay_alu instid0(VALU_DEP_1) | instskip(NEXT) | instid1(VALU_DEP_1)
	v_dual_mov_b32 v31, s6 :: v_dual_mov_b32 v6, v24
	v_mad_u64_u32 v[24:25], null, v22, s44, v[6:7]
	v_lshlrev_b64 v[25:26], 2, v[21:22]
	s_delay_alu instid0(VALU_DEP_1) | instskip(NEXT) | instid1(VALU_DEP_3)
	v_add_co_u32 v29, vcc_lo, s28, v25
	v_lshlrev_b64 v[27:28], 3, v[23:24]
	s_delay_alu instid0(VALU_DEP_3) | instskip(NEXT) | instid1(VALU_DEP_2)
	v_add_co_ci_u32_e32 v30, vcc_lo, s29, v26, vcc_lo
	v_add_co_u32 v6, vcc_lo, v53, v27
	s_delay_alu instid0(VALU_DEP_3)
	v_add_co_ci_u32_e32 v23, vcc_lo, v54, v28, vcc_lo
	v_add_co_u32 v24, vcc_lo, v55, v27
	v_add_co_ci_u32_e32 v25, vcc_lo, v56, v28, vcc_lo
	global_store_b32 v[29:30], v31, off
	s_and_saveexec_b32 s7, s55
	s_cbranch_execnz .LBB204_117
; %bb.105:                              ;   in Loop: Header=BB204_14 Depth=1
	s_or_b32 exec_lo, exec_lo, s7
	s_and_saveexec_b32 s7, s56
	s_cbranch_execnz .LBB204_118
.LBB204_106:                            ;   in Loop: Header=BB204_14 Depth=1
	s_or_b32 exec_lo, exec_lo, s7
	s_and_saveexec_b32 s7, s57
	s_cbranch_execnz .LBB204_119
.LBB204_107:                            ;   in Loop: Header=BB204_14 Depth=1
	s_or_b32 exec_lo, exec_lo, s7
	s_and_saveexec_b32 s7, s58
	s_cbranch_execz .LBB204_109
.LBB204_108:                            ;   in Loop: Header=BB204_14 Depth=1
	v_lshlrev_b32_e32 v28, 3, v49
	ds_load_b64 v[26:27], v57 offset:192
	v_add_co_u32 v24, vcc_lo, v24, v28
	v_add_co_ci_u32_e32 v25, vcc_lo, 0, v25, vcc_lo
	v_add_co_u32 v6, vcc_lo, v6, v17
	v_add_co_ci_u32_e32 v23, vcc_lo, v23, v18, vcc_lo
	s_delay_alu instid0(VALU_DEP_4) | instskip(NEXT) | instid1(VALU_DEP_4)
	v_add_co_u32 v28, vcc_lo, 0xc0, v24
	v_add_co_ci_u32_e32 v24, vcc_lo, 0, v25, vcc_lo
	s_delay_alu instid0(VALU_DEP_1) | instskip(NEXT) | instid1(VALU_DEP_3)
	v_cndmask_b32_e64 v24, v23, v24, s1
	v_cndmask_b32_e64 v23, v6, v28, s1
	s_waitcnt lgkmcnt(0)
	global_store_b64 v[23:24], v[26:27], off
.LBB204_109:                            ;   in Loop: Header=BB204_14 Depth=1
	s_or_b32 exec_lo, exec_lo, s7
	s_mov_b32 s7, 1
.LBB204_110:                            ;   in Loop: Header=BB204_14 Depth=1
	ds_load_u8 v6, v5 offset:16385
	s_waitcnt lgkmcnt(0)
	v_and_b32_e32 v6, 1, v6
	s_delay_alu instid0(VALU_DEP_1)
	v_cmp_eq_u32_e32 vcc_lo, 1, v6
	s_cbranch_vccnz .LBB204_112
; %bb.111:                              ;   in Loop: Header=BB204_14 Depth=1
	v_add_co_u32 v23, vcc_lo, s7, v21
	v_add_co_ci_u32_e32 v24, vcc_lo, 0, v22, vcc_lo
	s_cbranch_execnz .LBB204_13
	s_branch .LBB204_113
.LBB204_112:                            ;   in Loop: Header=BB204_14 Depth=1
                                        ; implicit-def: $vgpr23_vgpr24
.LBB204_113:                            ;   in Loop: Header=BB204_14 Depth=1
	s_add_i32 s7, s7, 1
	s_add_i32 s6, s6, 1
	v_add_co_u32 v23, vcc_lo, v21, s7
	v_add_co_ci_u32_e32 v24, vcc_lo, 0, v22, vcc_lo
	v_mov_b32_e32 v30, s6
	s_delay_alu instid0(VALU_DEP_3) | instskip(NEXT) | instid1(VALU_DEP_3)
	v_add_co_u32 v6, vcc_lo, v23, -1
	v_add_co_ci_u32_e32 v27, vcc_lo, -1, v24, vcc_lo
	s_delay_alu instid0(VALU_DEP_2) | instskip(NEXT) | instid1(VALU_DEP_1)
	v_mad_u64_u32 v[21:22], null, v6, s44, 0
	v_mov_b32_e32 v6, v22
	s_delay_alu instid0(VALU_DEP_1) | instskip(NEXT) | instid1(VALU_DEP_1)
	v_mad_u64_u32 v[25:26], null, v27, s44, v[6:7]
	v_mov_b32_e32 v22, v25
	v_lshlrev_b64 v[25:26], 2, v[23:24]
	s_delay_alu instid0(VALU_DEP_2) | instskip(NEXT) | instid1(VALU_DEP_2)
	v_lshlrev_b64 v[21:22], 3, v[21:22]
	v_add_co_u32 v28, vcc_lo, s61, v25
	s_delay_alu instid0(VALU_DEP_3) | instskip(NEXT) | instid1(VALU_DEP_3)
	v_add_co_ci_u32_e32 v29, vcc_lo, s62, v26, vcc_lo
	v_add_co_u32 v26, vcc_lo, v53, v21
	s_delay_alu instid0(VALU_DEP_4)
	v_add_co_ci_u32_e32 v27, vcc_lo, v54, v22, vcc_lo
	v_add_co_u32 v6, vcc_lo, v55, v21
	v_add_co_ci_u32_e32 v25, vcc_lo, v56, v22, vcc_lo
	global_store_b32 v[28:29], v30, off
	s_and_saveexec_b32 s6, s55
	s_cbranch_execnz .LBB204_120
; %bb.114:                              ;   in Loop: Header=BB204_14 Depth=1
	s_or_b32 exec_lo, exec_lo, s6
	s_and_saveexec_b32 s6, s56
	s_cbranch_execnz .LBB204_121
.LBB204_115:                            ;   in Loop: Header=BB204_14 Depth=1
	s_or_b32 exec_lo, exec_lo, s6
	s_and_saveexec_b32 s6, s57
	s_cbranch_execnz .LBB204_122
.LBB204_116:                            ;   in Loop: Header=BB204_14 Depth=1
	s_or_b32 exec_lo, exec_lo, s6
	s_and_saveexec_b32 s6, s58
	s_cbranch_execz .LBB204_12
	s_branch .LBB204_123
.LBB204_117:                            ;   in Loop: Header=BB204_14 Depth=1
	ds_load_b64 v[26:27], v57
	v_lshlrev_b32_e32 v28, 3, v49
	v_add_co_u32 v30, vcc_lo, v6, v7
	v_add_co_ci_u32_e32 v29, vcc_lo, v23, v8, vcc_lo
	s_delay_alu instid0(VALU_DEP_3) | instskip(SKIP_1) | instid1(VALU_DEP_2)
	v_add_co_u32 v28, vcc_lo, v24, v28
	v_add_co_ci_u32_e32 v31, vcc_lo, 0, v25, vcc_lo
	v_cndmask_b32_e64 v28, v30, v28, s1
	s_delay_alu instid0(VALU_DEP_2)
	v_cndmask_b32_e64 v29, v29, v31, s1
	s_waitcnt lgkmcnt(0)
	global_store_b64 v[28:29], v[26:27], off
	s_or_b32 exec_lo, exec_lo, s7
	s_and_saveexec_b32 s7, s56
	s_cbranch_execz .LBB204_106
.LBB204_118:                            ;   in Loop: Header=BB204_14 Depth=1
	v_lshlrev_b32_e32 v28, 3, v49
	ds_load_b64 v[26:27], v57 offset:64
	v_add_co_u32 v28, vcc_lo, v24, v28
	v_add_co_ci_u32_e32 v29, vcc_lo, 0, v25, vcc_lo
	v_add_co_u32 v30, vcc_lo, v6, v11
	v_add_co_ci_u32_e32 v31, vcc_lo, v23, v12, vcc_lo
	s_delay_alu instid0(VALU_DEP_4) | instskip(NEXT) | instid1(VALU_DEP_4)
	v_add_co_u32 v28, vcc_lo, v28, 64
	v_add_co_ci_u32_e32 v29, vcc_lo, 0, v29, vcc_lo
	s_delay_alu instid0(VALU_DEP_2) | instskip(NEXT) | instid1(VALU_DEP_2)
	v_cndmask_b32_e64 v28, v30, v28, s1
	v_cndmask_b32_e64 v29, v31, v29, s1
	s_waitcnt lgkmcnt(0)
	global_store_b64 v[28:29], v[26:27], off
	s_or_b32 exec_lo, exec_lo, s7
	s_and_saveexec_b32 s7, s57
	s_cbranch_execz .LBB204_107
.LBB204_119:                            ;   in Loop: Header=BB204_14 Depth=1
	v_lshlrev_b32_e32 v28, 3, v49
	ds_load_b64 v[26:27], v57 offset:128
	v_add_co_u32 v28, vcc_lo, v24, v28
	v_add_co_ci_u32_e32 v29, vcc_lo, 0, v25, vcc_lo
	v_add_co_u32 v30, vcc_lo, v6, v15
	v_add_co_ci_u32_e32 v31, vcc_lo, v23, v16, vcc_lo
	s_delay_alu instid0(VALU_DEP_4) | instskip(NEXT) | instid1(VALU_DEP_4)
	v_add_co_u32 v28, vcc_lo, 0x80, v28
	v_add_co_ci_u32_e32 v29, vcc_lo, 0, v29, vcc_lo
	s_delay_alu instid0(VALU_DEP_2) | instskip(NEXT) | instid1(VALU_DEP_2)
	v_cndmask_b32_e64 v28, v30, v28, s1
	v_cndmask_b32_e64 v29, v31, v29, s1
	s_waitcnt lgkmcnt(0)
	global_store_b64 v[28:29], v[26:27], off
	s_or_b32 exec_lo, exec_lo, s7
	s_and_saveexec_b32 s7, s58
	s_cbranch_execnz .LBB204_108
	s_branch .LBB204_109
.LBB204_120:                            ;   in Loop: Header=BB204_14 Depth=1
	v_lshlrev_b32_e32 v28, 3, v49
	ds_load_b64 v[21:22], v57 offset:8192
	v_add_co_u32 v28, vcc_lo, v6, v28
	v_add_co_ci_u32_e32 v29, vcc_lo, 0, v25, vcc_lo
	v_add_co_u32 v30, vcc_lo, v26, v7
	v_add_co_ci_u32_e32 v31, vcc_lo, v27, v8, vcc_lo
	s_delay_alu instid0(VALU_DEP_2) | instskip(NEXT) | instid1(VALU_DEP_2)
	v_cndmask_b32_e64 v28, v30, v28, s1
	v_cndmask_b32_e64 v29, v31, v29, s1
	s_waitcnt lgkmcnt(0)
	global_store_b64 v[28:29], v[21:22], off
	s_or_b32 exec_lo, exec_lo, s6
	s_and_saveexec_b32 s6, s56
	s_cbranch_execz .LBB204_115
.LBB204_121:                            ;   in Loop: Header=BB204_14 Depth=1
	v_lshlrev_b32_e32 v28, 3, v49
	ds_load_b64 v[21:22], v58 offset:8192
	v_add_co_u32 v28, vcc_lo, v6, v28
	v_add_co_ci_u32_e32 v29, vcc_lo, 0, v25, vcc_lo
	v_add_co_u32 v30, vcc_lo, v26, v11
	v_add_co_ci_u32_e32 v31, vcc_lo, v27, v12, vcc_lo
	s_delay_alu instid0(VALU_DEP_4) | instskip(NEXT) | instid1(VALU_DEP_4)
	v_add_co_u32 v28, vcc_lo, v28, 64
	v_add_co_ci_u32_e32 v29, vcc_lo, 0, v29, vcc_lo
	s_delay_alu instid0(VALU_DEP_2) | instskip(NEXT) | instid1(VALU_DEP_2)
	v_cndmask_b32_e64 v28, v30, v28, s1
	v_cndmask_b32_e64 v29, v31, v29, s1
	s_waitcnt lgkmcnt(0)
	global_store_b64 v[28:29], v[21:22], off
	s_or_b32 exec_lo, exec_lo, s6
	s_and_saveexec_b32 s6, s57
	s_cbranch_execz .LBB204_116
.LBB204_122:                            ;   in Loop: Header=BB204_14 Depth=1
	v_lshlrev_b32_e32 v28, 3, v49
	ds_load_b64 v[21:22], v59 offset:8192
	v_add_co_u32 v28, vcc_lo, v6, v28
	v_add_co_ci_u32_e32 v29, vcc_lo, 0, v25, vcc_lo
	v_add_co_u32 v30, vcc_lo, v26, v15
	v_add_co_ci_u32_e32 v31, vcc_lo, v27, v16, vcc_lo
	s_delay_alu instid0(VALU_DEP_4) | instskip(NEXT) | instid1(VALU_DEP_4)
	v_add_co_u32 v28, vcc_lo, 0x80, v28
	v_add_co_ci_u32_e32 v29, vcc_lo, 0, v29, vcc_lo
	s_delay_alu instid0(VALU_DEP_2) | instskip(NEXT) | instid1(VALU_DEP_2)
	v_cndmask_b32_e64 v28, v30, v28, s1
	v_cndmask_b32_e64 v29, v31, v29, s1
	s_waitcnt lgkmcnt(0)
	global_store_b64 v[28:29], v[21:22], off
	s_or_b32 exec_lo, exec_lo, s6
	s_and_saveexec_b32 s6, s58
	s_cbranch_execz .LBB204_12
.LBB204_123:                            ;   in Loop: Header=BB204_14 Depth=1
	ds_load_b64 v[21:22], v60 offset:8192
	s_and_not1_b32 vcc_lo, exec_lo, s24
	s_cbranch_vccnz .LBB204_125
; %bb.124:                              ;   in Loop: Header=BB204_14 Depth=1
	v_add_co_u32 v26, vcc_lo, v26, v17
	v_add_co_ci_u32_e32 v27, vcc_lo, v27, v18, vcc_lo
	s_waitcnt lgkmcnt(0)
	global_store_b64 v[26:27], v[21:22], off
	s_cbranch_execnz .LBB204_12
	s_branch .LBB204_126
.LBB204_125:                            ;   in Loop: Header=BB204_14 Depth=1
.LBB204_126:                            ;   in Loop: Header=BB204_14 Depth=1
	v_lshlrev_b32_e32 v26, 3, v49
	s_delay_alu instid0(VALU_DEP_1)
	v_add_co_u32 v26, vcc_lo, v6, v26
	v_add_co_ci_u32_e32 v27, vcc_lo, 0, v25, vcc_lo
	s_waitcnt lgkmcnt(0)
	global_store_b64 v[26:27], v[21:22], off offset:192
	s_branch .LBB204_12
.LBB204_127:
	s_endpgm
	.section	.rodata,"a",@progbits
	.p2align	6, 0x0
	.amdhsa_kernel _ZN9rocsparseL31bsrgemm_block_per_row_multipassILj256ELj2ELj32ElidEEv20rocsparse_direction_T3_S2_PKS2_S4_NS_24const_host_device_scalarIT4_EEPKT2_S4_PKS6_SA_S4_SC_S7_SA_S4_SC_SA_PS2_PS6_PS8_21rocsparse_index_base_SG_SG_SG_bbb
		.amdhsa_group_segment_fixed_size 16392
		.amdhsa_private_segment_fixed_size 0
		.amdhsa_kernarg_size 172
		.amdhsa_user_sgpr_count 15
		.amdhsa_user_sgpr_dispatch_ptr 0
		.amdhsa_user_sgpr_queue_ptr 0
		.amdhsa_user_sgpr_kernarg_segment_ptr 1
		.amdhsa_user_sgpr_dispatch_id 0
		.amdhsa_user_sgpr_private_segment_size 0
		.amdhsa_wavefront_size32 1
		.amdhsa_uses_dynamic_stack 0
		.amdhsa_enable_private_segment 0
		.amdhsa_system_sgpr_workgroup_id_x 1
		.amdhsa_system_sgpr_workgroup_id_y 0
		.amdhsa_system_sgpr_workgroup_id_z 0
		.amdhsa_system_sgpr_workgroup_info 0
		.amdhsa_system_vgpr_workitem_id 0
		.amdhsa_next_free_vgpr 91
		.amdhsa_next_free_sgpr 72
		.amdhsa_reserve_vcc 1
		.amdhsa_float_round_mode_32 0
		.amdhsa_float_round_mode_16_64 0
		.amdhsa_float_denorm_mode_32 3
		.amdhsa_float_denorm_mode_16_64 3
		.amdhsa_dx10_clamp 1
		.amdhsa_ieee_mode 1
		.amdhsa_fp16_overflow 0
		.amdhsa_workgroup_processor_mode 1
		.amdhsa_memory_ordered 1
		.amdhsa_forward_progress 0
		.amdhsa_shared_vgpr_count 0
		.amdhsa_exception_fp_ieee_invalid_op 0
		.amdhsa_exception_fp_denorm_src 0
		.amdhsa_exception_fp_ieee_div_zero 0
		.amdhsa_exception_fp_ieee_overflow 0
		.amdhsa_exception_fp_ieee_underflow 0
		.amdhsa_exception_fp_ieee_inexact 0
		.amdhsa_exception_int_div_zero 0
	.end_amdhsa_kernel
	.section	.text._ZN9rocsparseL31bsrgemm_block_per_row_multipassILj256ELj2ELj32ElidEEv20rocsparse_direction_T3_S2_PKS2_S4_NS_24const_host_device_scalarIT4_EEPKT2_S4_PKS6_SA_S4_SC_S7_SA_S4_SC_SA_PS2_PS6_PS8_21rocsparse_index_base_SG_SG_SG_bbb,"axG",@progbits,_ZN9rocsparseL31bsrgemm_block_per_row_multipassILj256ELj2ELj32ElidEEv20rocsparse_direction_T3_S2_PKS2_S4_NS_24const_host_device_scalarIT4_EEPKT2_S4_PKS6_SA_S4_SC_S7_SA_S4_SC_SA_PS2_PS6_PS8_21rocsparse_index_base_SG_SG_SG_bbb,comdat
.Lfunc_end204:
	.size	_ZN9rocsparseL31bsrgemm_block_per_row_multipassILj256ELj2ELj32ElidEEv20rocsparse_direction_T3_S2_PKS2_S4_NS_24const_host_device_scalarIT4_EEPKT2_S4_PKS6_SA_S4_SC_S7_SA_S4_SC_SA_PS2_PS6_PS8_21rocsparse_index_base_SG_SG_SG_bbb, .Lfunc_end204-_ZN9rocsparseL31bsrgemm_block_per_row_multipassILj256ELj2ELj32ElidEEv20rocsparse_direction_T3_S2_PKS2_S4_NS_24const_host_device_scalarIT4_EEPKT2_S4_PKS6_SA_S4_SC_S7_SA_S4_SC_SA_PS2_PS6_PS8_21rocsparse_index_base_SG_SG_SG_bbb
                                        ; -- End function
	.section	.AMDGPU.csdata,"",@progbits
; Kernel info:
; codeLenInByte = 5336
; NumSgprs: 74
; NumVgprs: 91
; ScratchSize: 0
; MemoryBound: 1
; FloatMode: 240
; IeeeMode: 1
; LDSByteSize: 16392 bytes/workgroup (compile time only)
; SGPRBlocks: 9
; VGPRBlocks: 11
; NumSGPRsForWavesPerEU: 74
; NumVGPRsForWavesPerEU: 91
; Occupancy: 14
; WaveLimiterHint : 1
; COMPUTE_PGM_RSRC2:SCRATCH_EN: 0
; COMPUTE_PGM_RSRC2:USER_SGPR: 15
; COMPUTE_PGM_RSRC2:TRAP_HANDLER: 0
; COMPUTE_PGM_RSRC2:TGID_X_EN: 1
; COMPUTE_PGM_RSRC2:TGID_Y_EN: 0
; COMPUTE_PGM_RSRC2:TGID_Z_EN: 0
; COMPUTE_PGM_RSRC2:TIDIG_COMP_CNT: 0
	.section	.text._ZN9rocsparseL26bsrgemm_group_reduce_part2ILj256ELj8ELj2E21rocsparse_complex_numIfEliEEvT4_PKT3_PS3_Pi,"axG",@progbits,_ZN9rocsparseL26bsrgemm_group_reduce_part2ILj256ELj8ELj2E21rocsparse_complex_numIfEliEEvT4_PKT3_PS3_Pi,comdat
	.globl	_ZN9rocsparseL26bsrgemm_group_reduce_part2ILj256ELj8ELj2E21rocsparse_complex_numIfEliEEvT4_PKT3_PS3_Pi ; -- Begin function _ZN9rocsparseL26bsrgemm_group_reduce_part2ILj256ELj8ELj2E21rocsparse_complex_numIfEliEEvT4_PKT3_PS3_Pi
	.p2align	8
	.type	_ZN9rocsparseL26bsrgemm_group_reduce_part2ILj256ELj8ELj2E21rocsparse_complex_numIfEliEEvT4_PKT3_PS3_Pi,@function
_ZN9rocsparseL26bsrgemm_group_reduce_part2ILj256ELj8ELj2E21rocsparse_complex_numIfEliEEvT4_PKT3_PS3_Pi: ; @_ZN9rocsparseL26bsrgemm_group_reduce_part2ILj256ELj8ELj2E21rocsparse_complex_numIfEliEEvT4_PKT3_PS3_Pi
; %bb.0:
	s_clause 0x1
	s_load_b32 s10, s[0:1], 0x0
	s_load_b64 s[2:3], s[0:1], 0x10
	s_mov_b32 s4, 0
	v_lshl_or_b32 v1, s15, 8, v0
	s_mov_b32 s7, s4
	s_mov_b32 s5, s4
	;; [unrolled: 1-line block ×3, first 2 shown]
	v_dual_mov_b32 v9, s7 :: v_dual_mov_b32 v6, s4
	v_dual_mov_b32 v8, s6 :: v_dual_lshlrev_b32 v5, 5, v0
	v_mov_b32_e32 v7, s5
	s_mov_b32 s5, exec_lo
	ds_store_b128 v5, v[6:9]
	ds_store_b128 v5, v[6:9] offset:16
	s_waitcnt lgkmcnt(0)
	buffer_gl0_inv
	v_cmpx_gt_i32_e64 s10, v1
	s_cbranch_execz .LBB205_31
; %bb.1:
	s_clause 0x2
	s_load_b32 s11, s[0:1], 0x20
	s_load_b64 s[6:7], s[0:1], 0x8
	s_load_b64 s[8:9], s[0:1], 0x18
	v_dual_mov_b32 v6, 7 :: v_dual_mov_b32 v7, 6
	v_dual_mov_b32 v8, 5 :: v_dual_mov_b32 v9, 4
	;; [unrolled: 1-line block ×4, first 2 shown]
	s_waitcnt lgkmcnt(0)
	s_lshl_b32 s1, s11, 8
	s_branch .LBB205_3
.LBB205_2:                              ;   in Loop: Header=BB205_3 Depth=1
	s_or_b32 exec_lo, exec_lo, s0
	v_add_nc_u32_e32 v1, s1, v1
	s_delay_alu instid0(VALU_DEP_1) | instskip(SKIP_1) | instid1(SALU_CYCLE_1)
	v_cmp_le_i32_e32 vcc_lo, s10, v1
	s_or_b32 s4, vcc_lo, s4
	s_and_not1_b32 exec_lo, exec_lo, s4
	s_cbranch_execz .LBB205_31
.LBB205_3:                              ; =>This Inner Loop Header: Depth=1
	v_ashrrev_i32_e32 v2, 31, v1
	s_mov_b32 s0, exec_lo
	s_delay_alu instid0(VALU_DEP_1) | instskip(NEXT) | instid1(VALU_DEP_1)
	v_lshlrev_b64 v[3:4], 3, v[1:2]
	v_add_co_u32 v3, vcc_lo, s6, v3
	s_delay_alu instid0(VALU_DEP_2) | instskip(SKIP_4) | instid1(VALU_DEP_1)
	v_add_co_ci_u32_e32 v4, vcc_lo, s7, v4, vcc_lo
	global_load_b128 v[14:17], v[3:4], off
	s_waitcnt vmcnt(0)
	v_sub_co_u32 v3, vcc_lo, v16, v14
	v_sub_co_ci_u32_e32 v4, vcc_lo, v17, v15, vcc_lo
	v_cmpx_lt_i64_e32 8, v[3:4]
	s_xor_b32 s11, exec_lo, s0
	s_cbranch_execz .LBB205_29
; %bb.4:                                ;   in Loop: Header=BB205_3 Depth=1
	s_mov_b32 s0, exec_lo
	v_cmpx_lt_u64_e32 16, v[3:4]
	s_xor_b32 s12, exec_lo, s0
	s_cbranch_execz .LBB205_26
; %bb.5:                                ;   in Loop: Header=BB205_3 Depth=1
	s_mov_b32 s0, exec_lo
	v_cmpx_lt_u64_e32 32, v[3:4]
	;; [unrolled: 5-line block ×5, first 2 shown]
	s_xor_b32 s17, exec_lo, s0
	s_cbranch_execz .LBB205_14
; %bb.9:                                ;   in Loop: Header=BB205_3 Depth=1
	v_lshlrev_b64 v[14:15], 2, v[1:2]
	v_cmp_lt_u64_e32 vcc_lo, 0x200, v[3:4]
	s_delay_alu instid0(VALU_DEP_2) | instskip(NEXT) | instid1(VALU_DEP_1)
	v_add_co_u32 v3, s0, s8, v14
	v_add_co_ci_u32_e64 v4, s0, s9, v15, s0
	s_and_saveexec_b32 s0, vcc_lo
	s_delay_alu instid0(SALU_CYCLE_1)
	s_xor_b32 s0, exec_lo, s0
	s_cbranch_execz .LBB205_11
; %bb.10:                               ;   in Loop: Header=BB205_3 Depth=1
	ds_load_b32 v14, v5 offset:28
	global_store_b32 v[3:4], v6, off
                                        ; implicit-def: $vgpr3_vgpr4
	s_waitcnt lgkmcnt(0)
	v_add_nc_u32_e32 v14, 1, v14
	ds_store_b32 v5, v14 offset:28
.LBB205_11:                             ;   in Loop: Header=BB205_3 Depth=1
	s_and_not1_saveexec_b32 s0, s0
	s_cbranch_execz .LBB205_13
; %bb.12:                               ;   in Loop: Header=BB205_3 Depth=1
	ds_load_b32 v14, v5 offset:24
	global_store_b32 v[3:4], v7, off
	s_waitcnt lgkmcnt(0)
	v_add_nc_u32_e32 v14, 1, v14
	ds_store_b32 v5, v14 offset:24
.LBB205_13:                             ;   in Loop: Header=BB205_3 Depth=1
	s_or_b32 exec_lo, exec_lo, s0
.LBB205_14:                             ;   in Loop: Header=BB205_3 Depth=1
	s_and_not1_saveexec_b32 s0, s17
	s_cbranch_execz .LBB205_16
; %bb.15:                               ;   in Loop: Header=BB205_3 Depth=1
	ds_load_b32 v14, v5 offset:20
	v_lshlrev_b64 v[3:4], 2, v[1:2]
	s_delay_alu instid0(VALU_DEP_1) | instskip(NEXT) | instid1(VALU_DEP_2)
	v_add_co_u32 v3, vcc_lo, s8, v3
	v_add_co_ci_u32_e32 v4, vcc_lo, s9, v4, vcc_lo
	global_store_b32 v[3:4], v8, off
	s_waitcnt lgkmcnt(0)
	v_add_nc_u32_e32 v14, 1, v14
	ds_store_b32 v5, v14 offset:20
.LBB205_16:                             ;   in Loop: Header=BB205_3 Depth=1
	s_or_b32 exec_lo, exec_lo, s0
.LBB205_17:                             ;   in Loop: Header=BB205_3 Depth=1
	s_and_not1_saveexec_b32 s0, s16
	s_cbranch_execz .LBB205_19
; %bb.18:                               ;   in Loop: Header=BB205_3 Depth=1
	ds_load_b32 v14, v5 offset:16
	v_lshlrev_b64 v[3:4], 2, v[1:2]
	s_delay_alu instid0(VALU_DEP_1) | instskip(NEXT) | instid1(VALU_DEP_2)
	v_add_co_u32 v3, vcc_lo, s8, v3
	v_add_co_ci_u32_e32 v4, vcc_lo, s9, v4, vcc_lo
	global_store_b32 v[3:4], v9, off
	s_waitcnt lgkmcnt(0)
	v_add_nc_u32_e32 v14, 1, v14
	ds_store_b32 v5, v14 offset:16
.LBB205_19:                             ;   in Loop: Header=BB205_3 Depth=1
	s_or_b32 exec_lo, exec_lo, s0
.LBB205_20:                             ;   in Loop: Header=BB205_3 Depth=1
	s_and_not1_saveexec_b32 s0, s14
	s_cbranch_execz .LBB205_22
; %bb.21:                               ;   in Loop: Header=BB205_3 Depth=1
	ds_load_b32 v14, v5 offset:12
	v_lshlrev_b64 v[3:4], 2, v[1:2]
	s_delay_alu instid0(VALU_DEP_1) | instskip(NEXT) | instid1(VALU_DEP_2)
	v_add_co_u32 v3, vcc_lo, s8, v3
	v_add_co_ci_u32_e32 v4, vcc_lo, s9, v4, vcc_lo
	global_store_b32 v[3:4], v10, off
	s_waitcnt lgkmcnt(0)
	v_add_nc_u32_e32 v14, 1, v14
	ds_store_b32 v5, v14 offset:12
.LBB205_22:                             ;   in Loop: Header=BB205_3 Depth=1
	s_or_b32 exec_lo, exec_lo, s0
.LBB205_23:                             ;   in Loop: Header=BB205_3 Depth=1
	s_and_not1_saveexec_b32 s0, s13
	s_cbranch_execz .LBB205_25
; %bb.24:                               ;   in Loop: Header=BB205_3 Depth=1
	ds_load_b32 v14, v5 offset:8
	v_lshlrev_b64 v[3:4], 2, v[1:2]
	s_delay_alu instid0(VALU_DEP_1) | instskip(NEXT) | instid1(VALU_DEP_2)
	v_add_co_u32 v3, vcc_lo, s8, v3
	v_add_co_ci_u32_e32 v4, vcc_lo, s9, v4, vcc_lo
	global_store_b32 v[3:4], v11, off
	s_waitcnt lgkmcnt(0)
	v_add_nc_u32_e32 v14, 1, v14
	ds_store_b32 v5, v14 offset:8
.LBB205_25:                             ;   in Loop: Header=BB205_3 Depth=1
	s_or_b32 exec_lo, exec_lo, s0
.LBB205_26:                             ;   in Loop: Header=BB205_3 Depth=1
	s_and_not1_saveexec_b32 s0, s12
	s_cbranch_execz .LBB205_28
; %bb.27:                               ;   in Loop: Header=BB205_3 Depth=1
	ds_load_b32 v14, v5 offset:4
	v_lshlrev_b64 v[3:4], 2, v[1:2]
	s_delay_alu instid0(VALU_DEP_1) | instskip(NEXT) | instid1(VALU_DEP_2)
	v_add_co_u32 v3, vcc_lo, s8, v3
	v_add_co_ci_u32_e32 v4, vcc_lo, s9, v4, vcc_lo
	global_store_b32 v[3:4], v12, off
	s_waitcnt lgkmcnt(0)
	v_add_nc_u32_e32 v14, 1, v14
	ds_store_b32 v5, v14 offset:4
.LBB205_28:                             ;   in Loop: Header=BB205_3 Depth=1
	s_or_b32 exec_lo, exec_lo, s0
.LBB205_29:                             ;   in Loop: Header=BB205_3 Depth=1
	s_and_not1_saveexec_b32 s0, s11
	s_cbranch_execz .LBB205_2
; %bb.30:                               ;   in Loop: Header=BB205_3 Depth=1
	ds_load_b32 v4, v5
	v_lshlrev_b64 v[2:3], 2, v[1:2]
	s_delay_alu instid0(VALU_DEP_1) | instskip(NEXT) | instid1(VALU_DEP_2)
	v_add_co_u32 v2, vcc_lo, s8, v2
	v_add_co_ci_u32_e32 v3, vcc_lo, s9, v3, vcc_lo
	global_store_b32 v[2:3], v13, off
	s_waitcnt lgkmcnt(0)
	v_add_nc_u32_e32 v4, 1, v4
	ds_store_b32 v5, v4
	s_branch .LBB205_2
.LBB205_31:
	s_or_b32 exec_lo, exec_lo, s5
	s_delay_alu instid0(SALU_CYCLE_1)
	s_mov_b32 s0, exec_lo
	s_waitcnt lgkmcnt(0)
	s_waitcnt_vscnt null, 0x0
	s_barrier
	buffer_gl0_inv
	s_barrier
	buffer_gl0_inv
	;; [unrolled: 2-line block ×3, first 2 shown]
	v_cmpx_gt_u32_e32 0x80, v0
	s_cbranch_execz .LBB205_33
; %bb.32:
	ds_load_b128 v[1:4], v5 offset:4096
	ds_load_b128 v[6:9], v5
	ds_load_b128 v[10:13], v5 offset:16
	ds_load_b128 v[14:17], v5 offset:4112
	s_waitcnt lgkmcnt(2)
	v_add_nc_u32_e32 v1, v6, v1
	v_add_nc_u32_e32 v2, v7, v2
	v_add_nc_u32_e32 v3, v8, v3
	v_add_nc_u32_e32 v4, v9, v4
	s_waitcnt lgkmcnt(0)
	v_add_nc_u32_e32 v6, v10, v14
	v_add_nc_u32_e32 v7, v11, v15
	v_add_nc_u32_e32 v8, v12, v16
	v_add_nc_u32_e32 v9, v13, v17
	ds_store_b128 v5, v[1:4]
	ds_store_b128 v5, v[6:9] offset:16
.LBB205_33:
	s_or_b32 exec_lo, exec_lo, s0
	s_delay_alu instid0(SALU_CYCLE_1)
	s_mov_b32 s0, exec_lo
	s_waitcnt lgkmcnt(0)
	s_barrier
	buffer_gl0_inv
	v_cmpx_gt_u32_e32 64, v0
	s_cbranch_execz .LBB205_35
; %bb.34:
	ds_load_b128 v[1:4], v5 offset:2048
	ds_load_b128 v[6:9], v5
	ds_load_b128 v[10:13], v5 offset:16
	ds_load_b128 v[14:17], v5 offset:2064
	s_waitcnt lgkmcnt(2)
	v_add_nc_u32_e32 v1, v6, v1
	v_add_nc_u32_e32 v2, v7, v2
	v_add_nc_u32_e32 v3, v8, v3
	v_add_nc_u32_e32 v4, v9, v4
	s_waitcnt lgkmcnt(0)
	v_add_nc_u32_e32 v6, v10, v14
	v_add_nc_u32_e32 v7, v11, v15
	v_add_nc_u32_e32 v8, v12, v16
	v_add_nc_u32_e32 v9, v13, v17
	ds_store_b128 v5, v[1:4]
	ds_store_b128 v5, v[6:9] offset:16
.LBB205_35:
	s_or_b32 exec_lo, exec_lo, s0
	s_delay_alu instid0(SALU_CYCLE_1)
	s_mov_b32 s0, exec_lo
	s_waitcnt lgkmcnt(0)
	s_barrier
	buffer_gl0_inv
	;; [unrolled: 26-line block ×3, first 2 shown]
	v_cmpx_gt_u32_e32 16, v0
	s_cbranch_execz .LBB205_39
; %bb.38:
	ds_load_b128 v[1:4], v5 offset:512
	ds_load_b128 v[6:9], v5
	ds_load_b128 v[10:13], v5 offset:16
	ds_load_b128 v[14:17], v5 offset:528
	s_waitcnt lgkmcnt(2)
	v_add_nc_u32_e32 v1, v6, v1
	v_add_nc_u32_e32 v2, v7, v2
	;; [unrolled: 1-line block ×4, first 2 shown]
	s_waitcnt lgkmcnt(0)
	v_add_nc_u32_e32 v6, v10, v14
	v_add_nc_u32_e32 v7, v11, v15
	;; [unrolled: 1-line block ×4, first 2 shown]
	ds_store_b128 v5, v[1:4]
	ds_store_b128 v5, v[6:9] offset:16
.LBB205_39:
	s_or_b32 exec_lo, exec_lo, s0
	v_cmp_gt_u32_e32 vcc_lo, 8, v0
	s_waitcnt lgkmcnt(0)
	s_barrier
	buffer_gl0_inv
	s_and_saveexec_b32 s0, vcc_lo
	s_cbranch_execz .LBB205_41
; %bb.40:
	ds_load_b128 v[1:4], v5 offset:256
	ds_load_b128 v[6:9], v5
	ds_load_b128 v[10:13], v5 offset:16
	ds_load_b128 v[14:17], v5 offset:272
	s_waitcnt lgkmcnt(2)
	v_add_nc_u32_e32 v1, v6, v1
	v_add_nc_u32_e32 v2, v7, v2
	;; [unrolled: 1-line block ×4, first 2 shown]
	s_waitcnt lgkmcnt(0)
	v_add_nc_u32_e32 v6, v10, v14
	v_add_nc_u32_e32 v7, v11, v15
	;; [unrolled: 1-line block ×4, first 2 shown]
	ds_store_b128 v5, v[1:4]
	ds_store_b128 v5, v[6:9] offset:16
.LBB205_41:
	s_or_b32 exec_lo, exec_lo, s0
	s_delay_alu instid0(SALU_CYCLE_1)
	s_mov_b32 s1, exec_lo
	s_waitcnt lgkmcnt(0)
	s_barrier
	buffer_gl0_inv
	v_cmpx_gt_u32_e32 4, v0
	s_cbranch_execz .LBB205_43
; %bb.42:
	ds_load_b128 v[1:4], v5 offset:128
	ds_load_b128 v[6:9], v5
	ds_load_b128 v[10:13], v5 offset:16
	ds_load_b128 v[14:17], v5 offset:144
	s_waitcnt lgkmcnt(2)
	v_add_nc_u32_e32 v1, v6, v1
	v_add_nc_u32_e32 v2, v7, v2
	;; [unrolled: 1-line block ×4, first 2 shown]
	s_waitcnt lgkmcnt(0)
	v_add_nc_u32_e32 v6, v10, v14
	v_add_nc_u32_e32 v7, v11, v15
	;; [unrolled: 1-line block ×4, first 2 shown]
	ds_store_b128 v5, v[1:4]
	ds_store_b128 v5, v[6:9] offset:16
.LBB205_43:
	s_or_b32 exec_lo, exec_lo, s1
	s_delay_alu instid0(SALU_CYCLE_1)
	s_mov_b32 s1, exec_lo
	s_waitcnt lgkmcnt(0)
	s_barrier
	buffer_gl0_inv
	v_cmpx_gt_u32_e32 2, v0
	s_cbranch_execz .LBB205_45
; %bb.44:
	ds_load_b128 v[1:4], v5 offset:64
	ds_load_b128 v[6:9], v5
	ds_load_b128 v[10:13], v5 offset:16
	ds_load_b128 v[14:17], v5 offset:80
	s_waitcnt lgkmcnt(2)
	v_add_nc_u32_e32 v1, v6, v1
	v_add_nc_u32_e32 v2, v7, v2
	;; [unrolled: 1-line block ×4, first 2 shown]
	s_waitcnt lgkmcnt(0)
	v_add_nc_u32_e32 v6, v10, v14
	v_add_nc_u32_e32 v7, v11, v15
	;; [unrolled: 1-line block ×4, first 2 shown]
	ds_store_b128 v5, v[1:4]
	ds_store_b128 v5, v[6:9] offset:16
.LBB205_45:
	s_or_b32 exec_lo, exec_lo, s1
	s_delay_alu instid0(SALU_CYCLE_1)
	s_mov_b32 s1, exec_lo
	s_waitcnt lgkmcnt(0)
	s_barrier
	buffer_gl0_inv
	v_cmpx_eq_u32_e32 0, v0
	s_cbranch_execz .LBB205_47
; %bb.46:
	v_mov_b32_e32 v17, 0
	ds_load_b128 v[1:4], v17 offset:32
	ds_load_b128 v[5:8], v17
	ds_load_b128 v[9:12], v17 offset:16
	ds_load_b128 v[13:16], v17 offset:48
	s_waitcnt lgkmcnt(2)
	v_add_nc_u32_e32 v2, v6, v2
	v_add_nc_u32_e32 v1, v5, v1
	;; [unrolled: 1-line block ×4, first 2 shown]
	s_waitcnt lgkmcnt(0)
	v_add_nc_u32_e32 v5, v9, v13
	v_add_nc_u32_e32 v6, v10, v14
	;; [unrolled: 1-line block ×4, first 2 shown]
	ds_store_b128 v17, v[1:4]
	ds_store_b128 v17, v[5:8] offset:16
.LBB205_47:
	s_or_b32 exec_lo, exec_lo, s1
	s_waitcnt lgkmcnt(0)
	s_barrier
	buffer_gl0_inv
	s_and_saveexec_b32 s0, vcc_lo
	s_cbranch_execz .LBB205_49
; %bb.48:
	v_lshlrev_b32_e32 v1, 2, v0
	v_lshl_or_b32 v0, s15, 3, v0
	ds_load_b32 v2, v1
	v_mov_b32_e32 v1, 0
	s_delay_alu instid0(VALU_DEP_1) | instskip(NEXT) | instid1(VALU_DEP_1)
	v_lshlrev_b64 v[0:1], 2, v[0:1]
	v_add_co_u32 v0, vcc_lo, s2, v0
	s_delay_alu instid0(VALU_DEP_2)
	v_add_co_ci_u32_e32 v1, vcc_lo, s3, v1, vcc_lo
	s_waitcnt lgkmcnt(0)
	global_store_b32 v[0:1], v2, off
.LBB205_49:
	s_nop 0
	s_sendmsg sendmsg(MSG_DEALLOC_VGPRS)
	s_endpgm
	.section	.rodata,"a",@progbits
	.p2align	6, 0x0
	.amdhsa_kernel _ZN9rocsparseL26bsrgemm_group_reduce_part2ILj256ELj8ELj2E21rocsparse_complex_numIfEliEEvT4_PKT3_PS3_Pi
		.amdhsa_group_segment_fixed_size 8192
		.amdhsa_private_segment_fixed_size 0
		.amdhsa_kernarg_size 288
		.amdhsa_user_sgpr_count 15
		.amdhsa_user_sgpr_dispatch_ptr 0
		.amdhsa_user_sgpr_queue_ptr 0
		.amdhsa_user_sgpr_kernarg_segment_ptr 1
		.amdhsa_user_sgpr_dispatch_id 0
		.amdhsa_user_sgpr_private_segment_size 0
		.amdhsa_wavefront_size32 1
		.amdhsa_uses_dynamic_stack 0
		.amdhsa_enable_private_segment 0
		.amdhsa_system_sgpr_workgroup_id_x 1
		.amdhsa_system_sgpr_workgroup_id_y 0
		.amdhsa_system_sgpr_workgroup_id_z 0
		.amdhsa_system_sgpr_workgroup_info 0
		.amdhsa_system_vgpr_workitem_id 0
		.amdhsa_next_free_vgpr 18
		.amdhsa_next_free_sgpr 18
		.amdhsa_reserve_vcc 1
		.amdhsa_float_round_mode_32 0
		.amdhsa_float_round_mode_16_64 0
		.amdhsa_float_denorm_mode_32 3
		.amdhsa_float_denorm_mode_16_64 3
		.amdhsa_dx10_clamp 1
		.amdhsa_ieee_mode 1
		.amdhsa_fp16_overflow 0
		.amdhsa_workgroup_processor_mode 1
		.amdhsa_memory_ordered 1
		.amdhsa_forward_progress 0
		.amdhsa_shared_vgpr_count 0
		.amdhsa_exception_fp_ieee_invalid_op 0
		.amdhsa_exception_fp_denorm_src 0
		.amdhsa_exception_fp_ieee_div_zero 0
		.amdhsa_exception_fp_ieee_overflow 0
		.amdhsa_exception_fp_ieee_underflow 0
		.amdhsa_exception_fp_ieee_inexact 0
		.amdhsa_exception_int_div_zero 0
	.end_amdhsa_kernel
	.section	.text._ZN9rocsparseL26bsrgemm_group_reduce_part2ILj256ELj8ELj2E21rocsparse_complex_numIfEliEEvT4_PKT3_PS3_Pi,"axG",@progbits,_ZN9rocsparseL26bsrgemm_group_reduce_part2ILj256ELj8ELj2E21rocsparse_complex_numIfEliEEvT4_PKT3_PS3_Pi,comdat
.Lfunc_end205:
	.size	_ZN9rocsparseL26bsrgemm_group_reduce_part2ILj256ELj8ELj2E21rocsparse_complex_numIfEliEEvT4_PKT3_PS3_Pi, .Lfunc_end205-_ZN9rocsparseL26bsrgemm_group_reduce_part2ILj256ELj8ELj2E21rocsparse_complex_numIfEliEEvT4_PKT3_PS3_Pi
                                        ; -- End function
	.section	.AMDGPU.csdata,"",@progbits
; Kernel info:
; codeLenInByte = 2032
; NumSgprs: 20
; NumVgprs: 18
; ScratchSize: 0
; MemoryBound: 0
; FloatMode: 240
; IeeeMode: 1
; LDSByteSize: 8192 bytes/workgroup (compile time only)
; SGPRBlocks: 2
; VGPRBlocks: 2
; NumSGPRsForWavesPerEU: 20
; NumVGPRsForWavesPerEU: 18
; Occupancy: 16
; WaveLimiterHint : 0
; COMPUTE_PGM_RSRC2:SCRATCH_EN: 0
; COMPUTE_PGM_RSRC2:USER_SGPR: 15
; COMPUTE_PGM_RSRC2:TRAP_HANDLER: 0
; COMPUTE_PGM_RSRC2:TGID_X_EN: 1
; COMPUTE_PGM_RSRC2:TGID_Y_EN: 0
; COMPUTE_PGM_RSRC2:TGID_Z_EN: 0
; COMPUTE_PGM_RSRC2:TIDIG_COMP_CNT: 0
	.section	.text._ZN9rocsparseL26bsrgemm_group_reduce_part2ILj256ELj8ELj8E21rocsparse_complex_numIfEliEEvT4_PKT3_PS3_Pi,"axG",@progbits,_ZN9rocsparseL26bsrgemm_group_reduce_part2ILj256ELj8ELj8E21rocsparse_complex_numIfEliEEvT4_PKT3_PS3_Pi,comdat
	.globl	_ZN9rocsparseL26bsrgemm_group_reduce_part2ILj256ELj8ELj8E21rocsparse_complex_numIfEliEEvT4_PKT3_PS3_Pi ; -- Begin function _ZN9rocsparseL26bsrgemm_group_reduce_part2ILj256ELj8ELj8E21rocsparse_complex_numIfEliEEvT4_PKT3_PS3_Pi
	.p2align	8
	.type	_ZN9rocsparseL26bsrgemm_group_reduce_part2ILj256ELj8ELj8E21rocsparse_complex_numIfEliEEvT4_PKT3_PS3_Pi,@function
_ZN9rocsparseL26bsrgemm_group_reduce_part2ILj256ELj8ELj8E21rocsparse_complex_numIfEliEEvT4_PKT3_PS3_Pi: ; @_ZN9rocsparseL26bsrgemm_group_reduce_part2ILj256ELj8ELj8E21rocsparse_complex_numIfEliEEvT4_PKT3_PS3_Pi
; %bb.0:
	s_clause 0x1
	s_load_b32 s10, s[0:1], 0x0
	s_load_b64 s[2:3], s[0:1], 0x10
	s_mov_b32 s4, 0
	v_lshl_or_b32 v1, s15, 8, v0
	s_mov_b32 s7, s4
	s_mov_b32 s5, s4
	s_mov_b32 s6, s4
	v_dual_mov_b32 v9, s7 :: v_dual_mov_b32 v6, s4
	v_dual_mov_b32 v8, s6 :: v_dual_lshlrev_b32 v5, 5, v0
	v_mov_b32_e32 v7, s5
	s_mov_b32 s5, exec_lo
	ds_store_b128 v5, v[6:9]
	ds_store_b128 v5, v[6:9] offset:16
	s_waitcnt lgkmcnt(0)
	buffer_gl0_inv
	v_cmpx_gt_i32_e64 s10, v1
	s_cbranch_execz .LBB206_31
; %bb.1:
	s_clause 0x2
	s_load_b32 s11, s[0:1], 0x20
	s_load_b64 s[6:7], s[0:1], 0x8
	s_load_b64 s[8:9], s[0:1], 0x18
	v_dual_mov_b32 v6, 7 :: v_dual_mov_b32 v7, 6
	v_dual_mov_b32 v8, 5 :: v_dual_mov_b32 v9, 4
	v_dual_mov_b32 v10, 3 :: v_dual_mov_b32 v11, 2
	v_dual_mov_b32 v12, 1 :: v_dual_mov_b32 v13, 0
	s_waitcnt lgkmcnt(0)
	s_lshl_b32 s1, s11, 8
	s_branch .LBB206_3
.LBB206_2:                              ;   in Loop: Header=BB206_3 Depth=1
	s_or_b32 exec_lo, exec_lo, s0
	v_add_nc_u32_e32 v1, s1, v1
	s_delay_alu instid0(VALU_DEP_1) | instskip(SKIP_1) | instid1(SALU_CYCLE_1)
	v_cmp_le_i32_e32 vcc_lo, s10, v1
	s_or_b32 s4, vcc_lo, s4
	s_and_not1_b32 exec_lo, exec_lo, s4
	s_cbranch_execz .LBB206_31
.LBB206_3:                              ; =>This Inner Loop Header: Depth=1
	v_ashrrev_i32_e32 v2, 31, v1
	s_mov_b32 s0, exec_lo
	s_delay_alu instid0(VALU_DEP_1) | instskip(NEXT) | instid1(VALU_DEP_1)
	v_lshlrev_b64 v[3:4], 3, v[1:2]
	v_add_co_u32 v3, vcc_lo, s6, v3
	s_delay_alu instid0(VALU_DEP_2) | instskip(SKIP_4) | instid1(VALU_DEP_1)
	v_add_co_ci_u32_e32 v4, vcc_lo, s7, v4, vcc_lo
	global_load_b128 v[14:17], v[3:4], off
	s_waitcnt vmcnt(0)
	v_sub_co_u32 v3, vcc_lo, v16, v14
	v_sub_co_ci_u32_e32 v4, vcc_lo, v17, v15, vcc_lo
	v_cmpx_lt_i64_e32 8, v[3:4]
	s_xor_b32 s11, exec_lo, s0
	s_cbranch_execz .LBB206_29
; %bb.4:                                ;   in Loop: Header=BB206_3 Depth=1
	s_mov_b32 s0, exec_lo
	v_cmpx_lt_u64_e32 16, v[3:4]
	s_xor_b32 s12, exec_lo, s0
	s_cbranch_execz .LBB206_26
; %bb.5:                                ;   in Loop: Header=BB206_3 Depth=1
	s_mov_b32 s0, exec_lo
	v_cmpx_lt_u64_e32 32, v[3:4]
	;; [unrolled: 5-line block ×5, first 2 shown]
	s_xor_b32 s17, exec_lo, s0
	s_cbranch_execz .LBB206_14
; %bb.9:                                ;   in Loop: Header=BB206_3 Depth=1
	v_lshlrev_b64 v[14:15], 2, v[1:2]
	v_cmp_lt_u64_e32 vcc_lo, 0x200, v[3:4]
	s_delay_alu instid0(VALU_DEP_2) | instskip(NEXT) | instid1(VALU_DEP_1)
	v_add_co_u32 v3, s0, s8, v14
	v_add_co_ci_u32_e64 v4, s0, s9, v15, s0
	s_and_saveexec_b32 s0, vcc_lo
	s_delay_alu instid0(SALU_CYCLE_1)
	s_xor_b32 s0, exec_lo, s0
	s_cbranch_execz .LBB206_11
; %bb.10:                               ;   in Loop: Header=BB206_3 Depth=1
	ds_load_b32 v14, v5 offset:28
	global_store_b32 v[3:4], v6, off
                                        ; implicit-def: $vgpr3_vgpr4
	s_waitcnt lgkmcnt(0)
	v_add_nc_u32_e32 v14, 1, v14
	ds_store_b32 v5, v14 offset:28
.LBB206_11:                             ;   in Loop: Header=BB206_3 Depth=1
	s_and_not1_saveexec_b32 s0, s0
	s_cbranch_execz .LBB206_13
; %bb.12:                               ;   in Loop: Header=BB206_3 Depth=1
	ds_load_b32 v14, v5 offset:24
	global_store_b32 v[3:4], v7, off
	s_waitcnt lgkmcnt(0)
	v_add_nc_u32_e32 v14, 1, v14
	ds_store_b32 v5, v14 offset:24
.LBB206_13:                             ;   in Loop: Header=BB206_3 Depth=1
	s_or_b32 exec_lo, exec_lo, s0
.LBB206_14:                             ;   in Loop: Header=BB206_3 Depth=1
	s_and_not1_saveexec_b32 s0, s17
	s_cbranch_execz .LBB206_16
; %bb.15:                               ;   in Loop: Header=BB206_3 Depth=1
	ds_load_b32 v14, v5 offset:20
	v_lshlrev_b64 v[3:4], 2, v[1:2]
	s_delay_alu instid0(VALU_DEP_1) | instskip(NEXT) | instid1(VALU_DEP_2)
	v_add_co_u32 v3, vcc_lo, s8, v3
	v_add_co_ci_u32_e32 v4, vcc_lo, s9, v4, vcc_lo
	global_store_b32 v[3:4], v8, off
	s_waitcnt lgkmcnt(0)
	v_add_nc_u32_e32 v14, 1, v14
	ds_store_b32 v5, v14 offset:20
.LBB206_16:                             ;   in Loop: Header=BB206_3 Depth=1
	s_or_b32 exec_lo, exec_lo, s0
.LBB206_17:                             ;   in Loop: Header=BB206_3 Depth=1
	s_and_not1_saveexec_b32 s0, s16
	s_cbranch_execz .LBB206_19
; %bb.18:                               ;   in Loop: Header=BB206_3 Depth=1
	ds_load_b32 v14, v5 offset:16
	v_lshlrev_b64 v[3:4], 2, v[1:2]
	s_delay_alu instid0(VALU_DEP_1) | instskip(NEXT) | instid1(VALU_DEP_2)
	v_add_co_u32 v3, vcc_lo, s8, v3
	v_add_co_ci_u32_e32 v4, vcc_lo, s9, v4, vcc_lo
	global_store_b32 v[3:4], v9, off
	s_waitcnt lgkmcnt(0)
	v_add_nc_u32_e32 v14, 1, v14
	ds_store_b32 v5, v14 offset:16
.LBB206_19:                             ;   in Loop: Header=BB206_3 Depth=1
	s_or_b32 exec_lo, exec_lo, s0
.LBB206_20:                             ;   in Loop: Header=BB206_3 Depth=1
	s_and_not1_saveexec_b32 s0, s14
	s_cbranch_execz .LBB206_22
; %bb.21:                               ;   in Loop: Header=BB206_3 Depth=1
	ds_load_b32 v14, v5 offset:12
	v_lshlrev_b64 v[3:4], 2, v[1:2]
	s_delay_alu instid0(VALU_DEP_1) | instskip(NEXT) | instid1(VALU_DEP_2)
	v_add_co_u32 v3, vcc_lo, s8, v3
	v_add_co_ci_u32_e32 v4, vcc_lo, s9, v4, vcc_lo
	global_store_b32 v[3:4], v10, off
	s_waitcnt lgkmcnt(0)
	v_add_nc_u32_e32 v14, 1, v14
	ds_store_b32 v5, v14 offset:12
.LBB206_22:                             ;   in Loop: Header=BB206_3 Depth=1
	s_or_b32 exec_lo, exec_lo, s0
.LBB206_23:                             ;   in Loop: Header=BB206_3 Depth=1
	s_and_not1_saveexec_b32 s0, s13
	s_cbranch_execz .LBB206_25
; %bb.24:                               ;   in Loop: Header=BB206_3 Depth=1
	ds_load_b32 v14, v5 offset:8
	v_lshlrev_b64 v[3:4], 2, v[1:2]
	s_delay_alu instid0(VALU_DEP_1) | instskip(NEXT) | instid1(VALU_DEP_2)
	v_add_co_u32 v3, vcc_lo, s8, v3
	v_add_co_ci_u32_e32 v4, vcc_lo, s9, v4, vcc_lo
	global_store_b32 v[3:4], v11, off
	s_waitcnt lgkmcnt(0)
	v_add_nc_u32_e32 v14, 1, v14
	ds_store_b32 v5, v14 offset:8
.LBB206_25:                             ;   in Loop: Header=BB206_3 Depth=1
	s_or_b32 exec_lo, exec_lo, s0
.LBB206_26:                             ;   in Loop: Header=BB206_3 Depth=1
	s_and_not1_saveexec_b32 s0, s12
	s_cbranch_execz .LBB206_28
; %bb.27:                               ;   in Loop: Header=BB206_3 Depth=1
	ds_load_b32 v14, v5 offset:4
	v_lshlrev_b64 v[3:4], 2, v[1:2]
	s_delay_alu instid0(VALU_DEP_1) | instskip(NEXT) | instid1(VALU_DEP_2)
	v_add_co_u32 v3, vcc_lo, s8, v3
	v_add_co_ci_u32_e32 v4, vcc_lo, s9, v4, vcc_lo
	global_store_b32 v[3:4], v12, off
	s_waitcnt lgkmcnt(0)
	v_add_nc_u32_e32 v14, 1, v14
	ds_store_b32 v5, v14 offset:4
.LBB206_28:                             ;   in Loop: Header=BB206_3 Depth=1
	s_or_b32 exec_lo, exec_lo, s0
.LBB206_29:                             ;   in Loop: Header=BB206_3 Depth=1
	s_and_not1_saveexec_b32 s0, s11
	s_cbranch_execz .LBB206_2
; %bb.30:                               ;   in Loop: Header=BB206_3 Depth=1
	ds_load_b32 v4, v5
	v_lshlrev_b64 v[2:3], 2, v[1:2]
	s_delay_alu instid0(VALU_DEP_1) | instskip(NEXT) | instid1(VALU_DEP_2)
	v_add_co_u32 v2, vcc_lo, s8, v2
	v_add_co_ci_u32_e32 v3, vcc_lo, s9, v3, vcc_lo
	global_store_b32 v[2:3], v13, off
	s_waitcnt lgkmcnt(0)
	v_add_nc_u32_e32 v4, 1, v4
	ds_store_b32 v5, v4
	s_branch .LBB206_2
.LBB206_31:
	s_or_b32 exec_lo, exec_lo, s5
	s_delay_alu instid0(SALU_CYCLE_1)
	s_mov_b32 s0, exec_lo
	s_waitcnt lgkmcnt(0)
	s_waitcnt_vscnt null, 0x0
	s_barrier
	buffer_gl0_inv
	s_barrier
	buffer_gl0_inv
	;; [unrolled: 2-line block ×3, first 2 shown]
	v_cmpx_gt_u32_e32 0x80, v0
	s_cbranch_execz .LBB206_33
; %bb.32:
	ds_load_b128 v[1:4], v5 offset:4096
	ds_load_b128 v[6:9], v5
	ds_load_b128 v[10:13], v5 offset:16
	ds_load_b128 v[14:17], v5 offset:4112
	s_waitcnt lgkmcnt(2)
	v_add_nc_u32_e32 v1, v6, v1
	v_add_nc_u32_e32 v2, v7, v2
	v_add_nc_u32_e32 v3, v8, v3
	v_add_nc_u32_e32 v4, v9, v4
	s_waitcnt lgkmcnt(0)
	v_add_nc_u32_e32 v6, v10, v14
	v_add_nc_u32_e32 v7, v11, v15
	v_add_nc_u32_e32 v8, v12, v16
	v_add_nc_u32_e32 v9, v13, v17
	ds_store_b128 v5, v[1:4]
	ds_store_b128 v5, v[6:9] offset:16
.LBB206_33:
	s_or_b32 exec_lo, exec_lo, s0
	s_delay_alu instid0(SALU_CYCLE_1)
	s_mov_b32 s0, exec_lo
	s_waitcnt lgkmcnt(0)
	s_barrier
	buffer_gl0_inv
	v_cmpx_gt_u32_e32 64, v0
	s_cbranch_execz .LBB206_35
; %bb.34:
	ds_load_b128 v[1:4], v5 offset:2048
	ds_load_b128 v[6:9], v5
	ds_load_b128 v[10:13], v5 offset:16
	ds_load_b128 v[14:17], v5 offset:2064
	s_waitcnt lgkmcnt(2)
	v_add_nc_u32_e32 v1, v6, v1
	v_add_nc_u32_e32 v2, v7, v2
	v_add_nc_u32_e32 v3, v8, v3
	v_add_nc_u32_e32 v4, v9, v4
	s_waitcnt lgkmcnt(0)
	v_add_nc_u32_e32 v6, v10, v14
	v_add_nc_u32_e32 v7, v11, v15
	v_add_nc_u32_e32 v8, v12, v16
	v_add_nc_u32_e32 v9, v13, v17
	ds_store_b128 v5, v[1:4]
	ds_store_b128 v5, v[6:9] offset:16
.LBB206_35:
	s_or_b32 exec_lo, exec_lo, s0
	s_delay_alu instid0(SALU_CYCLE_1)
	s_mov_b32 s0, exec_lo
	s_waitcnt lgkmcnt(0)
	s_barrier
	buffer_gl0_inv
	;; [unrolled: 26-line block ×3, first 2 shown]
	v_cmpx_gt_u32_e32 16, v0
	s_cbranch_execz .LBB206_39
; %bb.38:
	ds_load_b128 v[1:4], v5 offset:512
	ds_load_b128 v[6:9], v5
	ds_load_b128 v[10:13], v5 offset:16
	ds_load_b128 v[14:17], v5 offset:528
	s_waitcnt lgkmcnt(2)
	v_add_nc_u32_e32 v1, v6, v1
	v_add_nc_u32_e32 v2, v7, v2
	;; [unrolled: 1-line block ×4, first 2 shown]
	s_waitcnt lgkmcnt(0)
	v_add_nc_u32_e32 v6, v10, v14
	v_add_nc_u32_e32 v7, v11, v15
	;; [unrolled: 1-line block ×4, first 2 shown]
	ds_store_b128 v5, v[1:4]
	ds_store_b128 v5, v[6:9] offset:16
.LBB206_39:
	s_or_b32 exec_lo, exec_lo, s0
	v_cmp_gt_u32_e32 vcc_lo, 8, v0
	s_waitcnt lgkmcnt(0)
	s_barrier
	buffer_gl0_inv
	s_and_saveexec_b32 s0, vcc_lo
	s_cbranch_execz .LBB206_41
; %bb.40:
	ds_load_b128 v[1:4], v5 offset:256
	ds_load_b128 v[6:9], v5
	ds_load_b128 v[10:13], v5 offset:16
	ds_load_b128 v[14:17], v5 offset:272
	s_waitcnt lgkmcnt(2)
	v_add_nc_u32_e32 v1, v6, v1
	v_add_nc_u32_e32 v2, v7, v2
	;; [unrolled: 1-line block ×4, first 2 shown]
	s_waitcnt lgkmcnt(0)
	v_add_nc_u32_e32 v6, v10, v14
	v_add_nc_u32_e32 v7, v11, v15
	;; [unrolled: 1-line block ×4, first 2 shown]
	ds_store_b128 v5, v[1:4]
	ds_store_b128 v5, v[6:9] offset:16
.LBB206_41:
	s_or_b32 exec_lo, exec_lo, s0
	s_delay_alu instid0(SALU_CYCLE_1)
	s_mov_b32 s1, exec_lo
	s_waitcnt lgkmcnt(0)
	s_barrier
	buffer_gl0_inv
	v_cmpx_gt_u32_e32 4, v0
	s_cbranch_execz .LBB206_43
; %bb.42:
	ds_load_b128 v[1:4], v5 offset:128
	ds_load_b128 v[6:9], v5
	ds_load_b128 v[10:13], v5 offset:16
	ds_load_b128 v[14:17], v5 offset:144
	s_waitcnt lgkmcnt(2)
	v_add_nc_u32_e32 v1, v6, v1
	v_add_nc_u32_e32 v2, v7, v2
	;; [unrolled: 1-line block ×4, first 2 shown]
	s_waitcnt lgkmcnt(0)
	v_add_nc_u32_e32 v6, v10, v14
	v_add_nc_u32_e32 v7, v11, v15
	;; [unrolled: 1-line block ×4, first 2 shown]
	ds_store_b128 v5, v[1:4]
	ds_store_b128 v5, v[6:9] offset:16
.LBB206_43:
	s_or_b32 exec_lo, exec_lo, s1
	s_delay_alu instid0(SALU_CYCLE_1)
	s_mov_b32 s1, exec_lo
	s_waitcnt lgkmcnt(0)
	s_barrier
	buffer_gl0_inv
	v_cmpx_gt_u32_e32 2, v0
	s_cbranch_execz .LBB206_45
; %bb.44:
	ds_load_b128 v[1:4], v5 offset:64
	ds_load_b128 v[6:9], v5
	ds_load_b128 v[10:13], v5 offset:16
	ds_load_b128 v[14:17], v5 offset:80
	s_waitcnt lgkmcnt(2)
	v_add_nc_u32_e32 v1, v6, v1
	v_add_nc_u32_e32 v2, v7, v2
	;; [unrolled: 1-line block ×4, first 2 shown]
	s_waitcnt lgkmcnt(0)
	v_add_nc_u32_e32 v6, v10, v14
	v_add_nc_u32_e32 v7, v11, v15
	;; [unrolled: 1-line block ×4, first 2 shown]
	ds_store_b128 v5, v[1:4]
	ds_store_b128 v5, v[6:9] offset:16
.LBB206_45:
	s_or_b32 exec_lo, exec_lo, s1
	s_delay_alu instid0(SALU_CYCLE_1)
	s_mov_b32 s1, exec_lo
	s_waitcnt lgkmcnt(0)
	s_barrier
	buffer_gl0_inv
	v_cmpx_eq_u32_e32 0, v0
	s_cbranch_execz .LBB206_47
; %bb.46:
	v_mov_b32_e32 v17, 0
	ds_load_b128 v[1:4], v17 offset:32
	ds_load_b128 v[5:8], v17
	ds_load_b128 v[9:12], v17 offset:16
	ds_load_b128 v[13:16], v17 offset:48
	s_waitcnt lgkmcnt(2)
	v_add_nc_u32_e32 v2, v6, v2
	v_add_nc_u32_e32 v1, v5, v1
	;; [unrolled: 1-line block ×4, first 2 shown]
	s_waitcnt lgkmcnt(0)
	v_add_nc_u32_e32 v5, v9, v13
	v_add_nc_u32_e32 v6, v10, v14
	;; [unrolled: 1-line block ×4, first 2 shown]
	ds_store_b128 v17, v[1:4]
	ds_store_b128 v17, v[5:8] offset:16
.LBB206_47:
	s_or_b32 exec_lo, exec_lo, s1
	s_waitcnt lgkmcnt(0)
	s_barrier
	buffer_gl0_inv
	s_and_saveexec_b32 s0, vcc_lo
	s_cbranch_execz .LBB206_49
; %bb.48:
	v_lshlrev_b32_e32 v1, 2, v0
	v_lshl_or_b32 v0, s15, 3, v0
	ds_load_b32 v2, v1
	v_mov_b32_e32 v1, 0
	s_delay_alu instid0(VALU_DEP_1) | instskip(NEXT) | instid1(VALU_DEP_1)
	v_lshlrev_b64 v[0:1], 2, v[0:1]
	v_add_co_u32 v0, vcc_lo, s2, v0
	s_delay_alu instid0(VALU_DEP_2)
	v_add_co_ci_u32_e32 v1, vcc_lo, s3, v1, vcc_lo
	s_waitcnt lgkmcnt(0)
	global_store_b32 v[0:1], v2, off
.LBB206_49:
	s_nop 0
	s_sendmsg sendmsg(MSG_DEALLOC_VGPRS)
	s_endpgm
	.section	.rodata,"a",@progbits
	.p2align	6, 0x0
	.amdhsa_kernel _ZN9rocsparseL26bsrgemm_group_reduce_part2ILj256ELj8ELj8E21rocsparse_complex_numIfEliEEvT4_PKT3_PS3_Pi
		.amdhsa_group_segment_fixed_size 8192
		.amdhsa_private_segment_fixed_size 0
		.amdhsa_kernarg_size 288
		.amdhsa_user_sgpr_count 15
		.amdhsa_user_sgpr_dispatch_ptr 0
		.amdhsa_user_sgpr_queue_ptr 0
		.amdhsa_user_sgpr_kernarg_segment_ptr 1
		.amdhsa_user_sgpr_dispatch_id 0
		.amdhsa_user_sgpr_private_segment_size 0
		.amdhsa_wavefront_size32 1
		.amdhsa_uses_dynamic_stack 0
		.amdhsa_enable_private_segment 0
		.amdhsa_system_sgpr_workgroup_id_x 1
		.amdhsa_system_sgpr_workgroup_id_y 0
		.amdhsa_system_sgpr_workgroup_id_z 0
		.amdhsa_system_sgpr_workgroup_info 0
		.amdhsa_system_vgpr_workitem_id 0
		.amdhsa_next_free_vgpr 18
		.amdhsa_next_free_sgpr 18
		.amdhsa_reserve_vcc 1
		.amdhsa_float_round_mode_32 0
		.amdhsa_float_round_mode_16_64 0
		.amdhsa_float_denorm_mode_32 3
		.amdhsa_float_denorm_mode_16_64 3
		.amdhsa_dx10_clamp 1
		.amdhsa_ieee_mode 1
		.amdhsa_fp16_overflow 0
		.amdhsa_workgroup_processor_mode 1
		.amdhsa_memory_ordered 1
		.amdhsa_forward_progress 0
		.amdhsa_shared_vgpr_count 0
		.amdhsa_exception_fp_ieee_invalid_op 0
		.amdhsa_exception_fp_denorm_src 0
		.amdhsa_exception_fp_ieee_div_zero 0
		.amdhsa_exception_fp_ieee_overflow 0
		.amdhsa_exception_fp_ieee_underflow 0
		.amdhsa_exception_fp_ieee_inexact 0
		.amdhsa_exception_int_div_zero 0
	.end_amdhsa_kernel
	.section	.text._ZN9rocsparseL26bsrgemm_group_reduce_part2ILj256ELj8ELj8E21rocsparse_complex_numIfEliEEvT4_PKT3_PS3_Pi,"axG",@progbits,_ZN9rocsparseL26bsrgemm_group_reduce_part2ILj256ELj8ELj8E21rocsparse_complex_numIfEliEEvT4_PKT3_PS3_Pi,comdat
.Lfunc_end206:
	.size	_ZN9rocsparseL26bsrgemm_group_reduce_part2ILj256ELj8ELj8E21rocsparse_complex_numIfEliEEvT4_PKT3_PS3_Pi, .Lfunc_end206-_ZN9rocsparseL26bsrgemm_group_reduce_part2ILj256ELj8ELj8E21rocsparse_complex_numIfEliEEvT4_PKT3_PS3_Pi
                                        ; -- End function
	.section	.AMDGPU.csdata,"",@progbits
; Kernel info:
; codeLenInByte = 2032
; NumSgprs: 20
; NumVgprs: 18
; ScratchSize: 0
; MemoryBound: 0
; FloatMode: 240
; IeeeMode: 1
; LDSByteSize: 8192 bytes/workgroup (compile time only)
; SGPRBlocks: 2
; VGPRBlocks: 2
; NumSGPRsForWavesPerEU: 20
; NumVGPRsForWavesPerEU: 18
; Occupancy: 16
; WaveLimiterHint : 0
; COMPUTE_PGM_RSRC2:SCRATCH_EN: 0
; COMPUTE_PGM_RSRC2:USER_SGPR: 15
; COMPUTE_PGM_RSRC2:TRAP_HANDLER: 0
; COMPUTE_PGM_RSRC2:TGID_X_EN: 1
; COMPUTE_PGM_RSRC2:TGID_Y_EN: 0
; COMPUTE_PGM_RSRC2:TGID_Z_EN: 0
; COMPUTE_PGM_RSRC2:TIDIG_COMP_CNT: 0
	.section	.text._ZN9rocsparseL27bsrgemm_fill_wf_per_row_2x2ILj256ELj16ELj8ELj137Eli21rocsparse_complex_numIfEEEv20rocsparse_direction_T4_S4_PKS4_S6_NS_24const_host_device_scalarIT5_EEPKT3_S6_PKS8_SC_S6_SE_S9_SC_S6_SE_SC_PS4_PS8_21rocsparse_index_base_SH_SH_SH_bbb,"axG",@progbits,_ZN9rocsparseL27bsrgemm_fill_wf_per_row_2x2ILj256ELj16ELj8ELj137Eli21rocsparse_complex_numIfEEEv20rocsparse_direction_T4_S4_PKS4_S6_NS_24const_host_device_scalarIT5_EEPKT3_S6_PKS8_SC_S6_SE_S9_SC_S6_SE_SC_PS4_PS8_21rocsparse_index_base_SH_SH_SH_bbb,comdat
	.globl	_ZN9rocsparseL27bsrgemm_fill_wf_per_row_2x2ILj256ELj16ELj8ELj137Eli21rocsparse_complex_numIfEEEv20rocsparse_direction_T4_S4_PKS4_S6_NS_24const_host_device_scalarIT5_EEPKT3_S6_PKS8_SC_S6_SE_S9_SC_S6_SE_SC_PS4_PS8_21rocsparse_index_base_SH_SH_SH_bbb ; -- Begin function _ZN9rocsparseL27bsrgemm_fill_wf_per_row_2x2ILj256ELj16ELj8ELj137Eli21rocsparse_complex_numIfEEEv20rocsparse_direction_T4_S4_PKS4_S6_NS_24const_host_device_scalarIT5_EEPKT3_S6_PKS8_SC_S6_SE_S9_SC_S6_SE_SC_PS4_PS8_21rocsparse_index_base_SH_SH_SH_bbb
	.p2align	8
	.type	_ZN9rocsparseL27bsrgemm_fill_wf_per_row_2x2ILj256ELj16ELj8ELj137Eli21rocsparse_complex_numIfEEEv20rocsparse_direction_T4_S4_PKS4_S6_NS_24const_host_device_scalarIT5_EEPKT3_S6_PKS8_SC_S6_SE_S9_SC_S6_SE_SC_PS4_PS8_21rocsparse_index_base_SH_SH_SH_bbb,@function
_ZN9rocsparseL27bsrgemm_fill_wf_per_row_2x2ILj256ELj16ELj8ELj137Eli21rocsparse_complex_numIfEEEv20rocsparse_direction_T4_S4_PKS4_S6_NS_24const_host_device_scalarIT5_EEPKT3_S6_PKS8_SC_S6_SE_S9_SC_S6_SE_SC_PS4_PS8_21rocsparse_index_base_SH_SH_SH_bbb: ; @_ZN9rocsparseL27bsrgemm_fill_wf_per_row_2x2ILj256ELj16ELj8ELj137Eli21rocsparse_complex_numIfEEEv20rocsparse_direction_T4_S4_PKS4_S6_NS_24const_host_device_scalarIT5_EEPKT3_S6_PKS8_SC_S6_SE_S9_SC_S6_SE_SC_PS4_PS8_21rocsparse_index_base_SH_SH_SH_bbb
; %bb.0:
	s_clause 0x6
	s_load_b32 s14, s[0:1], 0xa0
	s_load_b256 s[4:11], s[0:1], 0x68
	s_load_b256 s[16:23], s[0:1], 0x48
	s_load_b128 s[44:47], s[0:1], 0x10
	s_load_b256 s[24:31], s[0:1], 0x28
	s_load_b64 s[2:3], s[0:1], 0x88
	s_load_b128 s[36:39], s[0:1], 0x90
	s_mov_b32 s13, 0
	s_mov_b32 s33, 0
	s_waitcnt lgkmcnt(0)
	s_bitcmp1_b32 s14, 0
	s_cselect_b32 s35, -1, 0
	s_bitcmp1_b32 s14, 16
	s_cselect_b32 s12, -1, 0
	s_delay_alu instid0(SALU_CYCLE_1) | instskip(SKIP_2) | instid1(VALU_DEP_1)
	s_xor_b32 s34, s12, -1
	s_bitcmp0_b32 s14, 0
	v_cndmask_b32_e64 v1, 0, 1, s34
	v_cmp_ne_u32_e32 vcc_lo, 1, v1
	s_cbranch_scc1 .LBB207_5
; %bb.1:
	s_load_b64 s[12:13], s[0:1], 0x20
	s_and_b32 vcc_lo, exec_lo, vcc_lo
	s_waitcnt lgkmcnt(0)
	s_mov_b32 s33, s12
	s_cbranch_vccnz .LBB207_3
; %bb.2:
	s_load_b32 s33, s[12:13], 0x0
.LBB207_3:
	s_and_not1_b32 vcc_lo, exec_lo, s34
	s_cbranch_vccnz .LBB207_5
; %bb.4:
	s_load_b32 s13, s[12:13], 0x4
.LBB207_5:
	s_bitcmp1_b32 s14, 8
	s_cselect_b32 s34, -1, 0
	s_bfe_u32 s12, s14, 0x10008
	s_mov_b32 s14, 0
	s_cmp_eq_u32 s12, 0
	s_mov_b32 s12, 0
	s_cbranch_scc1 .LBB207_11
; %bb.6:
	v_cmp_ne_u32_e32 vcc_lo, 1, v1
	s_mov_b32 s12, s20
	s_cbranch_vccnz .LBB207_8
; %bb.7:
	s_load_b32 s12, s[20:21], 0x0
.LBB207_8:
	v_cmp_ne_u32_e32 vcc_lo, 1, v1
	s_cbranch_vccnz .LBB207_10
; %bb.9:
	s_load_b32 s21, s[20:21], 0x4
.LBB207_10:
	s_waitcnt lgkmcnt(0)
	s_mov_b32 s14, s21
.LBB207_11:
	s_load_b128 s[40:43], s[0:1], 0x0
	v_lshrrev_b32_e32 v2, 4, v0
	v_and_b32_e32 v19, 15, v0
	s_delay_alu instid0(VALU_DEP_2) | instskip(NEXT) | instid1(VALU_DEP_2)
	v_lshl_or_b32 v18, v2, 5, 0x1000
	v_cmp_gt_u32_e64 s0, 8, v19
	s_delay_alu instid0(VALU_DEP_1)
	s_and_saveexec_b32 s1, s0
	s_cbranch_execz .LBB207_13
; %bb.12:
	s_delay_alu instid0(VALU_DEP_2)
	v_lshl_add_u32 v0, v19, 2, v18
	s_waitcnt lgkmcnt(0)
	v_mov_b32_e32 v1, s42
	ds_store_b32 v0, v1
.LBB207_13:
	s_or_b32 exec_lo, exec_lo, s1
	v_dual_mov_b32 v0, 0 :: v_dual_lshlrev_b32 v1, 3, v19
	v_or_b32_e32 v3, -16, v19
	s_mov_b32 s1, 0
	s_delay_alu instid0(VALU_DEP_2) | instskip(NEXT) | instid1(VALU_DEP_3)
	v_lshl_or_b32 v4, v2, 8, v1
	v_mov_b32_e32 v1, v0
.LBB207_14:                             ; =>This Inner Loop Header: Depth=1
	s_delay_alu instid0(VALU_DEP_3) | instskip(NEXT) | instid1(VALU_DEP_1)
	v_add_co_u32 v3, s20, v3, 16
	s_xor_b32 s20, s20, -1
	ds_store_b64 v4, v[0:1]
	v_add_nc_u32_e32 v4, 0x80, v4
	s_and_b32 s20, exec_lo, s20
	s_delay_alu instid0(SALU_CYCLE_1) | instskip(NEXT) | instid1(SALU_CYCLE_1)
	s_or_b32 s1, s20, s1
	s_and_not1_b32 exec_lo, exec_lo, s1
	s_cbranch_execnz .LBB207_14
; %bb.15:
	s_or_b32 exec_lo, exec_lo, s1
	v_lshl_or_b32 v4, s15, 4, v2
	s_waitcnt lgkmcnt(0)
	s_barrier
	buffer_gl0_inv
	s_mov_b32 s1, exec_lo
	v_cmpx_gt_i32_e64 s41, v4
	s_cbranch_execz .LBB207_21
; %bb.16:
	s_cmp_eq_u64 s[46:47], 0
	s_cbranch_scc1 .LBB207_18
; %bb.17:
	s_load_b32 s1, s[44:45], 0x0
	s_waitcnt lgkmcnt(0)
	v_add_nc_u32_e32 v0, s1, v4
	s_delay_alu instid0(VALU_DEP_1) | instskip(NEXT) | instid1(VALU_DEP_1)
	v_ashrrev_i32_e32 v1, 31, v0
	v_lshlrev_b64 v[0:1], 2, v[0:1]
	s_delay_alu instid0(VALU_DEP_1) | instskip(NEXT) | instid1(VALU_DEP_2)
	v_add_co_u32 v0, vcc_lo, s46, v0
	v_add_co_ci_u32_e32 v1, vcc_lo, s47, v1, vcc_lo
	global_load_b32 v4, v[0:1], off
.LBB207_18:
	v_lshlrev_b32_e32 v20, 8, v2
	s_waitcnt vmcnt(0)
	v_ashrrev_i32_e32 v5, 31, v4
	s_and_not1_b32 vcc_lo, exec_lo, s35
	s_cbranch_vccz .LBB207_22
; %bb.19:
	s_and_not1_b32 vcc_lo, exec_lo, s34
	buffer_gl0_inv
	s_cbranch_vccz .LBB207_77
.LBB207_20:
	buffer_gl0_inv
	s_and_b32 exec_lo, exec_lo, s0
	s_cbranch_execnz .LBB207_129
.LBB207_21:
	s_endpgm
.LBB207_22:
	s_delay_alu instid0(VALU_DEP_1) | instskip(SKIP_1) | instid1(VALU_DEP_1)
	v_lshlrev_b64 v[0:1], 3, v[4:5]
	v_sub_co_u32 v8, s1, v19, s36
	v_sub_co_ci_u32_e64 v9, null, 0, 0, s1
	s_mov_b32 s15, 0
	s_delay_alu instid0(VALU_DEP_3) | instskip(NEXT) | instid1(VALU_DEP_4)
	v_add_co_u32 v0, vcc_lo, s24, v0
	v_add_co_ci_u32_e32 v1, vcc_lo, s25, v1, vcc_lo
	s_mov_b32 s1, exec_lo
	global_load_b128 v[0:3], v[0:1], off
	s_waitcnt vmcnt(0)
	v_sub_co_u32 v6, vcc_lo, v2, s36
	v_subrev_co_ci_u32_e32 v7, vcc_lo, 0, v3, vcc_lo
	v_add_co_u32 v8, vcc_lo, v0, v8
	v_add_co_ci_u32_e32 v9, vcc_lo, v1, v9, vcc_lo
	s_delay_alu instid0(VALU_DEP_1)
	v_cmpx_lt_i64_e64 v[8:9], v[6:7]
	s_cbranch_execz .LBB207_76
; %bb.23:
	v_add_nc_u32_e32 v21, 8, v20
	v_add_nc_u32_e32 v22, 16, v20
	;; [unrolled: 1-line block ×3, first 2 shown]
	s_cmp_eq_u32 s40, 0
	s_mov_b32 s20, s37
	s_cselect_b32 s21, 2, 1
	s_cselect_b32 s24, 1, 2
	s_branch .LBB207_25
.LBB207_24:                             ;   in Loop: Header=BB207_25 Depth=1
	s_or_b32 exec_lo, exec_lo, s25
	v_add_co_u32 v8, vcc_lo, v8, 16
	v_add_co_ci_u32_e32 v9, vcc_lo, 0, v9, vcc_lo
	s_delay_alu instid0(VALU_DEP_1) | instskip(SKIP_1) | instid1(SALU_CYCLE_1)
	v_cmp_ge_i64_e32 vcc_lo, v[8:9], v[6:7]
	s_or_b32 s15, vcc_lo, s15
	s_and_not1_b32 exec_lo, exec_lo, s15
	s_cbranch_execz .LBB207_76
.LBB207_25:                             ; =>This Loop Header: Depth=1
                                        ;     Child Loop BB207_28 Depth 2
                                        ;       Child Loop BB207_30 Depth 3
                                        ;       Child Loop BB207_42 Depth 3
	;; [unrolled: 1-line block ×4, first 2 shown]
	v_lshlrev_b64 v[10:11], 2, v[8:9]
	s_mov_b32 s25, exec_lo
	s_delay_alu instid0(VALU_DEP_1) | instskip(NEXT) | instid1(VALU_DEP_2)
	v_add_co_u32 v0, vcc_lo, s26, v10
	v_add_co_ci_u32_e32 v1, vcc_lo, s27, v11, vcc_lo
	global_load_b32 v0, v[0:1], off
	s_waitcnt vmcnt(0)
	v_subrev_nc_u32_e32 v0, s36, v0
	s_delay_alu instid0(VALU_DEP_1) | instskip(NEXT) | instid1(VALU_DEP_1)
	v_ashrrev_i32_e32 v1, 31, v0
	v_lshlrev_b64 v[0:1], 3, v[0:1]
	s_delay_alu instid0(VALU_DEP_1) | instskip(NEXT) | instid1(VALU_DEP_2)
	v_add_co_u32 v0, vcc_lo, s30, v0
	v_add_co_ci_u32_e32 v1, vcc_lo, s31, v1, vcc_lo
	global_load_b128 v[0:3], v[0:1], off
	s_waitcnt vmcnt(0)
	v_cmpx_lt_i64_e64 v[0:1], v[2:3]
	s_cbranch_execz .LBB207_24
; %bb.26:                               ;   in Loop: Header=BB207_25 Depth=1
	v_or_b32_e32 v15, 0, v11
	v_or_b32_e32 v14, s21, v10
	v_lshlrev_b64 v[12:13], 5, v[8:9]
	v_or_b32_e32 v11, 0, v11
	v_or_b32_e32 v10, s24, v10
	s_mov_b32 s35, 0
	v_lshlrev_b64 v[14:15], 3, v[14:15]
	s_delay_alu instid0(VALU_DEP_4) | instskip(NEXT) | instid1(VALU_DEP_3)
	v_add_co_u32 v12, vcc_lo, s28, v12
	v_lshlrev_b64 v[10:11], 3, v[10:11]
	v_add_co_ci_u32_e32 v13, vcc_lo, s29, v13, vcc_lo
	s_delay_alu instid0(VALU_DEP_4) | instskip(SKIP_1) | instid1(VALU_DEP_4)
	v_add_co_u32 v14, vcc_lo, s28, v14
	v_add_co_ci_u32_e32 v15, vcc_lo, s29, v15, vcc_lo
	v_add_co_u32 v10, vcc_lo, s28, v10
	v_add_co_ci_u32_e32 v11, vcc_lo, s29, v11, vcc_lo
	s_clause 0x3
	global_load_b64 v[16:17], v[12:13], off
	global_load_b64 v[14:15], v[14:15], off
	;; [unrolled: 1-line block ×3, first 2 shown]
	global_load_b64 v[12:13], v[12:13], off offset:24
	v_sub_co_u32 v2, vcc_lo, v2, s20
	v_subrev_co_ci_u32_e32 v3, vcc_lo, 0, v3, vcc_lo
	v_sub_co_u32 v0, vcc_lo, v0, s20
	v_subrev_co_ci_u32_e32 v1, vcc_lo, 0, v1, vcc_lo
	s_waitcnt vmcnt(3)
	v_mul_f32_e64 v24, v17, -s13
	v_mul_f32_e32 v25, s33, v17
	s_waitcnt vmcnt(2)
	v_mul_f32_e64 v26, v15, -s13
	s_waitcnt vmcnt(0)
	v_dual_mul_f32 v27, s33, v15 :: v_dual_mul_f32 v28, s33, v13
	v_fmac_f32_e32 v24, s33, v16
	v_fmac_f32_e32 v25, s13, v16
	v_mul_f32_e64 v29, v13, -s13
	v_mul_f32_e64 v31, v11, -s13
	v_fmac_f32_e32 v26, s33, v14
	v_dual_mul_f32 v30, s33, v11 :: v_dual_fmac_f32 v27, s13, v14
	s_delay_alu instid0(VALU_DEP_3) | instskip(NEXT) | instid1(VALU_DEP_2)
	v_dual_fmac_f32 v28, s13, v12 :: v_dual_fmac_f32 v31, s33, v10
	v_dual_fmac_f32 v29, s33, v12 :: v_dual_fmac_f32 v30, s13, v10
	s_branch .LBB207_28
.LBB207_27:                             ;   in Loop: Header=BB207_28 Depth=2
	s_or_b32 exec_lo, exec_lo, s41
	v_add_co_u32 v0, vcc_lo, v0, 1
	v_add_co_ci_u32_e32 v1, vcc_lo, 0, v1, vcc_lo
	s_delay_alu instid0(VALU_DEP_1) | instskip(SKIP_1) | instid1(SALU_CYCLE_1)
	v_cmp_ge_i64_e32 vcc_lo, v[0:1], v[2:3]
	s_or_b32 s35, vcc_lo, s35
	s_and_not1_b32 exec_lo, exec_lo, s35
	s_cbranch_execz .LBB207_24
.LBB207_28:                             ;   Parent Loop BB207_25 Depth=1
                                        ; =>  This Loop Header: Depth=2
                                        ;       Child Loop BB207_30 Depth 3
                                        ;       Child Loop BB207_42 Depth 3
	;; [unrolled: 1-line block ×4, first 2 shown]
	v_lshlrev_b64 v[10:11], 2, v[0:1]
	v_lshlrev_b64 v[32:33], 5, v[0:1]
	s_mov_b32 s41, 0
	s_delay_alu instid0(VALU_DEP_2) | instskip(NEXT) | instid1(VALU_DEP_3)
	v_or_b32_e32 v13, 0, v11
	v_or_b32_e32 v12, s21, v10
	;; [unrolled: 1-line block ×4, first 2 shown]
	s_delay_alu instid0(VALU_DEP_3) | instskip(NEXT) | instid1(VALU_DEP_1)
	v_lshlrev_b64 v[12:13], 3, v[12:13]
	v_add_co_u32 v12, vcc_lo, s18, v12
	s_delay_alu instid0(VALU_DEP_2)
	v_add_co_ci_u32_e32 v13, vcc_lo, s19, v13, vcc_lo
	v_add_co_u32 v10, vcc_lo, s16, v10
	v_add_co_ci_u32_e32 v11, vcc_lo, s17, v11, vcc_lo
	global_load_b64 v[16:17], v[12:13], off
	v_add_co_u32 v12, vcc_lo, s18, v32
	v_add_co_ci_u32_e32 v13, vcc_lo, s19, v33, vcc_lo
	global_load_b32 v32, v[10:11], off
	v_lshlrev_b64 v[10:11], 3, v[14:15]
	global_load_b64 v[14:15], v[12:13], off
	v_add_co_u32 v10, vcc_lo, s18, v10
	v_add_co_ci_u32_e32 v11, vcc_lo, s19, v11, vcc_lo
	s_clause 0x1
	global_load_b64 v[10:11], v[10:11], off
	global_load_b64 v[12:13], v[12:13], off offset:24
	s_waitcnt vmcnt(4)
	v_mul_f32_e64 v35, v17, -v30
	s_waitcnt vmcnt(3)
	v_subrev_nc_u32_e32 v32, s37, v32
	s_delay_alu instid0(VALU_DEP_2) | instskip(SKIP_1) | instid1(VALU_DEP_1)
	v_fmac_f32_e32 v35, v31, v16
	s_waitcnt vmcnt(2)
	v_dual_mul_f32 v34, v31, v17 :: v_dual_fmac_f32 v35, v24, v14
	s_delay_alu instid0(VALU_DEP_1) | instskip(NEXT) | instid1(VALU_DEP_2)
	v_fmac_f32_e32 v34, v30, v16
	v_fma_f32 v35, -v25, v15, v35
	s_delay_alu instid0(VALU_DEP_2) | instskip(NEXT) | instid1(VALU_DEP_1)
	v_dual_fmac_f32 v34, v25, v14 :: v_dual_and_b32 v33, 7, v32
	v_fmac_f32_e32 v34, v24, v15
	s_delay_alu instid0(VALU_DEP_2)
	v_mov_b32_e32 v36, v33
	s_branch .LBB207_30
.LBB207_29:                             ;   in Loop: Header=BB207_30 Depth=3
	s_or_b32 exec_lo, exec_lo, s43
	s_xor_b32 s43, s44, -1
	s_delay_alu instid0(SALU_CYCLE_1) | instskip(NEXT) | instid1(SALU_CYCLE_1)
	s_and_b32 s43, exec_lo, s43
	s_or_b32 s41, s43, s41
	s_delay_alu instid0(SALU_CYCLE_1)
	s_and_not1_b32 exec_lo, exec_lo, s41
	s_cbranch_execz .LBB207_40
.LBB207_30:                             ;   Parent Loop BB207_25 Depth=1
                                        ;     Parent Loop BB207_28 Depth=2
                                        ; =>    This Inner Loop Header: Depth=3
	s_delay_alu instid0(VALU_DEP_1)
	v_lshl_add_u32 v37, v36, 2, v18
	s_mov_b32 s43, exec_lo
                                        ; implicit-def: $sgpr44
	ds_load_b32 v38, v37
	s_waitcnt lgkmcnt(0)
	v_cmpx_ne_u32_e64 v38, v32
	s_xor_b32 s43, exec_lo, s43
	s_cbranch_execz .LBB207_38
; %bb.31:                               ;   in Loop: Header=BB207_30 Depth=3
	s_mov_b32 s45, exec_lo
                                        ; implicit-def: $sgpr44
	v_cmpx_ne_u32_e64 s42, v38
	s_xor_b32 s45, exec_lo, s45
; %bb.32:                               ;   in Loop: Header=BB207_30 Depth=3
	v_add_nc_u32_e32 v36, 1, v36
	s_mov_b32 s44, -1
                                        ; implicit-def: $vgpr37
	s_delay_alu instid0(VALU_DEP_1)
	v_and_b32_e32 v36, 7, v36
; %bb.33:                               ;   in Loop: Header=BB207_30 Depth=3
	s_and_not1_saveexec_b32 s45, s45
	s_cbranch_execz .LBB207_37
; %bb.34:                               ;   in Loop: Header=BB207_30 Depth=3
	v_mov_b32_e32 v38, s42
	s_mov_b32 s46, -1
	s_mov_b32 s47, exec_lo
	ds_cmpstore_rtn_b32 v37, v37, v32, v38
	s_waitcnt lgkmcnt(0)
	v_cmpx_eq_u32_e64 s42, v37
	s_cbranch_execz .LBB207_36
; %bb.35:                               ;   in Loop: Header=BB207_30 Depth=3
	v_lshl_add_u32 v37, v36, 5, v20
	s_xor_b32 s46, exec_lo, -1
	ds_add_f32 v37, v35
	ds_add_f32 v37, v34 offset:4
.LBB207_36:                             ;   in Loop: Header=BB207_30 Depth=3
	s_or_b32 exec_lo, exec_lo, s47
	s_delay_alu instid0(SALU_CYCLE_1) | instskip(SKIP_1) | instid1(SALU_CYCLE_1)
	s_and_not1_b32 s44, s44, exec_lo
	s_and_b32 s46, s46, exec_lo
	s_or_b32 s44, s44, s46
.LBB207_37:                             ;   in Loop: Header=BB207_30 Depth=3
	s_or_b32 exec_lo, exec_lo, s45
	s_delay_alu instid0(SALU_CYCLE_1)
	s_and_b32 s44, s44, exec_lo
.LBB207_38:                             ;   in Loop: Header=BB207_30 Depth=3
	s_and_not1_saveexec_b32 s43, s43
	s_cbranch_execz .LBB207_29
; %bb.39:                               ;   in Loop: Header=BB207_30 Depth=3
	v_lshl_add_u32 v37, v36, 5, v20
	s_and_not1_b32 s44, s44, exec_lo
	ds_add_f32 v37, v35
	ds_add_f32 v37, v34 offset:4
	s_branch .LBB207_29
.LBB207_40:                             ;   in Loop: Header=BB207_28 Depth=2
	s_or_b32 exec_lo, exec_lo, s41
	s_waitcnt vmcnt(0)
	v_mul_f32_e64 v35, v13, -v30
	v_mov_b32_e32 v36, v33
	s_mov_b32 s41, 0
	s_delay_alu instid0(VALU_DEP_2) | instskip(NEXT) | instid1(VALU_DEP_1)
	v_fmac_f32_e32 v35, v31, v12
	v_dual_mul_f32 v34, v31, v13 :: v_dual_fmac_f32 v35, v24, v10
	s_delay_alu instid0(VALU_DEP_1) | instskip(NEXT) | instid1(VALU_DEP_2)
	v_fmac_f32_e32 v34, v30, v12
	v_fma_f32 v35, -v25, v11, v35
	s_delay_alu instid0(VALU_DEP_2) | instskip(NEXT) | instid1(VALU_DEP_1)
	v_fmac_f32_e32 v34, v25, v10
	v_fmac_f32_e32 v34, v24, v11
	s_branch .LBB207_42
.LBB207_41:                             ;   in Loop: Header=BB207_42 Depth=3
	s_or_b32 exec_lo, exec_lo, s43
	s_xor_b32 s43, s44, -1
	s_delay_alu instid0(SALU_CYCLE_1) | instskip(NEXT) | instid1(SALU_CYCLE_1)
	s_and_b32 s43, exec_lo, s43
	s_or_b32 s41, s43, s41
	s_delay_alu instid0(SALU_CYCLE_1)
	s_and_not1_b32 exec_lo, exec_lo, s41
	s_cbranch_execz .LBB207_52
.LBB207_42:                             ;   Parent Loop BB207_25 Depth=1
                                        ;     Parent Loop BB207_28 Depth=2
                                        ; =>    This Inner Loop Header: Depth=3
	v_lshl_add_u32 v37, v36, 2, v18
	s_mov_b32 s43, exec_lo
                                        ; implicit-def: $sgpr44
	ds_load_b32 v38, v37
	s_waitcnt lgkmcnt(0)
	v_cmpx_ne_u32_e64 v38, v32
	s_xor_b32 s43, exec_lo, s43
	s_cbranch_execz .LBB207_50
; %bb.43:                               ;   in Loop: Header=BB207_42 Depth=3
	s_mov_b32 s45, exec_lo
                                        ; implicit-def: $sgpr44
	v_cmpx_ne_u32_e64 s42, v38
	s_xor_b32 s45, exec_lo, s45
; %bb.44:                               ;   in Loop: Header=BB207_42 Depth=3
	v_add_nc_u32_e32 v36, 1, v36
	s_mov_b32 s44, -1
                                        ; implicit-def: $vgpr37
	s_delay_alu instid0(VALU_DEP_1)
	v_and_b32_e32 v36, 7, v36
; %bb.45:                               ;   in Loop: Header=BB207_42 Depth=3
	s_and_not1_saveexec_b32 s45, s45
	s_cbranch_execz .LBB207_49
; %bb.46:                               ;   in Loop: Header=BB207_42 Depth=3
	v_mov_b32_e32 v38, s42
	s_mov_b32 s46, -1
	s_mov_b32 s47, exec_lo
	ds_cmpstore_rtn_b32 v37, v37, v32, v38
	s_waitcnt lgkmcnt(0)
	v_cmpx_eq_u32_e64 s42, v37
	s_cbranch_execz .LBB207_48
; %bb.47:                               ;   in Loop: Header=BB207_42 Depth=3
	v_lshl_add_u32 v37, v36, 5, v21
	s_xor_b32 s46, exec_lo, -1
	ds_add_f32 v37, v35
	ds_add_f32 v37, v34 offset:4
.LBB207_48:                             ;   in Loop: Header=BB207_42 Depth=3
	s_or_b32 exec_lo, exec_lo, s47
	s_delay_alu instid0(SALU_CYCLE_1) | instskip(SKIP_1) | instid1(SALU_CYCLE_1)
	s_and_not1_b32 s44, s44, exec_lo
	s_and_b32 s46, s46, exec_lo
	s_or_b32 s44, s44, s46
.LBB207_49:                             ;   in Loop: Header=BB207_42 Depth=3
	s_or_b32 exec_lo, exec_lo, s45
	s_delay_alu instid0(SALU_CYCLE_1)
	s_and_b32 s44, s44, exec_lo
.LBB207_50:                             ;   in Loop: Header=BB207_42 Depth=3
	s_and_not1_saveexec_b32 s43, s43
	s_cbranch_execz .LBB207_41
; %bb.51:                               ;   in Loop: Header=BB207_42 Depth=3
	v_lshl_add_u32 v37, v36, 5, v21
	s_and_not1_b32 s44, s44, exec_lo
	ds_add_f32 v37, v35
	ds_add_f32 v37, v34 offset:4
	s_branch .LBB207_41
.LBB207_52:                             ;   in Loop: Header=BB207_28 Depth=2
	s_or_b32 exec_lo, exec_lo, s41
	v_mul_f32_e64 v34, v17, -v28
	s_mov_b32 s41, 0
	s_delay_alu instid0(VALU_DEP_1) | instskip(NEXT) | instid1(VALU_DEP_1)
	v_fmac_f32_e32 v34, v29, v16
	v_dual_mul_f32 v17, v29, v17 :: v_dual_fmac_f32 v34, v26, v14
	s_delay_alu instid0(VALU_DEP_1) | instskip(NEXT) | instid1(VALU_DEP_1)
	v_fmac_f32_e32 v17, v28, v16
	v_fmac_f32_e32 v17, v27, v14
	s_delay_alu instid0(VALU_DEP_3) | instskip(NEXT) | instid1(VALU_DEP_2)
	v_fma_f32 v14, -v27, v15, v34
	v_fmac_f32_e32 v17, v26, v15
	v_mov_b32_e32 v15, v33
	s_branch .LBB207_54
.LBB207_53:                             ;   in Loop: Header=BB207_54 Depth=3
	s_or_b32 exec_lo, exec_lo, s43
	s_xor_b32 s43, s44, -1
	s_delay_alu instid0(SALU_CYCLE_1) | instskip(NEXT) | instid1(SALU_CYCLE_1)
	s_and_b32 s43, exec_lo, s43
	s_or_b32 s41, s43, s41
	s_delay_alu instid0(SALU_CYCLE_1)
	s_and_not1_b32 exec_lo, exec_lo, s41
	s_cbranch_execz .LBB207_64
.LBB207_54:                             ;   Parent Loop BB207_25 Depth=1
                                        ;     Parent Loop BB207_28 Depth=2
                                        ; =>    This Inner Loop Header: Depth=3
	s_delay_alu instid0(VALU_DEP_1)
	v_lshl_add_u32 v16, v15, 2, v18
	s_mov_b32 s43, exec_lo
                                        ; implicit-def: $sgpr44
	ds_load_b32 v34, v16
	s_waitcnt lgkmcnt(0)
	v_cmpx_ne_u32_e64 v34, v32
	s_xor_b32 s43, exec_lo, s43
	s_cbranch_execz .LBB207_62
; %bb.55:                               ;   in Loop: Header=BB207_54 Depth=3
	s_mov_b32 s45, exec_lo
                                        ; implicit-def: $sgpr44
	v_cmpx_ne_u32_e64 s42, v34
	s_xor_b32 s45, exec_lo, s45
; %bb.56:                               ;   in Loop: Header=BB207_54 Depth=3
	v_add_nc_u32_e32 v15, 1, v15
	s_mov_b32 s44, -1
                                        ; implicit-def: $vgpr16
	s_delay_alu instid0(VALU_DEP_1)
	v_and_b32_e32 v15, 7, v15
; %bb.57:                               ;   in Loop: Header=BB207_54 Depth=3
	s_and_not1_saveexec_b32 s45, s45
	s_cbranch_execz .LBB207_61
; %bb.58:                               ;   in Loop: Header=BB207_54 Depth=3
	v_mov_b32_e32 v34, s42
	s_mov_b32 s46, -1
	s_mov_b32 s47, exec_lo
	ds_cmpstore_rtn_b32 v16, v16, v32, v34
	s_waitcnt lgkmcnt(0)
	v_cmpx_eq_u32_e64 s42, v16
	s_cbranch_execz .LBB207_60
; %bb.59:                               ;   in Loop: Header=BB207_54 Depth=3
	v_lshl_add_u32 v16, v15, 5, v22
	s_xor_b32 s46, exec_lo, -1
	ds_add_f32 v16, v14
	ds_add_f32 v16, v17 offset:4
.LBB207_60:                             ;   in Loop: Header=BB207_54 Depth=3
	s_or_b32 exec_lo, exec_lo, s47
	s_delay_alu instid0(SALU_CYCLE_1) | instskip(SKIP_1) | instid1(SALU_CYCLE_1)
	s_and_not1_b32 s44, s44, exec_lo
	s_and_b32 s46, s46, exec_lo
	s_or_b32 s44, s44, s46
.LBB207_61:                             ;   in Loop: Header=BB207_54 Depth=3
	s_or_b32 exec_lo, exec_lo, s45
	s_delay_alu instid0(SALU_CYCLE_1)
	s_and_b32 s44, s44, exec_lo
.LBB207_62:                             ;   in Loop: Header=BB207_54 Depth=3
	s_and_not1_saveexec_b32 s43, s43
	s_cbranch_execz .LBB207_53
; %bb.63:                               ;   in Loop: Header=BB207_54 Depth=3
	v_lshl_add_u32 v16, v15, 5, v22
	s_and_not1_b32 s44, s44, exec_lo
	ds_add_f32 v16, v14
	ds_add_f32 v16, v17 offset:4
	s_branch .LBB207_53
.LBB207_64:                             ;   in Loop: Header=BB207_28 Depth=2
	s_or_b32 exec_lo, exec_lo, s41
	v_mul_f32_e64 v14, v13, -v28
	s_mov_b32 s41, 0
	s_delay_alu instid0(VALU_DEP_1) | instskip(NEXT) | instid1(VALU_DEP_1)
	v_fmac_f32_e32 v14, v29, v12
	v_dual_mul_f32 v13, v29, v13 :: v_dual_fmac_f32 v14, v26, v10
	s_delay_alu instid0(VALU_DEP_1) | instskip(NEXT) | instid1(VALU_DEP_1)
	v_fmac_f32_e32 v13, v28, v12
	v_fmac_f32_e32 v13, v27, v10
	s_delay_alu instid0(VALU_DEP_3) | instskip(NEXT) | instid1(VALU_DEP_2)
	v_fma_f32 v10, -v27, v11, v14
	v_fmac_f32_e32 v13, v26, v11
	s_branch .LBB207_66
.LBB207_65:                             ;   in Loop: Header=BB207_66 Depth=3
	s_or_b32 exec_lo, exec_lo, s43
	s_xor_b32 s43, s44, -1
	s_delay_alu instid0(SALU_CYCLE_1) | instskip(NEXT) | instid1(SALU_CYCLE_1)
	s_and_b32 s43, exec_lo, s43
	s_or_b32 s41, s43, s41
	s_delay_alu instid0(SALU_CYCLE_1)
	s_and_not1_b32 exec_lo, exec_lo, s41
	s_cbranch_execz .LBB207_27
.LBB207_66:                             ;   Parent Loop BB207_25 Depth=1
                                        ;     Parent Loop BB207_28 Depth=2
                                        ; =>    This Inner Loop Header: Depth=3
	v_lshl_add_u32 v11, v33, 2, v18
	s_mov_b32 s43, exec_lo
                                        ; implicit-def: $sgpr44
	ds_load_b32 v12, v11
	s_waitcnt lgkmcnt(0)
	v_cmpx_ne_u32_e64 v12, v32
	s_xor_b32 s43, exec_lo, s43
	s_cbranch_execz .LBB207_74
; %bb.67:                               ;   in Loop: Header=BB207_66 Depth=3
	s_mov_b32 s45, exec_lo
                                        ; implicit-def: $sgpr44
	v_cmpx_ne_u32_e64 s42, v12
	s_xor_b32 s45, exec_lo, s45
; %bb.68:                               ;   in Loop: Header=BB207_66 Depth=3
	v_add_nc_u32_e32 v11, 1, v33
	s_mov_b32 s44, -1
	s_delay_alu instid0(VALU_DEP_1)
	v_and_b32_e32 v33, 7, v11
                                        ; implicit-def: $vgpr11
; %bb.69:                               ;   in Loop: Header=BB207_66 Depth=3
	s_and_not1_saveexec_b32 s45, s45
	s_cbranch_execz .LBB207_73
; %bb.70:                               ;   in Loop: Header=BB207_66 Depth=3
	v_mov_b32_e32 v12, s42
	s_mov_b32 s46, -1
	s_mov_b32 s47, exec_lo
	ds_cmpstore_rtn_b32 v11, v11, v32, v12
	s_waitcnt lgkmcnt(0)
	v_cmpx_eq_u32_e64 s42, v11
	s_cbranch_execz .LBB207_72
; %bb.71:                               ;   in Loop: Header=BB207_66 Depth=3
	v_lshl_add_u32 v11, v33, 5, v23
	s_xor_b32 s46, exec_lo, -1
	ds_add_f32 v11, v10
	ds_add_f32 v11, v13 offset:4
.LBB207_72:                             ;   in Loop: Header=BB207_66 Depth=3
	s_or_b32 exec_lo, exec_lo, s47
	s_delay_alu instid0(SALU_CYCLE_1) | instskip(SKIP_1) | instid1(SALU_CYCLE_1)
	s_and_not1_b32 s44, s44, exec_lo
	s_and_b32 s46, s46, exec_lo
	s_or_b32 s44, s44, s46
.LBB207_73:                             ;   in Loop: Header=BB207_66 Depth=3
	s_or_b32 exec_lo, exec_lo, s45
	s_delay_alu instid0(SALU_CYCLE_1)
	s_and_b32 s44, s44, exec_lo
.LBB207_74:                             ;   in Loop: Header=BB207_66 Depth=3
	s_and_not1_saveexec_b32 s43, s43
	s_cbranch_execz .LBB207_65
; %bb.75:                               ;   in Loop: Header=BB207_66 Depth=3
	v_lshl_add_u32 v11, v33, 5, v23
	s_and_not1_b32 s44, s44, exec_lo
	ds_add_f32 v11, v10
	ds_add_f32 v11, v13 offset:4
	s_branch .LBB207_65
.LBB207_76:
	s_or_b32 exec_lo, exec_lo, s1
	s_delay_alu instid0(SALU_CYCLE_1)
	s_and_not1_b32 vcc_lo, exec_lo, s34
	s_waitcnt lgkmcnt(0)
	buffer_gl0_inv
	s_cbranch_vccnz .LBB207_20
.LBB207_77:
	v_lshlrev_b64 v[0:1], 3, v[4:5]
	v_sub_co_u32 v2, s1, v19, s39
	s_delay_alu instid0(VALU_DEP_1) | instskip(SKIP_1) | instid1(VALU_DEP_3)
	v_sub_co_ci_u32_e64 v3, null, 0, 0, s1
	s_mov_b32 s13, 0
	v_add_co_u32 v0, vcc_lo, s22, v0
	s_delay_alu instid0(VALU_DEP_4)
	v_add_co_ci_u32_e32 v1, vcc_lo, s23, v1, vcc_lo
	s_mov_b32 s1, exec_lo
	global_load_b128 v[6:9], v[0:1], off
	s_waitcnt vmcnt(0)
	v_sub_co_u32 v0, vcc_lo, v8, s39
	v_subrev_co_ci_u32_e32 v1, vcc_lo, 0, v9, vcc_lo
	v_add_co_u32 v2, vcc_lo, v6, v2
	v_add_co_ci_u32_e32 v3, vcc_lo, v7, v3, vcc_lo
	s_delay_alu instid0(VALU_DEP_1)
	v_cmpx_lt_i64_e64 v[2:3], v[0:1]
	s_cbranch_execz .LBB207_128
; %bb.78:
	v_add_nc_u32_e32 v12, 8, v20
	v_add_nc_u32_e32 v13, 16, v20
	;; [unrolled: 1-line block ×3, first 2 shown]
	s_cmp_eq_u32 s40, 0
	s_cselect_b32 s15, 1, 2
	s_cselect_b32 s16, 2, 1
	s_branch .LBB207_80
.LBB207_79:                             ;   in Loop: Header=BB207_80 Depth=1
	s_or_b32 exec_lo, exec_lo, s17
	v_add_co_u32 v2, vcc_lo, v2, 16
	v_add_co_ci_u32_e32 v3, vcc_lo, 0, v3, vcc_lo
	s_delay_alu instid0(VALU_DEP_1) | instskip(SKIP_1) | instid1(SALU_CYCLE_1)
	v_cmp_ge_i64_e32 vcc_lo, v[2:3], v[0:1]
	s_or_b32 s13, vcc_lo, s13
	s_and_not1_b32 exec_lo, exec_lo, s13
	s_cbranch_execz .LBB207_128
.LBB207_80:                             ; =>This Loop Header: Depth=1
                                        ;     Child Loop BB207_82 Depth 2
                                        ;     Child Loop BB207_94 Depth 2
	;; [unrolled: 1-line block ×4, first 2 shown]
	v_lshlrev_b64 v[6:7], 5, v[2:3]
	v_lshlrev_b64 v[8:9], 2, v[2:3]
	s_mov_b32 s17, 0
	s_delay_alu instid0(VALU_DEP_2) | instskip(NEXT) | instid1(VALU_DEP_3)
	v_add_co_u32 v6, vcc_lo, s6, v6
	v_add_co_ci_u32_e32 v7, vcc_lo, s7, v7, vcc_lo
	s_delay_alu instid0(VALU_DEP_3) | instskip(NEXT) | instid1(VALU_DEP_4)
	v_add_co_u32 v15, vcc_lo, s4, v8
	v_or_b32_e32 v11, 0, v9
	v_or_b32_e32 v10, s15, v8
	v_add_co_ci_u32_e32 v16, vcc_lo, s5, v9, vcc_lo
	v_or_b32_e32 v9, 0, v9
	v_or_b32_e32 v8, s16, v8
	s_delay_alu instid0(VALU_DEP_4)
	v_lshlrev_b64 v[10:11], 3, v[10:11]
	global_load_b32 v15, v[15:16], off
	global_load_b64 v[22:23], v[6:7], off
	v_lshlrev_b64 v[8:9], 3, v[8:9]
	v_add_co_u32 v10, vcc_lo, s6, v10
	v_add_co_ci_u32_e32 v11, vcc_lo, s7, v11, vcc_lo
	s_delay_alu instid0(VALU_DEP_3) | instskip(NEXT) | instid1(VALU_DEP_4)
	v_add_co_u32 v8, vcc_lo, s6, v8
	v_add_co_ci_u32_e32 v9, vcc_lo, s7, v9, vcc_lo
	s_clause 0x2
	global_load_b64 v[6:7], v[6:7], off offset:24
	global_load_b64 v[10:11], v[10:11], off
	global_load_b64 v[8:9], v[8:9], off
	s_waitcnt vmcnt(4)
	v_subrev_nc_u32_e32 v15, s39, v15
	s_waitcnt vmcnt(3)
	v_mul_f32_e64 v17, v23, -s14
	s_delay_alu instid0(VALU_DEP_1) | instskip(SKIP_1) | instid1(VALU_DEP_1)
	v_dual_fmac_f32 v17, s12, v22 :: v_dual_and_b32 v16, 7, v15
	v_mul_f32_e32 v21, s12, v23
	v_dual_fmac_f32 v21, s14, v22 :: v_dual_mov_b32 v22, v16
	s_branch .LBB207_82
.LBB207_81:                             ;   in Loop: Header=BB207_82 Depth=2
	s_or_b32 exec_lo, exec_lo, s18
	s_xor_b32 s18, s19, -1
	s_delay_alu instid0(SALU_CYCLE_1) | instskip(NEXT) | instid1(SALU_CYCLE_1)
	s_and_b32 s18, exec_lo, s18
	s_or_b32 s17, s18, s17
	s_delay_alu instid0(SALU_CYCLE_1)
	s_and_not1_b32 exec_lo, exec_lo, s17
	s_cbranch_execz .LBB207_92
.LBB207_82:                             ;   Parent Loop BB207_80 Depth=1
                                        ; =>  This Inner Loop Header: Depth=2
	s_delay_alu instid0(VALU_DEP_1)
	v_lshl_add_u32 v23, v22, 2, v18
	s_mov_b32 s18, exec_lo
                                        ; implicit-def: $sgpr19
	ds_load_b32 v24, v23
	s_waitcnt lgkmcnt(0)
	v_cmpx_ne_u32_e64 v24, v15
	s_xor_b32 s18, exec_lo, s18
	s_cbranch_execz .LBB207_90
; %bb.83:                               ;   in Loop: Header=BB207_82 Depth=2
	s_mov_b32 s20, exec_lo
                                        ; implicit-def: $sgpr19
	v_cmpx_ne_u32_e64 s42, v24
	s_xor_b32 s20, exec_lo, s20
; %bb.84:                               ;   in Loop: Header=BB207_82 Depth=2
	v_add_nc_u32_e32 v22, 1, v22
	s_mov_b32 s19, -1
                                        ; implicit-def: $vgpr23
	s_delay_alu instid0(VALU_DEP_1)
	v_and_b32_e32 v22, 7, v22
; %bb.85:                               ;   in Loop: Header=BB207_82 Depth=2
	s_and_not1_saveexec_b32 s20, s20
	s_cbranch_execz .LBB207_89
; %bb.86:                               ;   in Loop: Header=BB207_82 Depth=2
	v_mov_b32_e32 v24, s42
	s_mov_b32 s21, -1
	s_mov_b32 s22, exec_lo
	ds_cmpstore_rtn_b32 v23, v23, v15, v24
	s_waitcnt lgkmcnt(0)
	v_cmpx_eq_u32_e64 s42, v23
	s_cbranch_execz .LBB207_88
; %bb.87:                               ;   in Loop: Header=BB207_82 Depth=2
	v_lshl_add_u32 v23, v22, 5, v20
	s_xor_b32 s21, exec_lo, -1
	ds_add_f32 v23, v17
	ds_add_f32 v23, v21 offset:4
.LBB207_88:                             ;   in Loop: Header=BB207_82 Depth=2
	s_or_b32 exec_lo, exec_lo, s22
	s_delay_alu instid0(SALU_CYCLE_1) | instskip(SKIP_1) | instid1(SALU_CYCLE_1)
	s_and_not1_b32 s19, s19, exec_lo
	s_and_b32 s21, s21, exec_lo
	s_or_b32 s19, s19, s21
.LBB207_89:                             ;   in Loop: Header=BB207_82 Depth=2
	s_or_b32 exec_lo, exec_lo, s20
	s_delay_alu instid0(SALU_CYCLE_1)
	s_and_b32 s19, s19, exec_lo
.LBB207_90:                             ;   in Loop: Header=BB207_82 Depth=2
	s_and_not1_saveexec_b32 s18, s18
	s_cbranch_execz .LBB207_81
; %bb.91:                               ;   in Loop: Header=BB207_82 Depth=2
	v_lshl_add_u32 v23, v22, 5, v20
	s_and_not1_b32 s19, s19, exec_lo
	ds_add_f32 v23, v17
	ds_add_f32 v23, v21 offset:4
	s_branch .LBB207_81
.LBB207_92:                             ;   in Loop: Header=BB207_80 Depth=1
	s_or_b32 exec_lo, exec_lo, s17
	s_waitcnt vmcnt(1)
	v_mul_f32_e64 v17, v11, -s14
	v_mul_f32_e32 v11, s12, v11
	s_mov_b32 s17, 0
	s_delay_alu instid0(VALU_DEP_2) | instskip(NEXT) | instid1(VALU_DEP_2)
	v_fmac_f32_e32 v17, s12, v10
	v_dual_fmac_f32 v11, s14, v10 :: v_dual_mov_b32 v10, v16
	s_branch .LBB207_94
.LBB207_93:                             ;   in Loop: Header=BB207_94 Depth=2
	s_or_b32 exec_lo, exec_lo, s18
	s_xor_b32 s18, s19, -1
	s_delay_alu instid0(SALU_CYCLE_1) | instskip(NEXT) | instid1(SALU_CYCLE_1)
	s_and_b32 s18, exec_lo, s18
	s_or_b32 s17, s18, s17
	s_delay_alu instid0(SALU_CYCLE_1)
	s_and_not1_b32 exec_lo, exec_lo, s17
	s_cbranch_execz .LBB207_104
.LBB207_94:                             ;   Parent Loop BB207_80 Depth=1
                                        ; =>  This Inner Loop Header: Depth=2
	s_delay_alu instid0(VALU_DEP_1)
	v_lshl_add_u32 v21, v10, 2, v18
	s_mov_b32 s18, exec_lo
                                        ; implicit-def: $sgpr19
	ds_load_b32 v22, v21
	s_waitcnt lgkmcnt(0)
	v_cmpx_ne_u32_e64 v22, v15
	s_xor_b32 s18, exec_lo, s18
	s_cbranch_execz .LBB207_102
; %bb.95:                               ;   in Loop: Header=BB207_94 Depth=2
	s_mov_b32 s20, exec_lo
                                        ; implicit-def: $sgpr19
	v_cmpx_ne_u32_e64 s42, v22
	s_xor_b32 s20, exec_lo, s20
; %bb.96:                               ;   in Loop: Header=BB207_94 Depth=2
	v_add_nc_u32_e32 v10, 1, v10
	s_mov_b32 s19, -1
                                        ; implicit-def: $vgpr21
	s_delay_alu instid0(VALU_DEP_1)
	v_and_b32_e32 v10, 7, v10
; %bb.97:                               ;   in Loop: Header=BB207_94 Depth=2
	s_and_not1_saveexec_b32 s20, s20
	s_cbranch_execz .LBB207_101
; %bb.98:                               ;   in Loop: Header=BB207_94 Depth=2
	v_mov_b32_e32 v22, s42
	s_mov_b32 s21, -1
	s_mov_b32 s22, exec_lo
	ds_cmpstore_rtn_b32 v21, v21, v15, v22
	s_waitcnt lgkmcnt(0)
	v_cmpx_eq_u32_e64 s42, v21
	s_cbranch_execz .LBB207_100
; %bb.99:                               ;   in Loop: Header=BB207_94 Depth=2
	v_lshl_add_u32 v21, v10, 5, v12
	s_xor_b32 s21, exec_lo, -1
	ds_add_f32 v21, v17
	ds_add_f32 v21, v11 offset:4
.LBB207_100:                            ;   in Loop: Header=BB207_94 Depth=2
	s_or_b32 exec_lo, exec_lo, s22
	s_delay_alu instid0(SALU_CYCLE_1) | instskip(SKIP_1) | instid1(SALU_CYCLE_1)
	s_and_not1_b32 s19, s19, exec_lo
	s_and_b32 s21, s21, exec_lo
	s_or_b32 s19, s19, s21
.LBB207_101:                            ;   in Loop: Header=BB207_94 Depth=2
	s_or_b32 exec_lo, exec_lo, s20
	s_delay_alu instid0(SALU_CYCLE_1)
	s_and_b32 s19, s19, exec_lo
.LBB207_102:                            ;   in Loop: Header=BB207_94 Depth=2
	s_and_not1_saveexec_b32 s18, s18
	s_cbranch_execz .LBB207_93
; %bb.103:                              ;   in Loop: Header=BB207_94 Depth=2
	v_lshl_add_u32 v21, v10, 5, v12
	s_and_not1_b32 s19, s19, exec_lo
	ds_add_f32 v21, v17
	ds_add_f32 v21, v11 offset:4
	s_branch .LBB207_93
.LBB207_104:                            ;   in Loop: Header=BB207_80 Depth=1
	s_or_b32 exec_lo, exec_lo, s17
	s_waitcnt vmcnt(0)
	v_mul_f32_e64 v10, v9, -s14
	v_mul_f32_e32 v9, s12, v9
	s_mov_b32 s17, 0
	s_delay_alu instid0(VALU_DEP_2) | instskip(NEXT) | instid1(VALU_DEP_2)
	v_fmac_f32_e32 v10, s12, v8
	v_dual_fmac_f32 v9, s14, v8 :: v_dual_mov_b32 v8, v16
	s_branch .LBB207_106
.LBB207_105:                            ;   in Loop: Header=BB207_106 Depth=2
	s_or_b32 exec_lo, exec_lo, s18
	s_xor_b32 s18, s19, -1
	s_delay_alu instid0(SALU_CYCLE_1) | instskip(NEXT) | instid1(SALU_CYCLE_1)
	s_and_b32 s18, exec_lo, s18
	s_or_b32 s17, s18, s17
	s_delay_alu instid0(SALU_CYCLE_1)
	s_and_not1_b32 exec_lo, exec_lo, s17
	s_cbranch_execz .LBB207_116
.LBB207_106:                            ;   Parent Loop BB207_80 Depth=1
                                        ; =>  This Inner Loop Header: Depth=2
	s_delay_alu instid0(VALU_DEP_1)
	v_lshl_add_u32 v11, v8, 2, v18
	s_mov_b32 s18, exec_lo
                                        ; implicit-def: $sgpr19
	ds_load_b32 v17, v11
	s_waitcnt lgkmcnt(0)
	v_cmpx_ne_u32_e64 v17, v15
	s_xor_b32 s18, exec_lo, s18
	s_cbranch_execz .LBB207_114
; %bb.107:                              ;   in Loop: Header=BB207_106 Depth=2
	s_mov_b32 s20, exec_lo
                                        ; implicit-def: $sgpr19
	v_cmpx_ne_u32_e64 s42, v17
	s_xor_b32 s20, exec_lo, s20
; %bb.108:                              ;   in Loop: Header=BB207_106 Depth=2
	v_add_nc_u32_e32 v8, 1, v8
	s_mov_b32 s19, -1
                                        ; implicit-def: $vgpr11
	s_delay_alu instid0(VALU_DEP_1)
	v_and_b32_e32 v8, 7, v8
; %bb.109:                              ;   in Loop: Header=BB207_106 Depth=2
	s_and_not1_saveexec_b32 s20, s20
	s_cbranch_execz .LBB207_113
; %bb.110:                              ;   in Loop: Header=BB207_106 Depth=2
	v_mov_b32_e32 v17, s42
	s_mov_b32 s21, -1
	s_mov_b32 s22, exec_lo
	ds_cmpstore_rtn_b32 v11, v11, v15, v17
	s_waitcnt lgkmcnt(0)
	v_cmpx_eq_u32_e64 s42, v11
	s_cbranch_execz .LBB207_112
; %bb.111:                              ;   in Loop: Header=BB207_106 Depth=2
	v_lshl_add_u32 v11, v8, 5, v13
	s_xor_b32 s21, exec_lo, -1
	ds_add_f32 v11, v10
	ds_add_f32 v11, v9 offset:4
.LBB207_112:                            ;   in Loop: Header=BB207_106 Depth=2
	s_or_b32 exec_lo, exec_lo, s22
	s_delay_alu instid0(SALU_CYCLE_1) | instskip(SKIP_1) | instid1(SALU_CYCLE_1)
	s_and_not1_b32 s19, s19, exec_lo
	s_and_b32 s21, s21, exec_lo
	s_or_b32 s19, s19, s21
.LBB207_113:                            ;   in Loop: Header=BB207_106 Depth=2
	s_or_b32 exec_lo, exec_lo, s20
	s_delay_alu instid0(SALU_CYCLE_1)
	s_and_b32 s19, s19, exec_lo
.LBB207_114:                            ;   in Loop: Header=BB207_106 Depth=2
	s_and_not1_saveexec_b32 s18, s18
	s_cbranch_execz .LBB207_105
; %bb.115:                              ;   in Loop: Header=BB207_106 Depth=2
	v_lshl_add_u32 v11, v8, 5, v13
	s_and_not1_b32 s19, s19, exec_lo
	ds_add_f32 v11, v10
	ds_add_f32 v11, v9 offset:4
	s_branch .LBB207_105
.LBB207_116:                            ;   in Loop: Header=BB207_80 Depth=1
	s_or_b32 exec_lo, exec_lo, s17
	v_mul_f32_e64 v8, v7, -s14
	v_mul_f32_e32 v7, s12, v7
	s_mov_b32 s17, 0
	s_delay_alu instid0(VALU_DEP_2) | instskip(NEXT) | instid1(VALU_DEP_2)
	v_fmac_f32_e32 v8, s12, v6
	v_fmac_f32_e32 v7, s14, v6
	s_branch .LBB207_118
.LBB207_117:                            ;   in Loop: Header=BB207_118 Depth=2
	s_or_b32 exec_lo, exec_lo, s18
	s_xor_b32 s18, s19, -1
	s_delay_alu instid0(SALU_CYCLE_1) | instskip(NEXT) | instid1(SALU_CYCLE_1)
	s_and_b32 s18, exec_lo, s18
	s_or_b32 s17, s18, s17
	s_delay_alu instid0(SALU_CYCLE_1)
	s_and_not1_b32 exec_lo, exec_lo, s17
	s_cbranch_execz .LBB207_79
.LBB207_118:                            ;   Parent Loop BB207_80 Depth=1
                                        ; =>  This Inner Loop Header: Depth=2
	v_lshl_add_u32 v6, v16, 2, v18
	s_mov_b32 s18, exec_lo
                                        ; implicit-def: $sgpr19
	ds_load_b32 v9, v6
	s_waitcnt lgkmcnt(0)
	v_cmpx_ne_u32_e64 v9, v15
	s_xor_b32 s18, exec_lo, s18
	s_cbranch_execz .LBB207_126
; %bb.119:                              ;   in Loop: Header=BB207_118 Depth=2
	s_mov_b32 s20, exec_lo
                                        ; implicit-def: $sgpr19
	v_cmpx_ne_u32_e64 s42, v9
	s_xor_b32 s20, exec_lo, s20
; %bb.120:                              ;   in Loop: Header=BB207_118 Depth=2
	v_add_nc_u32_e32 v6, 1, v16
	s_mov_b32 s19, -1
	s_delay_alu instid0(VALU_DEP_1)
	v_and_b32_e32 v16, 7, v6
                                        ; implicit-def: $vgpr6
; %bb.121:                              ;   in Loop: Header=BB207_118 Depth=2
	s_and_not1_saveexec_b32 s20, s20
	s_cbranch_execz .LBB207_125
; %bb.122:                              ;   in Loop: Header=BB207_118 Depth=2
	v_mov_b32_e32 v9, s42
	s_mov_b32 s21, -1
	s_mov_b32 s22, exec_lo
	ds_cmpstore_rtn_b32 v6, v6, v15, v9
	s_waitcnt lgkmcnt(0)
	v_cmpx_eq_u32_e64 s42, v6
	s_cbranch_execz .LBB207_124
; %bb.123:                              ;   in Loop: Header=BB207_118 Depth=2
	v_lshl_add_u32 v6, v16, 5, v14
	s_xor_b32 s21, exec_lo, -1
	ds_add_f32 v6, v8
	ds_add_f32 v6, v7 offset:4
.LBB207_124:                            ;   in Loop: Header=BB207_118 Depth=2
	s_or_b32 exec_lo, exec_lo, s22
	s_delay_alu instid0(SALU_CYCLE_1) | instskip(SKIP_1) | instid1(SALU_CYCLE_1)
	s_and_not1_b32 s19, s19, exec_lo
	s_and_b32 s21, s21, exec_lo
	s_or_b32 s19, s19, s21
.LBB207_125:                            ;   in Loop: Header=BB207_118 Depth=2
	s_or_b32 exec_lo, exec_lo, s20
	s_delay_alu instid0(SALU_CYCLE_1)
	s_and_b32 s19, s19, exec_lo
.LBB207_126:                            ;   in Loop: Header=BB207_118 Depth=2
	s_and_not1_saveexec_b32 s18, s18
	s_cbranch_execz .LBB207_117
; %bb.127:                              ;   in Loop: Header=BB207_118 Depth=2
	v_lshl_add_u32 v6, v16, 5, v14
	s_and_not1_b32 s19, s19, exec_lo
	ds_add_f32 v6, v8
	ds_add_f32 v6, v7 offset:4
	s_branch .LBB207_117
.LBB207_128:
	s_or_b32 exec_lo, exec_lo, s1
	s_waitcnt lgkmcnt(0)
	buffer_gl0_inv
	s_and_b32 exec_lo, exec_lo, s0
	s_cbranch_execz .LBB207_21
.LBB207_129:
	v_lshl_add_u32 v0, v19, 2, v18
	ds_load_b32 v0, v0
	s_waitcnt lgkmcnt(0)
	v_cmp_gt_i32_e32 vcc_lo, s42, v0
	s_and_b32 exec_lo, exec_lo, vcc_lo
	s_cbranch_execz .LBB207_21
; %bb.130:
	v_lshlrev_b64 v[1:2], 3, v[4:5]
	v_lshlrev_b32_e32 v5, 2, v19
	s_cmp_eq_u32 s40, 0
	v_lshl_add_u32 v9, v19, 5, v20
	s_cselect_b32 s0, 1, 2
	s_cselect_b32 s1, 2, 1
	v_add_co_u32 v1, vcc_lo, s8, v1
	v_add_co_ci_u32_e32 v2, vcc_lo, s9, v2, vcc_lo
	v_or_b32_e32 v15, s0, v5
	v_or_b32_e32 v16, s1, v5
	global_load_b64 v[13:14], v[1:2], off
	ds_load_b128 v[1:4], v18
	ds_load_b128 v[5:8], v18 offset:16
	ds_load_2addr_b64 v[9:12], v9 offset1:3
	v_lshl_add_u32 v15, v15, 3, v20
	v_lshl_add_u32 v16, v16, 3, v20
	s_waitcnt lgkmcnt(2)
	v_cmp_gt_i32_e32 vcc_lo, v0, v1
	v_cndmask_b32_e64 v1, 0, 1, vcc_lo
	s_waitcnt vmcnt(0)
	v_sub_co_u32 v13, vcc_lo, v13, s38
	v_subrev_co_ci_u32_e32 v14, vcc_lo, 0, v14, vcc_lo
	v_cmp_gt_i32_e32 vcc_lo, v0, v2
	v_cndmask_b32_e64 v2, 0, 1, vcc_lo
	s_delay_alu instid0(VALU_DEP_4) | instskip(NEXT) | instid1(VALU_DEP_4)
	v_add_co_u32 v1, vcc_lo, v13, v1
	v_add_co_ci_u32_e32 v13, vcc_lo, 0, v14, vcc_lo
	v_cmp_gt_i32_e32 vcc_lo, v0, v3
	v_cndmask_b32_e64 v3, 0, 1, vcc_lo
	s_delay_alu instid0(VALU_DEP_4) | instskip(NEXT) | instid1(VALU_DEP_4)
	v_add_co_u32 v1, vcc_lo, v1, v2
	v_add_co_ci_u32_e32 v2, vcc_lo, 0, v13, vcc_lo
	;; [unrolled: 5-line block ×3, first 2 shown]
	s_waitcnt lgkmcnt(1)
	v_cmp_gt_i32_e32 vcc_lo, v0, v5
	v_cndmask_b32_e64 v3, 0, 1, vcc_lo
	v_add_co_u32 v1, vcc_lo, v1, v4
	v_add_co_ci_u32_e32 v2, vcc_lo, 0, v2, vcc_lo
	v_cmp_gt_i32_e32 vcc_lo, v0, v6
	v_cndmask_b32_e64 v4, 0, 1, vcc_lo
	s_delay_alu instid0(VALU_DEP_4) | instskip(NEXT) | instid1(VALU_DEP_4)
	v_add_co_u32 v1, vcc_lo, v1, v3
	v_add_co_ci_u32_e32 v2, vcc_lo, 0, v2, vcc_lo
	v_cmp_gt_i32_e32 vcc_lo, v0, v7
	v_cndmask_b32_e64 v3, 0, 1, vcc_lo
	s_delay_alu instid0(VALU_DEP_4) | instskip(NEXT) | instid1(VALU_DEP_4)
	v_add_co_u32 v1, vcc_lo, v1, v4
	v_add_co_ci_u32_e32 v2, vcc_lo, 0, v2, vcc_lo
	v_cmp_gt_i32_e32 vcc_lo, v0, v8
	v_add_nc_u32_e32 v0, s38, v0
	v_cndmask_b32_e64 v4, 0, 1, vcc_lo
	v_add_co_u32 v3, vcc_lo, v1, v3
	v_add_co_ci_u32_e32 v2, vcc_lo, 0, v2, vcc_lo
	s_waitcnt lgkmcnt(0)
	v_mov_b32_e32 v1, v9
	s_delay_alu instid0(VALU_DEP_3) | instskip(NEXT) | instid1(VALU_DEP_3)
	v_add_co_u32 v5, vcc_lo, v3, v4
	v_add_co_ci_u32_e32 v6, vcc_lo, 0, v2, vcc_lo
	v_mov_b32_e32 v2, v10
	ds_load_b64 v[3:4], v15
	ds_load_b64 v[9:10], v16
	v_lshlrev_b64 v[7:8], 2, v[5:6]
	v_lshlrev_b64 v[5:6], 5, v[5:6]
	s_delay_alu instid0(VALU_DEP_2) | instskip(NEXT) | instid1(VALU_DEP_3)
	v_add_co_u32 v7, vcc_lo, s10, v7
	v_add_co_ci_u32_e32 v8, vcc_lo, s11, v8, vcc_lo
	s_delay_alu instid0(VALU_DEP_3) | instskip(NEXT) | instid1(VALU_DEP_4)
	v_add_co_u32 v5, vcc_lo, s2, v5
	v_add_co_ci_u32_e32 v6, vcc_lo, s3, v6, vcc_lo
	global_store_b32 v[7:8], v0, off
	s_waitcnt lgkmcnt(1)
	global_store_b128 v[5:6], v[1:4], off
	s_waitcnt lgkmcnt(0)
	global_store_b128 v[5:6], v[9:12], off offset:16
	s_nop 0
	s_sendmsg sendmsg(MSG_DEALLOC_VGPRS)
	s_endpgm
	.section	.rodata,"a",@progbits
	.p2align	6, 0x0
	.amdhsa_kernel _ZN9rocsparseL27bsrgemm_fill_wf_per_row_2x2ILj256ELj16ELj8ELj137Eli21rocsparse_complex_numIfEEEv20rocsparse_direction_T4_S4_PKS4_S6_NS_24const_host_device_scalarIT5_EEPKT3_S6_PKS8_SC_S6_SE_S9_SC_S6_SE_SC_PS4_PS8_21rocsparse_index_base_SH_SH_SH_bbb
		.amdhsa_group_segment_fixed_size 4608
		.amdhsa_private_segment_fixed_size 0
		.amdhsa_kernarg_size 164
		.amdhsa_user_sgpr_count 15
		.amdhsa_user_sgpr_dispatch_ptr 0
		.amdhsa_user_sgpr_queue_ptr 0
		.amdhsa_user_sgpr_kernarg_segment_ptr 1
		.amdhsa_user_sgpr_dispatch_id 0
		.amdhsa_user_sgpr_private_segment_size 0
		.amdhsa_wavefront_size32 1
		.amdhsa_uses_dynamic_stack 0
		.amdhsa_enable_private_segment 0
		.amdhsa_system_sgpr_workgroup_id_x 1
		.amdhsa_system_sgpr_workgroup_id_y 0
		.amdhsa_system_sgpr_workgroup_id_z 0
		.amdhsa_system_sgpr_workgroup_info 0
		.amdhsa_system_vgpr_workitem_id 0
		.amdhsa_next_free_vgpr 39
		.amdhsa_next_free_sgpr 48
		.amdhsa_reserve_vcc 1
		.amdhsa_float_round_mode_32 0
		.amdhsa_float_round_mode_16_64 0
		.amdhsa_float_denorm_mode_32 3
		.amdhsa_float_denorm_mode_16_64 3
		.amdhsa_dx10_clamp 1
		.amdhsa_ieee_mode 1
		.amdhsa_fp16_overflow 0
		.amdhsa_workgroup_processor_mode 1
		.amdhsa_memory_ordered 1
		.amdhsa_forward_progress 0
		.amdhsa_shared_vgpr_count 0
		.amdhsa_exception_fp_ieee_invalid_op 0
		.amdhsa_exception_fp_denorm_src 0
		.amdhsa_exception_fp_ieee_div_zero 0
		.amdhsa_exception_fp_ieee_overflow 0
		.amdhsa_exception_fp_ieee_underflow 0
		.amdhsa_exception_fp_ieee_inexact 0
		.amdhsa_exception_int_div_zero 0
	.end_amdhsa_kernel
	.section	.text._ZN9rocsparseL27bsrgemm_fill_wf_per_row_2x2ILj256ELj16ELj8ELj137Eli21rocsparse_complex_numIfEEEv20rocsparse_direction_T4_S4_PKS4_S6_NS_24const_host_device_scalarIT5_EEPKT3_S6_PKS8_SC_S6_SE_S9_SC_S6_SE_SC_PS4_PS8_21rocsparse_index_base_SH_SH_SH_bbb,"axG",@progbits,_ZN9rocsparseL27bsrgemm_fill_wf_per_row_2x2ILj256ELj16ELj8ELj137Eli21rocsparse_complex_numIfEEEv20rocsparse_direction_T4_S4_PKS4_S6_NS_24const_host_device_scalarIT5_EEPKT3_S6_PKS8_SC_S6_SE_S9_SC_S6_SE_SC_PS4_PS8_21rocsparse_index_base_SH_SH_SH_bbb,comdat
.Lfunc_end207:
	.size	_ZN9rocsparseL27bsrgemm_fill_wf_per_row_2x2ILj256ELj16ELj8ELj137Eli21rocsparse_complex_numIfEEEv20rocsparse_direction_T4_S4_PKS4_S6_NS_24const_host_device_scalarIT5_EEPKT3_S6_PKS8_SC_S6_SE_S9_SC_S6_SE_SC_PS4_PS8_21rocsparse_index_base_SH_SH_SH_bbb, .Lfunc_end207-_ZN9rocsparseL27bsrgemm_fill_wf_per_row_2x2ILj256ELj16ELj8ELj137Eli21rocsparse_complex_numIfEEEv20rocsparse_direction_T4_S4_PKS4_S6_NS_24const_host_device_scalarIT5_EEPKT3_S6_PKS8_SC_S6_SE_S9_SC_S6_SE_SC_PS4_PS8_21rocsparse_index_base_SH_SH_SH_bbb
                                        ; -- End function
	.section	.AMDGPU.csdata,"",@progbits
; Kernel info:
; codeLenInByte = 4624
; NumSgprs: 50
; NumVgprs: 39
; ScratchSize: 0
; MemoryBound: 0
; FloatMode: 240
; IeeeMode: 1
; LDSByteSize: 4608 bytes/workgroup (compile time only)
; SGPRBlocks: 6
; VGPRBlocks: 4
; NumSGPRsForWavesPerEU: 50
; NumVGPRsForWavesPerEU: 39
; Occupancy: 16
; WaveLimiterHint : 1
; COMPUTE_PGM_RSRC2:SCRATCH_EN: 0
; COMPUTE_PGM_RSRC2:USER_SGPR: 15
; COMPUTE_PGM_RSRC2:TRAP_HANDLER: 0
; COMPUTE_PGM_RSRC2:TGID_X_EN: 1
; COMPUTE_PGM_RSRC2:TGID_Y_EN: 0
; COMPUTE_PGM_RSRC2:TGID_Z_EN: 0
; COMPUTE_PGM_RSRC2:TIDIG_COMP_CNT: 0
	.section	.text._ZN9rocsparseL27bsrgemm_fill_wf_per_row_2x2ILj256ELj16ELj16ELj137Eli21rocsparse_complex_numIfEEEv20rocsparse_direction_T4_S4_PKS4_S6_NS_24const_host_device_scalarIT5_EEPKT3_S6_PKS8_SC_S6_SE_S9_SC_S6_SE_SC_PS4_PS8_21rocsparse_index_base_SH_SH_SH_bbb,"axG",@progbits,_ZN9rocsparseL27bsrgemm_fill_wf_per_row_2x2ILj256ELj16ELj16ELj137Eli21rocsparse_complex_numIfEEEv20rocsparse_direction_T4_S4_PKS4_S6_NS_24const_host_device_scalarIT5_EEPKT3_S6_PKS8_SC_S6_SE_S9_SC_S6_SE_SC_PS4_PS8_21rocsparse_index_base_SH_SH_SH_bbb,comdat
	.globl	_ZN9rocsparseL27bsrgemm_fill_wf_per_row_2x2ILj256ELj16ELj16ELj137Eli21rocsparse_complex_numIfEEEv20rocsparse_direction_T4_S4_PKS4_S6_NS_24const_host_device_scalarIT5_EEPKT3_S6_PKS8_SC_S6_SE_S9_SC_S6_SE_SC_PS4_PS8_21rocsparse_index_base_SH_SH_SH_bbb ; -- Begin function _ZN9rocsparseL27bsrgemm_fill_wf_per_row_2x2ILj256ELj16ELj16ELj137Eli21rocsparse_complex_numIfEEEv20rocsparse_direction_T4_S4_PKS4_S6_NS_24const_host_device_scalarIT5_EEPKT3_S6_PKS8_SC_S6_SE_S9_SC_S6_SE_SC_PS4_PS8_21rocsparse_index_base_SH_SH_SH_bbb
	.p2align	8
	.type	_ZN9rocsparseL27bsrgemm_fill_wf_per_row_2x2ILj256ELj16ELj16ELj137Eli21rocsparse_complex_numIfEEEv20rocsparse_direction_T4_S4_PKS4_S6_NS_24const_host_device_scalarIT5_EEPKT3_S6_PKS8_SC_S6_SE_S9_SC_S6_SE_SC_PS4_PS8_21rocsparse_index_base_SH_SH_SH_bbb,@function
_ZN9rocsparseL27bsrgemm_fill_wf_per_row_2x2ILj256ELj16ELj16ELj137Eli21rocsparse_complex_numIfEEEv20rocsparse_direction_T4_S4_PKS4_S6_NS_24const_host_device_scalarIT5_EEPKT3_S6_PKS8_SC_S6_SE_S9_SC_S6_SE_SC_PS4_PS8_21rocsparse_index_base_SH_SH_SH_bbb: ; @_ZN9rocsparseL27bsrgemm_fill_wf_per_row_2x2ILj256ELj16ELj16ELj137Eli21rocsparse_complex_numIfEEEv20rocsparse_direction_T4_S4_PKS4_S6_NS_24const_host_device_scalarIT5_EEPKT3_S6_PKS8_SC_S6_SE_S9_SC_S6_SE_SC_PS4_PS8_21rocsparse_index_base_SH_SH_SH_bbb
; %bb.0:
	s_clause 0x6
	s_load_b32 s2, s[0:1], 0xa0
	s_load_b256 s[4:11], s[0:1], 0x68
	s_load_b256 s[16:23], s[0:1], 0x48
	s_load_b128 s[40:43], s[0:1], 0x10
	s_load_b256 s[24:31], s[0:1], 0x28
	s_load_b64 s[12:13], s[0:1], 0x88
	s_load_b128 s[36:39], s[0:1], 0x90
	s_mov_b32 s35, 0
	s_mov_b32 s44, 0
	s_waitcnt lgkmcnt(0)
	s_bitcmp1_b32 s2, 0
	s_cselect_b32 s45, -1, 0
	s_bitcmp1_b32 s2, 16
	s_cselect_b32 s3, -1, 0
	s_delay_alu instid0(SALU_CYCLE_1) | instskip(SKIP_2) | instid1(VALU_DEP_1)
	s_xor_b32 s3, s3, -1
	s_bitcmp0_b32 s2, 0
	v_cndmask_b32_e64 v1, 0, 1, s3
	v_cmp_ne_u32_e32 vcc_lo, 1, v1
	s_cbranch_scc1 .LBB208_5
; %bb.1:
	s_load_b64 s[34:35], s[0:1], 0x20
	s_and_b32 vcc_lo, exec_lo, vcc_lo
	s_waitcnt lgkmcnt(0)
	s_mov_b32 s44, s34
	s_cbranch_vccnz .LBB208_3
; %bb.2:
	s_load_b32 s44, s[34:35], 0x0
.LBB208_3:
	s_and_not1_b32 vcc_lo, exec_lo, s3
	s_cbranch_vccnz .LBB208_5
; %bb.4:
	s_load_b32 s35, s[34:35], 0x4
.LBB208_5:
	s_bitcmp1_b32 s2, 8
	s_mov_b32 s33, 0
	s_cselect_b32 s34, -1, 0
	s_bfe_u32 s2, s2, 0x10008
	s_mov_b32 s14, 0
	s_cmp_eq_u32 s2, 0
	s_cbranch_scc1 .LBB208_11
; %bb.6:
	v_cmp_ne_u32_e32 vcc_lo, 1, v1
	s_mov_b32 s14, s20
	s_cbranch_vccnz .LBB208_8
; %bb.7:
	s_load_b32 s14, s[20:21], 0x0
.LBB208_8:
	v_cmp_ne_u32_e32 vcc_lo, 1, v1
	s_cbranch_vccnz .LBB208_10
; %bb.9:
	s_load_b32 s21, s[20:21], 0x4
.LBB208_10:
	s_waitcnt lgkmcnt(0)
	s_mov_b32 s33, s21
.LBB208_11:
	s_load_b128 s[0:3], s[0:1], 0x0
	v_and_b32_e32 v1, 0xf0, v0
	v_and_b32_e32 v19, 15, v0
	v_lshrrev_b32_e32 v2, 4, v0
	v_mov_b32_e32 v0, 0
	s_waitcnt lgkmcnt(0)
	s_mov_b32 s3, 0
	v_lshl_or_b32 v18, v1, 2, 0x2000
	v_lshlrev_b32_e32 v1, 3, v19
	v_or_b32_e32 v3, -16, v19
	s_delay_alu instid0(VALU_DEP_3) | instskip(NEXT) | instid1(VALU_DEP_3)
	v_lshl_or_b32 v21, v19, 2, v18
	v_lshl_or_b32 v4, v2, 9, v1
	v_mov_b32_e32 v1, v0
	v_mov_b32_e32 v5, s2
	ds_store_b32 v21, v5
.LBB208_12:                             ; =>This Inner Loop Header: Depth=1
	v_add_nc_u32_e32 v3, 16, v3
	ds_store_b64 v4, v[0:1]
	v_add_nc_u32_e32 v4, 0x80, v4
	v_cmp_lt_u32_e32 vcc_lo, 47, v3
	s_or_b32 s3, vcc_lo, s3
	s_delay_alu instid0(SALU_CYCLE_1)
	s_and_not1_b32 exec_lo, exec_lo, s3
	s_cbranch_execnz .LBB208_12
; %bb.13:
	s_or_b32 exec_lo, exec_lo, s3
	v_lshl_or_b32 v0, s15, 4, v2
	s_waitcnt lgkmcnt(0)
	s_barrier
	buffer_gl0_inv
	v_cmp_gt_i32_e32 vcc_lo, s1, v0
	s_and_saveexec_b32 s1, vcc_lo
	s_cbranch_execz .LBB208_127
; %bb.14:
	s_cmp_eq_u64 s[42:43], 0
	s_cbranch_scc1 .LBB208_16
; %bb.15:
	s_load_b32 s1, s[40:41], 0x0
	s_waitcnt lgkmcnt(0)
	v_add_nc_u32_e32 v0, s1, v0
	s_delay_alu instid0(VALU_DEP_1) | instskip(NEXT) | instid1(VALU_DEP_1)
	v_ashrrev_i32_e32 v1, 31, v0
	v_lshlrev_b64 v[0:1], 2, v[0:1]
	s_delay_alu instid0(VALU_DEP_1) | instskip(NEXT) | instid1(VALU_DEP_2)
	v_add_co_u32 v0, vcc_lo, s42, v0
	v_add_co_ci_u32_e32 v1, vcc_lo, s43, v1, vcc_lo
	global_load_b32 v0, v[0:1], off
.LBB208_16:
	s_waitcnt vmcnt(0)
	v_ashrrev_i32_e32 v1, 31, v0
	v_lshlrev_b32_e32 v20, 9, v2
	s_and_not1_b32 vcc_lo, exec_lo, s45
	s_delay_alu instid0(VALU_DEP_2)
	v_lshlrev_b64 v[4:5], 3, v[0:1]
	s_cbranch_vccnz .LBB208_72
; %bb.17:
	s_delay_alu instid0(VALU_DEP_1) | instskip(NEXT) | instid1(VALU_DEP_2)
	v_add_co_u32 v0, vcc_lo, s24, v4
	v_add_co_ci_u32_e32 v1, vcc_lo, s25, v5, vcc_lo
	v_sub_co_u32 v8, s1, v19, s36
	s_delay_alu instid0(VALU_DEP_1)
	v_sub_co_ci_u32_e64 v9, null, 0, 0, s1
	global_load_b128 v[0:3], v[0:1], off
	s_mov_b32 s3, 0
	s_mov_b32 s1, exec_lo
	s_waitcnt vmcnt(0)
	v_sub_co_u32 v6, vcc_lo, v2, s36
	v_subrev_co_ci_u32_e32 v7, vcc_lo, 0, v3, vcc_lo
	v_add_co_u32 v8, vcc_lo, v0, v8
	v_add_co_ci_u32_e32 v9, vcc_lo, v1, v9, vcc_lo
	s_delay_alu instid0(VALU_DEP_1)
	v_cmpx_lt_i64_e64 v[8:9], v[6:7]
	s_cbranch_execz .LBB208_71
; %bb.18:
	v_add_nc_u32_e32 v22, 8, v20
	v_add_nc_u32_e32 v23, 16, v20
	;; [unrolled: 1-line block ×3, first 2 shown]
	s_cmp_eq_u32 s0, 0
	s_mov_b32 s15, s37
	s_cselect_b32 s20, 2, 1
	s_cselect_b32 s21, 1, 2
	s_branch .LBB208_20
.LBB208_19:                             ;   in Loop: Header=BB208_20 Depth=1
	s_or_b32 exec_lo, exec_lo, s24
	v_add_co_u32 v8, vcc_lo, v8, 16
	v_add_co_ci_u32_e32 v9, vcc_lo, 0, v9, vcc_lo
	s_delay_alu instid0(VALU_DEP_1) | instskip(SKIP_1) | instid1(SALU_CYCLE_1)
	v_cmp_ge_i64_e32 vcc_lo, v[8:9], v[6:7]
	s_or_b32 s3, vcc_lo, s3
	s_and_not1_b32 exec_lo, exec_lo, s3
	s_cbranch_execz .LBB208_71
.LBB208_20:                             ; =>This Loop Header: Depth=1
                                        ;     Child Loop BB208_23 Depth 2
                                        ;       Child Loop BB208_25 Depth 3
                                        ;       Child Loop BB208_37 Depth 3
	;; [unrolled: 1-line block ×4, first 2 shown]
	v_lshlrev_b64 v[10:11], 2, v[8:9]
	s_mov_b32 s24, exec_lo
	s_delay_alu instid0(VALU_DEP_1) | instskip(NEXT) | instid1(VALU_DEP_2)
	v_add_co_u32 v0, vcc_lo, s26, v10
	v_add_co_ci_u32_e32 v1, vcc_lo, s27, v11, vcc_lo
	global_load_b32 v0, v[0:1], off
	s_waitcnt vmcnt(0)
	v_subrev_nc_u32_e32 v0, s36, v0
	s_delay_alu instid0(VALU_DEP_1) | instskip(NEXT) | instid1(VALU_DEP_1)
	v_ashrrev_i32_e32 v1, 31, v0
	v_lshlrev_b64 v[0:1], 3, v[0:1]
	s_delay_alu instid0(VALU_DEP_1) | instskip(NEXT) | instid1(VALU_DEP_2)
	v_add_co_u32 v0, vcc_lo, s30, v0
	v_add_co_ci_u32_e32 v1, vcc_lo, s31, v1, vcc_lo
	global_load_b128 v[0:3], v[0:1], off
	s_waitcnt vmcnt(0)
	v_cmpx_lt_i64_e64 v[0:1], v[2:3]
	s_cbranch_execz .LBB208_19
; %bb.21:                               ;   in Loop: Header=BB208_20 Depth=1
	v_or_b32_e32 v15, 0, v11
	v_or_b32_e32 v14, s20, v10
	v_lshlrev_b64 v[12:13], 5, v[8:9]
	v_or_b32_e32 v11, 0, v11
	v_or_b32_e32 v10, s21, v10
	s_mov_b32 s25, 0
	v_lshlrev_b64 v[14:15], 3, v[14:15]
	s_delay_alu instid0(VALU_DEP_4) | instskip(NEXT) | instid1(VALU_DEP_3)
	v_add_co_u32 v12, vcc_lo, s28, v12
	v_lshlrev_b64 v[10:11], 3, v[10:11]
	v_add_co_ci_u32_e32 v13, vcc_lo, s29, v13, vcc_lo
	s_delay_alu instid0(VALU_DEP_4) | instskip(SKIP_1) | instid1(VALU_DEP_4)
	v_add_co_u32 v14, vcc_lo, s28, v14
	v_add_co_ci_u32_e32 v15, vcc_lo, s29, v15, vcc_lo
	v_add_co_u32 v10, vcc_lo, s28, v10
	v_add_co_ci_u32_e32 v11, vcc_lo, s29, v11, vcc_lo
	s_clause 0x3
	global_load_b64 v[16:17], v[12:13], off
	global_load_b64 v[14:15], v[14:15], off
	;; [unrolled: 1-line block ×3, first 2 shown]
	global_load_b64 v[12:13], v[12:13], off offset:24
	v_sub_co_u32 v2, vcc_lo, v2, s15
	v_subrev_co_ci_u32_e32 v3, vcc_lo, 0, v3, vcc_lo
	v_sub_co_u32 v0, vcc_lo, v0, s15
	v_subrev_co_ci_u32_e32 v1, vcc_lo, 0, v1, vcc_lo
	s_waitcnt vmcnt(3)
	v_mul_f32_e64 v25, v17, -s35
	v_mul_f32_e32 v26, s44, v17
	s_waitcnt vmcnt(2)
	v_mul_f32_e64 v27, v15, -s35
	s_waitcnt vmcnt(0)
	v_dual_mul_f32 v28, s44, v15 :: v_dual_mul_f32 v29, s44, v13
	v_fmac_f32_e32 v25, s44, v16
	v_fmac_f32_e32 v26, s35, v16
	v_mul_f32_e64 v30, v13, -s35
	v_mul_f32_e64 v32, v11, -s35
	v_fmac_f32_e32 v27, s44, v14
	v_dual_mul_f32 v31, s44, v11 :: v_dual_fmac_f32 v28, s35, v14
	s_delay_alu instid0(VALU_DEP_3) | instskip(NEXT) | instid1(VALU_DEP_2)
	v_dual_fmac_f32 v29, s35, v12 :: v_dual_fmac_f32 v32, s44, v10
	v_dual_fmac_f32 v30, s44, v12 :: v_dual_fmac_f32 v31, s35, v10
	s_branch .LBB208_23
.LBB208_22:                             ;   in Loop: Header=BB208_23 Depth=2
	s_or_b32 exec_lo, exec_lo, s40
	v_add_co_u32 v0, vcc_lo, v0, 1
	v_add_co_ci_u32_e32 v1, vcc_lo, 0, v1, vcc_lo
	s_delay_alu instid0(VALU_DEP_1) | instskip(SKIP_1) | instid1(SALU_CYCLE_1)
	v_cmp_ge_i64_e32 vcc_lo, v[0:1], v[2:3]
	s_or_b32 s25, vcc_lo, s25
	s_and_not1_b32 exec_lo, exec_lo, s25
	s_cbranch_execz .LBB208_19
.LBB208_23:                             ;   Parent Loop BB208_20 Depth=1
                                        ; =>  This Loop Header: Depth=2
                                        ;       Child Loop BB208_25 Depth 3
                                        ;       Child Loop BB208_37 Depth 3
	;; [unrolled: 1-line block ×4, first 2 shown]
	v_lshlrev_b64 v[10:11], 2, v[0:1]
	v_lshlrev_b64 v[33:34], 5, v[0:1]
	s_mov_b32 s40, 0
	s_delay_alu instid0(VALU_DEP_2) | instskip(NEXT) | instid1(VALU_DEP_3)
	v_or_b32_e32 v13, 0, v11
	v_or_b32_e32 v12, s20, v10
	s_delay_alu instid0(VALU_DEP_1) | instskip(NEXT) | instid1(VALU_DEP_1)
	v_lshlrev_b64 v[12:13], 3, v[12:13]
	v_add_co_u32 v12, vcc_lo, s18, v12
	s_delay_alu instid0(VALU_DEP_2)
	v_add_co_ci_u32_e32 v13, vcc_lo, s19, v13, vcc_lo
	v_add_co_u32 v14, vcc_lo, s16, v10
	v_add_co_ci_u32_e32 v15, vcc_lo, s17, v11, vcc_lo
	global_load_b64 v[16:17], v[12:13], off
	global_load_b32 v36, v[14:15], off
	v_or_b32_e32 v11, 0, v11
	v_or_b32_e32 v10, s21, v10
	v_add_co_u32 v12, vcc_lo, s18, v33
	v_add_co_ci_u32_e32 v13, vcc_lo, s19, v34, vcc_lo
	s_delay_alu instid0(VALU_DEP_3)
	v_lshlrev_b64 v[10:11], 3, v[10:11]
	global_load_b64 v[14:15], v[12:13], off
	v_add_co_u32 v10, vcc_lo, s18, v10
	v_add_co_ci_u32_e32 v11, vcc_lo, s19, v11, vcc_lo
	s_clause 0x1
	global_load_b64 v[10:11], v[10:11], off
	global_load_b64 v[12:13], v[12:13], off offset:24
	s_waitcnt vmcnt(4)
	v_mul_f32_e64 v37, v17, -v31
	s_waitcnt vmcnt(3)
	v_subrev_nc_u32_e32 v33, s37, v36
	s_delay_alu instid0(VALU_DEP_2) | instskip(NEXT) | instid1(VALU_DEP_2)
	v_fmac_f32_e32 v37, v32, v16
	v_lshl_add_u32 v34, v33, 3, v33
	s_delay_alu instid0(VALU_DEP_1) | instskip(NEXT) | instid1(VALU_DEP_1)
	v_dual_mul_f32 v35, v32, v17 :: v_dual_and_b32 v34, 15, v34
	v_fmac_f32_e32 v35, v31, v16
	s_waitcnt vmcnt(2)
	v_fmac_f32_e32 v37, v25, v14
	s_delay_alu instid0(VALU_DEP_2) | instskip(NEXT) | instid1(VALU_DEP_2)
	v_fmac_f32_e32 v35, v26, v14
	v_fma_f32 v36, -v26, v15, v37
	v_mov_b32_e32 v37, v34
	s_delay_alu instid0(VALU_DEP_3)
	v_fmac_f32_e32 v35, v25, v15
	s_branch .LBB208_25
.LBB208_24:                             ;   in Loop: Header=BB208_25 Depth=3
	s_or_b32 exec_lo, exec_lo, s41
	s_xor_b32 s41, s42, -1
	s_delay_alu instid0(SALU_CYCLE_1) | instskip(NEXT) | instid1(SALU_CYCLE_1)
	s_and_b32 s41, exec_lo, s41
	s_or_b32 s40, s41, s40
	s_delay_alu instid0(SALU_CYCLE_1)
	s_and_not1_b32 exec_lo, exec_lo, s40
	s_cbranch_execz .LBB208_35
.LBB208_25:                             ;   Parent Loop BB208_20 Depth=1
                                        ;     Parent Loop BB208_23 Depth=2
                                        ; =>    This Inner Loop Header: Depth=3
	s_delay_alu instid0(VALU_DEP_2)
	v_lshl_add_u32 v38, v37, 2, v18
	s_mov_b32 s41, exec_lo
                                        ; implicit-def: $sgpr42
	ds_load_b32 v39, v38
	s_waitcnt lgkmcnt(0)
	v_cmpx_ne_u32_e64 v39, v33
	s_xor_b32 s41, exec_lo, s41
	s_cbranch_execz .LBB208_33
; %bb.26:                               ;   in Loop: Header=BB208_25 Depth=3
	s_mov_b32 s43, exec_lo
                                        ; implicit-def: $sgpr42
	v_cmpx_ne_u32_e64 s2, v39
	s_xor_b32 s43, exec_lo, s43
; %bb.27:                               ;   in Loop: Header=BB208_25 Depth=3
	v_add_nc_u32_e32 v37, 1, v37
	s_mov_b32 s42, -1
                                        ; implicit-def: $vgpr38
	s_delay_alu instid0(VALU_DEP_1)
	v_and_b32_e32 v37, 15, v37
; %bb.28:                               ;   in Loop: Header=BB208_25 Depth=3
	s_and_not1_saveexec_b32 s43, s43
	s_cbranch_execz .LBB208_32
; %bb.29:                               ;   in Loop: Header=BB208_25 Depth=3
	v_mov_b32_e32 v39, s2
	s_mov_b32 s45, -1
	s_mov_b32 s46, exec_lo
	ds_cmpstore_rtn_b32 v38, v38, v33, v39
	s_waitcnt lgkmcnt(0)
	v_cmpx_eq_u32_e64 s2, v38
	s_cbranch_execz .LBB208_31
; %bb.30:                               ;   in Loop: Header=BB208_25 Depth=3
	v_lshl_add_u32 v38, v37, 5, v20
	s_xor_b32 s45, exec_lo, -1
	ds_add_f32 v38, v36
	ds_add_f32 v38, v35 offset:4
.LBB208_31:                             ;   in Loop: Header=BB208_25 Depth=3
	s_or_b32 exec_lo, exec_lo, s46
	s_delay_alu instid0(SALU_CYCLE_1) | instskip(SKIP_1) | instid1(SALU_CYCLE_1)
	s_and_not1_b32 s42, s42, exec_lo
	s_and_b32 s45, s45, exec_lo
	s_or_b32 s42, s42, s45
.LBB208_32:                             ;   in Loop: Header=BB208_25 Depth=3
	s_or_b32 exec_lo, exec_lo, s43
	s_delay_alu instid0(SALU_CYCLE_1)
	s_and_b32 s42, s42, exec_lo
.LBB208_33:                             ;   in Loop: Header=BB208_25 Depth=3
	s_and_not1_saveexec_b32 s41, s41
	s_cbranch_execz .LBB208_24
; %bb.34:                               ;   in Loop: Header=BB208_25 Depth=3
	v_lshl_add_u32 v38, v37, 5, v20
	s_and_not1_b32 s42, s42, exec_lo
	ds_add_f32 v38, v36
	ds_add_f32 v38, v35 offset:4
	s_branch .LBB208_24
.LBB208_35:                             ;   in Loop: Header=BB208_23 Depth=2
	s_or_b32 exec_lo, exec_lo, s40
	s_waitcnt vmcnt(0)
	v_mul_f32_e64 v36, v13, -v31
	v_mov_b32_e32 v37, v34
	s_mov_b32 s40, 0
	s_delay_alu instid0(VALU_DEP_2) | instskip(NEXT) | instid1(VALU_DEP_1)
	v_fmac_f32_e32 v36, v32, v12
	v_dual_mul_f32 v35, v32, v13 :: v_dual_fmac_f32 v36, v25, v10
	s_delay_alu instid0(VALU_DEP_1) | instskip(NEXT) | instid1(VALU_DEP_2)
	v_fmac_f32_e32 v35, v31, v12
	v_fma_f32 v36, -v26, v11, v36
	s_delay_alu instid0(VALU_DEP_2) | instskip(NEXT) | instid1(VALU_DEP_1)
	v_fmac_f32_e32 v35, v26, v10
	v_fmac_f32_e32 v35, v25, v11
	s_branch .LBB208_37
.LBB208_36:                             ;   in Loop: Header=BB208_37 Depth=3
	s_or_b32 exec_lo, exec_lo, s41
	s_xor_b32 s41, s42, -1
	s_delay_alu instid0(SALU_CYCLE_1) | instskip(NEXT) | instid1(SALU_CYCLE_1)
	s_and_b32 s41, exec_lo, s41
	s_or_b32 s40, s41, s40
	s_delay_alu instid0(SALU_CYCLE_1)
	s_and_not1_b32 exec_lo, exec_lo, s40
	s_cbranch_execz .LBB208_47
.LBB208_37:                             ;   Parent Loop BB208_20 Depth=1
                                        ;     Parent Loop BB208_23 Depth=2
                                        ; =>    This Inner Loop Header: Depth=3
	v_lshl_add_u32 v38, v37, 2, v18
	s_mov_b32 s41, exec_lo
                                        ; implicit-def: $sgpr42
	ds_load_b32 v39, v38
	s_waitcnt lgkmcnt(0)
	v_cmpx_ne_u32_e64 v39, v33
	s_xor_b32 s41, exec_lo, s41
	s_cbranch_execz .LBB208_45
; %bb.38:                               ;   in Loop: Header=BB208_37 Depth=3
	s_mov_b32 s43, exec_lo
                                        ; implicit-def: $sgpr42
	v_cmpx_ne_u32_e64 s2, v39
	s_xor_b32 s43, exec_lo, s43
; %bb.39:                               ;   in Loop: Header=BB208_37 Depth=3
	v_add_nc_u32_e32 v37, 1, v37
	s_mov_b32 s42, -1
                                        ; implicit-def: $vgpr38
	s_delay_alu instid0(VALU_DEP_1)
	v_and_b32_e32 v37, 15, v37
; %bb.40:                               ;   in Loop: Header=BB208_37 Depth=3
	s_and_not1_saveexec_b32 s43, s43
	s_cbranch_execz .LBB208_44
; %bb.41:                               ;   in Loop: Header=BB208_37 Depth=3
	v_mov_b32_e32 v39, s2
	s_mov_b32 s45, -1
	s_mov_b32 s46, exec_lo
	ds_cmpstore_rtn_b32 v38, v38, v33, v39
	s_waitcnt lgkmcnt(0)
	v_cmpx_eq_u32_e64 s2, v38
	s_cbranch_execz .LBB208_43
; %bb.42:                               ;   in Loop: Header=BB208_37 Depth=3
	v_lshl_add_u32 v38, v37, 5, v22
	s_xor_b32 s45, exec_lo, -1
	ds_add_f32 v38, v36
	ds_add_f32 v38, v35 offset:4
.LBB208_43:                             ;   in Loop: Header=BB208_37 Depth=3
	s_or_b32 exec_lo, exec_lo, s46
	s_delay_alu instid0(SALU_CYCLE_1) | instskip(SKIP_1) | instid1(SALU_CYCLE_1)
	s_and_not1_b32 s42, s42, exec_lo
	s_and_b32 s45, s45, exec_lo
	s_or_b32 s42, s42, s45
.LBB208_44:                             ;   in Loop: Header=BB208_37 Depth=3
	s_or_b32 exec_lo, exec_lo, s43
	s_delay_alu instid0(SALU_CYCLE_1)
	s_and_b32 s42, s42, exec_lo
.LBB208_45:                             ;   in Loop: Header=BB208_37 Depth=3
	s_and_not1_saveexec_b32 s41, s41
	s_cbranch_execz .LBB208_36
; %bb.46:                               ;   in Loop: Header=BB208_37 Depth=3
	v_lshl_add_u32 v38, v37, 5, v22
	s_and_not1_b32 s42, s42, exec_lo
	ds_add_f32 v38, v36
	ds_add_f32 v38, v35 offset:4
	s_branch .LBB208_36
.LBB208_47:                             ;   in Loop: Header=BB208_23 Depth=2
	s_or_b32 exec_lo, exec_lo, s40
	v_mul_f32_e64 v35, v17, -v29
	v_mul_f32_e32 v17, v30, v17
	s_mov_b32 s40, 0
	s_delay_alu instid0(VALU_DEP_2) | instskip(NEXT) | instid1(VALU_DEP_2)
	v_fmac_f32_e32 v35, v30, v16
	v_fmac_f32_e32 v17, v29, v16
	s_delay_alu instid0(VALU_DEP_2) | instskip(NEXT) | instid1(VALU_DEP_2)
	v_fmac_f32_e32 v35, v27, v14
	v_fmac_f32_e32 v17, v28, v14
	s_delay_alu instid0(VALU_DEP_2) | instskip(NEXT) | instid1(VALU_DEP_2)
	v_fma_f32 v14, -v28, v15, v35
	v_fmac_f32_e32 v17, v27, v15
	v_mov_b32_e32 v15, v34
	s_branch .LBB208_49
.LBB208_48:                             ;   in Loop: Header=BB208_49 Depth=3
	s_or_b32 exec_lo, exec_lo, s41
	s_xor_b32 s41, s42, -1
	s_delay_alu instid0(SALU_CYCLE_1) | instskip(NEXT) | instid1(SALU_CYCLE_1)
	s_and_b32 s41, exec_lo, s41
	s_or_b32 s40, s41, s40
	s_delay_alu instid0(SALU_CYCLE_1)
	s_and_not1_b32 exec_lo, exec_lo, s40
	s_cbranch_execz .LBB208_59
.LBB208_49:                             ;   Parent Loop BB208_20 Depth=1
                                        ;     Parent Loop BB208_23 Depth=2
                                        ; =>    This Inner Loop Header: Depth=3
	s_delay_alu instid0(VALU_DEP_1)
	v_lshl_add_u32 v16, v15, 2, v18
	s_mov_b32 s41, exec_lo
                                        ; implicit-def: $sgpr42
	ds_load_b32 v35, v16
	s_waitcnt lgkmcnt(0)
	v_cmpx_ne_u32_e64 v35, v33
	s_xor_b32 s41, exec_lo, s41
	s_cbranch_execz .LBB208_57
; %bb.50:                               ;   in Loop: Header=BB208_49 Depth=3
	s_mov_b32 s43, exec_lo
                                        ; implicit-def: $sgpr42
	v_cmpx_ne_u32_e64 s2, v35
	s_xor_b32 s43, exec_lo, s43
; %bb.51:                               ;   in Loop: Header=BB208_49 Depth=3
	v_add_nc_u32_e32 v15, 1, v15
	s_mov_b32 s42, -1
                                        ; implicit-def: $vgpr16
	s_delay_alu instid0(VALU_DEP_1)
	v_and_b32_e32 v15, 15, v15
; %bb.52:                               ;   in Loop: Header=BB208_49 Depth=3
	s_and_not1_saveexec_b32 s43, s43
	s_cbranch_execz .LBB208_56
; %bb.53:                               ;   in Loop: Header=BB208_49 Depth=3
	v_mov_b32_e32 v35, s2
	s_mov_b32 s45, -1
	s_mov_b32 s46, exec_lo
	ds_cmpstore_rtn_b32 v16, v16, v33, v35
	s_waitcnt lgkmcnt(0)
	v_cmpx_eq_u32_e64 s2, v16
	s_cbranch_execz .LBB208_55
; %bb.54:                               ;   in Loop: Header=BB208_49 Depth=3
	v_lshl_add_u32 v16, v15, 5, v23
	s_xor_b32 s45, exec_lo, -1
	ds_add_f32 v16, v14
	ds_add_f32 v16, v17 offset:4
.LBB208_55:                             ;   in Loop: Header=BB208_49 Depth=3
	s_or_b32 exec_lo, exec_lo, s46
	s_delay_alu instid0(SALU_CYCLE_1) | instskip(SKIP_1) | instid1(SALU_CYCLE_1)
	s_and_not1_b32 s42, s42, exec_lo
	s_and_b32 s45, s45, exec_lo
	s_or_b32 s42, s42, s45
.LBB208_56:                             ;   in Loop: Header=BB208_49 Depth=3
	s_or_b32 exec_lo, exec_lo, s43
	s_delay_alu instid0(SALU_CYCLE_1)
	s_and_b32 s42, s42, exec_lo
.LBB208_57:                             ;   in Loop: Header=BB208_49 Depth=3
	s_and_not1_saveexec_b32 s41, s41
	s_cbranch_execz .LBB208_48
; %bb.58:                               ;   in Loop: Header=BB208_49 Depth=3
	v_lshl_add_u32 v16, v15, 5, v23
	s_and_not1_b32 s42, s42, exec_lo
	ds_add_f32 v16, v14
	ds_add_f32 v16, v17 offset:4
	s_branch .LBB208_48
.LBB208_59:                             ;   in Loop: Header=BB208_23 Depth=2
	s_or_b32 exec_lo, exec_lo, s40
	v_mul_f32_e64 v14, v13, -v29
	s_mov_b32 s40, 0
	s_delay_alu instid0(VALU_DEP_1) | instskip(NEXT) | instid1(VALU_DEP_1)
	v_fmac_f32_e32 v14, v30, v12
	v_dual_mul_f32 v13, v30, v13 :: v_dual_fmac_f32 v14, v27, v10
	s_delay_alu instid0(VALU_DEP_1) | instskip(NEXT) | instid1(VALU_DEP_1)
	v_fmac_f32_e32 v13, v29, v12
	v_fmac_f32_e32 v13, v28, v10
	s_delay_alu instid0(VALU_DEP_3) | instskip(NEXT) | instid1(VALU_DEP_2)
	v_fma_f32 v10, -v28, v11, v14
	v_fmac_f32_e32 v13, v27, v11
	s_branch .LBB208_61
.LBB208_60:                             ;   in Loop: Header=BB208_61 Depth=3
	s_or_b32 exec_lo, exec_lo, s41
	s_xor_b32 s41, s42, -1
	s_delay_alu instid0(SALU_CYCLE_1) | instskip(NEXT) | instid1(SALU_CYCLE_1)
	s_and_b32 s41, exec_lo, s41
	s_or_b32 s40, s41, s40
	s_delay_alu instid0(SALU_CYCLE_1)
	s_and_not1_b32 exec_lo, exec_lo, s40
	s_cbranch_execz .LBB208_22
.LBB208_61:                             ;   Parent Loop BB208_20 Depth=1
                                        ;     Parent Loop BB208_23 Depth=2
                                        ; =>    This Inner Loop Header: Depth=3
	v_lshl_add_u32 v11, v34, 2, v18
	s_mov_b32 s41, exec_lo
                                        ; implicit-def: $sgpr42
	ds_load_b32 v12, v11
	s_waitcnt lgkmcnt(0)
	v_cmpx_ne_u32_e64 v12, v33
	s_xor_b32 s41, exec_lo, s41
	s_cbranch_execz .LBB208_69
; %bb.62:                               ;   in Loop: Header=BB208_61 Depth=3
	s_mov_b32 s43, exec_lo
                                        ; implicit-def: $sgpr42
	v_cmpx_ne_u32_e64 s2, v12
	s_xor_b32 s43, exec_lo, s43
; %bb.63:                               ;   in Loop: Header=BB208_61 Depth=3
	v_add_nc_u32_e32 v11, 1, v34
	s_mov_b32 s42, -1
	s_delay_alu instid0(VALU_DEP_1)
	v_and_b32_e32 v34, 15, v11
                                        ; implicit-def: $vgpr11
; %bb.64:                               ;   in Loop: Header=BB208_61 Depth=3
	s_and_not1_saveexec_b32 s43, s43
	s_cbranch_execz .LBB208_68
; %bb.65:                               ;   in Loop: Header=BB208_61 Depth=3
	v_mov_b32_e32 v12, s2
	s_mov_b32 s45, -1
	s_mov_b32 s46, exec_lo
	ds_cmpstore_rtn_b32 v11, v11, v33, v12
	s_waitcnt lgkmcnt(0)
	v_cmpx_eq_u32_e64 s2, v11
	s_cbranch_execz .LBB208_67
; %bb.66:                               ;   in Loop: Header=BB208_61 Depth=3
	v_lshl_add_u32 v11, v34, 5, v24
	s_xor_b32 s45, exec_lo, -1
	ds_add_f32 v11, v10
	ds_add_f32 v11, v13 offset:4
.LBB208_67:                             ;   in Loop: Header=BB208_61 Depth=3
	s_or_b32 exec_lo, exec_lo, s46
	s_delay_alu instid0(SALU_CYCLE_1) | instskip(SKIP_1) | instid1(SALU_CYCLE_1)
	s_and_not1_b32 s42, s42, exec_lo
	s_and_b32 s45, s45, exec_lo
	s_or_b32 s42, s42, s45
.LBB208_68:                             ;   in Loop: Header=BB208_61 Depth=3
	s_or_b32 exec_lo, exec_lo, s43
	s_delay_alu instid0(SALU_CYCLE_1)
	s_and_b32 s42, s42, exec_lo
.LBB208_69:                             ;   in Loop: Header=BB208_61 Depth=3
	s_and_not1_saveexec_b32 s41, s41
	s_cbranch_execz .LBB208_60
; %bb.70:                               ;   in Loop: Header=BB208_61 Depth=3
	v_lshl_add_u32 v11, v34, 5, v24
	s_and_not1_b32 s42, s42, exec_lo
	ds_add_f32 v11, v10
	ds_add_f32 v11, v13 offset:4
	s_branch .LBB208_60
.LBB208_71:
	s_or_b32 exec_lo, exec_lo, s1
.LBB208_72:
	s_delay_alu instid0(SALU_CYCLE_1)
	s_and_not1_b32 vcc_lo, exec_lo, s34
	s_waitcnt lgkmcnt(0)
	buffer_gl0_inv
	s_cbranch_vccnz .LBB208_125
; %bb.73:
	v_add_co_u32 v0, vcc_lo, s22, v4
	v_add_co_ci_u32_e32 v1, vcc_lo, s23, v5, vcc_lo
	v_sub_co_u32 v2, s1, v19, s39
	s_delay_alu instid0(VALU_DEP_1)
	v_sub_co_ci_u32_e64 v3, null, 0, 0, s1
	global_load_b128 v[6:9], v[0:1], off
	s_mov_b32 s3, 0
	s_mov_b32 s1, exec_lo
	s_waitcnt vmcnt(0)
	v_sub_co_u32 v0, vcc_lo, v8, s39
	v_subrev_co_ci_u32_e32 v1, vcc_lo, 0, v9, vcc_lo
	v_add_co_u32 v2, vcc_lo, v6, v2
	v_add_co_ci_u32_e32 v3, vcc_lo, v7, v3, vcc_lo
	s_delay_alu instid0(VALU_DEP_1)
	v_cmpx_lt_i64_e64 v[2:3], v[0:1]
	s_cbranch_execz .LBB208_124
; %bb.74:
	v_add_nc_u32_e32 v12, 8, v20
	v_add_nc_u32_e32 v13, 16, v20
	;; [unrolled: 1-line block ×3, first 2 shown]
	s_cmp_eq_u32 s0, 0
	s_cselect_b32 s15, 1, 2
	s_cselect_b32 s16, 2, 1
	s_branch .LBB208_76
.LBB208_75:                             ;   in Loop: Header=BB208_76 Depth=1
	s_or_b32 exec_lo, exec_lo, s17
	v_add_co_u32 v2, vcc_lo, v2, 16
	v_add_co_ci_u32_e32 v3, vcc_lo, 0, v3, vcc_lo
	s_delay_alu instid0(VALU_DEP_1) | instskip(SKIP_1) | instid1(SALU_CYCLE_1)
	v_cmp_ge_i64_e32 vcc_lo, v[2:3], v[0:1]
	s_or_b32 s3, vcc_lo, s3
	s_and_not1_b32 exec_lo, exec_lo, s3
	s_cbranch_execz .LBB208_124
.LBB208_76:                             ; =>This Loop Header: Depth=1
                                        ;     Child Loop BB208_78 Depth 2
                                        ;     Child Loop BB208_90 Depth 2
	;; [unrolled: 1-line block ×4, first 2 shown]
	v_lshlrev_b64 v[6:7], 2, v[2:3]
	v_lshlrev_b64 v[8:9], 5, v[2:3]
	s_mov_b32 s17, 0
	s_delay_alu instid0(VALU_DEP_2) | instskip(NEXT) | instid1(VALU_DEP_3)
	v_add_co_u32 v15, vcc_lo, s4, v6
	v_add_co_ci_u32_e32 v16, vcc_lo, s5, v7, vcc_lo
	v_or_b32_e32 v11, 0, v7
	v_or_b32_e32 v10, s15, v6
	v_add_co_u32 v8, vcc_lo, s6, v8
	global_load_b32 v17, v[15:16], off
	v_or_b32_e32 v7, 0, v7
	v_or_b32_e32 v6, s16, v6
	v_add_co_ci_u32_e32 v9, vcc_lo, s7, v9, vcc_lo
	v_lshlrev_b64 v[10:11], 3, v[10:11]
	s_delay_alu instid0(VALU_DEP_3)
	v_lshlrev_b64 v[6:7], 3, v[6:7]
	global_load_b64 v[23:24], v[8:9], off
	v_add_co_u32 v10, vcc_lo, s6, v10
	v_add_co_ci_u32_e32 v11, vcc_lo, s7, v11, vcc_lo
	v_add_co_u32 v15, vcc_lo, s6, v6
	v_add_co_ci_u32_e32 v16, vcc_lo, s7, v7, vcc_lo
	s_clause 0x2
	global_load_b64 v[6:7], v[8:9], off offset:24
	global_load_b64 v[10:11], v[10:11], off
	global_load_b64 v[8:9], v[15:16], off
	s_waitcnt vmcnt(4)
	v_subrev_nc_u32_e32 v15, s39, v17
	s_delay_alu instid0(VALU_DEP_1) | instskip(SKIP_3) | instid1(VALU_DEP_2)
	v_lshl_add_u32 v16, v15, 3, v15
	s_waitcnt vmcnt(3)
	v_mul_f32_e64 v17, v24, -s33
	v_mul_f32_e32 v22, s14, v24
	v_dual_fmac_f32 v17, s14, v23 :: v_dual_and_b32 v16, 15, v16
	s_delay_alu instid0(VALU_DEP_1)
	v_dual_fmac_f32 v22, s33, v23 :: v_dual_mov_b32 v23, v16
	s_branch .LBB208_78
.LBB208_77:                             ;   in Loop: Header=BB208_78 Depth=2
	s_or_b32 exec_lo, exec_lo, s18
	s_xor_b32 s18, s19, -1
	s_delay_alu instid0(SALU_CYCLE_1) | instskip(NEXT) | instid1(SALU_CYCLE_1)
	s_and_b32 s18, exec_lo, s18
	s_or_b32 s17, s18, s17
	s_delay_alu instid0(SALU_CYCLE_1)
	s_and_not1_b32 exec_lo, exec_lo, s17
	s_cbranch_execz .LBB208_88
.LBB208_78:                             ;   Parent Loop BB208_76 Depth=1
                                        ; =>  This Inner Loop Header: Depth=2
	s_delay_alu instid0(VALU_DEP_1)
	v_lshl_add_u32 v24, v23, 2, v18
	s_mov_b32 s18, exec_lo
                                        ; implicit-def: $sgpr19
	ds_load_b32 v25, v24
	s_waitcnt lgkmcnt(0)
	v_cmpx_ne_u32_e64 v25, v15
	s_xor_b32 s18, exec_lo, s18
	s_cbranch_execz .LBB208_86
; %bb.79:                               ;   in Loop: Header=BB208_78 Depth=2
	s_mov_b32 s20, exec_lo
                                        ; implicit-def: $sgpr19
	v_cmpx_ne_u32_e64 s2, v25
	s_xor_b32 s20, exec_lo, s20
; %bb.80:                               ;   in Loop: Header=BB208_78 Depth=2
	v_add_nc_u32_e32 v23, 1, v23
	s_mov_b32 s19, -1
                                        ; implicit-def: $vgpr24
	s_delay_alu instid0(VALU_DEP_1)
	v_and_b32_e32 v23, 15, v23
; %bb.81:                               ;   in Loop: Header=BB208_78 Depth=2
	s_and_not1_saveexec_b32 s20, s20
	s_cbranch_execz .LBB208_85
; %bb.82:                               ;   in Loop: Header=BB208_78 Depth=2
	v_mov_b32_e32 v25, s2
	s_mov_b32 s21, -1
	s_mov_b32 s22, exec_lo
	ds_cmpstore_rtn_b32 v24, v24, v15, v25
	s_waitcnt lgkmcnt(0)
	v_cmpx_eq_u32_e64 s2, v24
	s_cbranch_execz .LBB208_84
; %bb.83:                               ;   in Loop: Header=BB208_78 Depth=2
	v_lshl_add_u32 v24, v23, 5, v20
	s_xor_b32 s21, exec_lo, -1
	ds_add_f32 v24, v17
	ds_add_f32 v24, v22 offset:4
.LBB208_84:                             ;   in Loop: Header=BB208_78 Depth=2
	s_or_b32 exec_lo, exec_lo, s22
	s_delay_alu instid0(SALU_CYCLE_1) | instskip(SKIP_1) | instid1(SALU_CYCLE_1)
	s_and_not1_b32 s19, s19, exec_lo
	s_and_b32 s21, s21, exec_lo
	s_or_b32 s19, s19, s21
.LBB208_85:                             ;   in Loop: Header=BB208_78 Depth=2
	s_or_b32 exec_lo, exec_lo, s20
	s_delay_alu instid0(SALU_CYCLE_1)
	s_and_b32 s19, s19, exec_lo
.LBB208_86:                             ;   in Loop: Header=BB208_78 Depth=2
	s_and_not1_saveexec_b32 s18, s18
	s_cbranch_execz .LBB208_77
; %bb.87:                               ;   in Loop: Header=BB208_78 Depth=2
	v_lshl_add_u32 v24, v23, 5, v20
	s_and_not1_b32 s19, s19, exec_lo
	ds_add_f32 v24, v17
	ds_add_f32 v24, v22 offset:4
	s_branch .LBB208_77
.LBB208_88:                             ;   in Loop: Header=BB208_76 Depth=1
	s_or_b32 exec_lo, exec_lo, s17
	s_waitcnt vmcnt(1)
	v_mul_f32_e64 v17, v11, -s33
	v_mul_f32_e32 v11, s14, v11
	s_mov_b32 s17, 0
	s_delay_alu instid0(VALU_DEP_2) | instskip(NEXT) | instid1(VALU_DEP_2)
	v_fmac_f32_e32 v17, s14, v10
	v_dual_fmac_f32 v11, s33, v10 :: v_dual_mov_b32 v10, v16
	s_branch .LBB208_90
.LBB208_89:                             ;   in Loop: Header=BB208_90 Depth=2
	s_or_b32 exec_lo, exec_lo, s18
	s_xor_b32 s18, s19, -1
	s_delay_alu instid0(SALU_CYCLE_1) | instskip(NEXT) | instid1(SALU_CYCLE_1)
	s_and_b32 s18, exec_lo, s18
	s_or_b32 s17, s18, s17
	s_delay_alu instid0(SALU_CYCLE_1)
	s_and_not1_b32 exec_lo, exec_lo, s17
	s_cbranch_execz .LBB208_100
.LBB208_90:                             ;   Parent Loop BB208_76 Depth=1
                                        ; =>  This Inner Loop Header: Depth=2
	s_delay_alu instid0(VALU_DEP_1)
	v_lshl_add_u32 v22, v10, 2, v18
	s_mov_b32 s18, exec_lo
                                        ; implicit-def: $sgpr19
	ds_load_b32 v23, v22
	s_waitcnt lgkmcnt(0)
	v_cmpx_ne_u32_e64 v23, v15
	s_xor_b32 s18, exec_lo, s18
	s_cbranch_execz .LBB208_98
; %bb.91:                               ;   in Loop: Header=BB208_90 Depth=2
	s_mov_b32 s20, exec_lo
                                        ; implicit-def: $sgpr19
	v_cmpx_ne_u32_e64 s2, v23
	s_xor_b32 s20, exec_lo, s20
; %bb.92:                               ;   in Loop: Header=BB208_90 Depth=2
	v_add_nc_u32_e32 v10, 1, v10
	s_mov_b32 s19, -1
                                        ; implicit-def: $vgpr22
	s_delay_alu instid0(VALU_DEP_1)
	v_and_b32_e32 v10, 15, v10
; %bb.93:                               ;   in Loop: Header=BB208_90 Depth=2
	s_and_not1_saveexec_b32 s20, s20
	s_cbranch_execz .LBB208_97
; %bb.94:                               ;   in Loop: Header=BB208_90 Depth=2
	v_mov_b32_e32 v23, s2
	s_mov_b32 s21, -1
	s_mov_b32 s22, exec_lo
	ds_cmpstore_rtn_b32 v22, v22, v15, v23
	s_waitcnt lgkmcnt(0)
	v_cmpx_eq_u32_e64 s2, v22
	s_cbranch_execz .LBB208_96
; %bb.95:                               ;   in Loop: Header=BB208_90 Depth=2
	v_lshl_add_u32 v22, v10, 5, v12
	s_xor_b32 s21, exec_lo, -1
	ds_add_f32 v22, v17
	ds_add_f32 v22, v11 offset:4
.LBB208_96:                             ;   in Loop: Header=BB208_90 Depth=2
	s_or_b32 exec_lo, exec_lo, s22
	s_delay_alu instid0(SALU_CYCLE_1) | instskip(SKIP_1) | instid1(SALU_CYCLE_1)
	s_and_not1_b32 s19, s19, exec_lo
	s_and_b32 s21, s21, exec_lo
	s_or_b32 s19, s19, s21
.LBB208_97:                             ;   in Loop: Header=BB208_90 Depth=2
	s_or_b32 exec_lo, exec_lo, s20
	s_delay_alu instid0(SALU_CYCLE_1)
	s_and_b32 s19, s19, exec_lo
.LBB208_98:                             ;   in Loop: Header=BB208_90 Depth=2
	s_and_not1_saveexec_b32 s18, s18
	s_cbranch_execz .LBB208_89
; %bb.99:                               ;   in Loop: Header=BB208_90 Depth=2
	v_lshl_add_u32 v22, v10, 5, v12
	s_and_not1_b32 s19, s19, exec_lo
	ds_add_f32 v22, v17
	ds_add_f32 v22, v11 offset:4
	s_branch .LBB208_89
.LBB208_100:                            ;   in Loop: Header=BB208_76 Depth=1
	s_or_b32 exec_lo, exec_lo, s17
	s_waitcnt vmcnt(0)
	v_mul_f32_e64 v10, v9, -s33
	v_mul_f32_e32 v9, s14, v9
	s_mov_b32 s17, 0
	s_delay_alu instid0(VALU_DEP_2) | instskip(NEXT) | instid1(VALU_DEP_2)
	v_fmac_f32_e32 v10, s14, v8
	v_dual_fmac_f32 v9, s33, v8 :: v_dual_mov_b32 v8, v16
	s_branch .LBB208_102
.LBB208_101:                            ;   in Loop: Header=BB208_102 Depth=2
	s_or_b32 exec_lo, exec_lo, s18
	s_xor_b32 s18, s19, -1
	s_delay_alu instid0(SALU_CYCLE_1) | instskip(NEXT) | instid1(SALU_CYCLE_1)
	s_and_b32 s18, exec_lo, s18
	s_or_b32 s17, s18, s17
	s_delay_alu instid0(SALU_CYCLE_1)
	s_and_not1_b32 exec_lo, exec_lo, s17
	s_cbranch_execz .LBB208_112
.LBB208_102:                            ;   Parent Loop BB208_76 Depth=1
                                        ; =>  This Inner Loop Header: Depth=2
	s_delay_alu instid0(VALU_DEP_1)
	v_lshl_add_u32 v11, v8, 2, v18
	s_mov_b32 s18, exec_lo
                                        ; implicit-def: $sgpr19
	ds_load_b32 v17, v11
	s_waitcnt lgkmcnt(0)
	v_cmpx_ne_u32_e64 v17, v15
	s_xor_b32 s18, exec_lo, s18
	s_cbranch_execz .LBB208_110
; %bb.103:                              ;   in Loop: Header=BB208_102 Depth=2
	s_mov_b32 s20, exec_lo
                                        ; implicit-def: $sgpr19
	v_cmpx_ne_u32_e64 s2, v17
	s_xor_b32 s20, exec_lo, s20
; %bb.104:                              ;   in Loop: Header=BB208_102 Depth=2
	v_add_nc_u32_e32 v8, 1, v8
	s_mov_b32 s19, -1
                                        ; implicit-def: $vgpr11
	s_delay_alu instid0(VALU_DEP_1)
	v_and_b32_e32 v8, 15, v8
; %bb.105:                              ;   in Loop: Header=BB208_102 Depth=2
	s_and_not1_saveexec_b32 s20, s20
	s_cbranch_execz .LBB208_109
; %bb.106:                              ;   in Loop: Header=BB208_102 Depth=2
	v_mov_b32_e32 v17, s2
	s_mov_b32 s21, -1
	s_mov_b32 s22, exec_lo
	ds_cmpstore_rtn_b32 v11, v11, v15, v17
	s_waitcnt lgkmcnt(0)
	v_cmpx_eq_u32_e64 s2, v11
	s_cbranch_execz .LBB208_108
; %bb.107:                              ;   in Loop: Header=BB208_102 Depth=2
	v_lshl_add_u32 v11, v8, 5, v13
	s_xor_b32 s21, exec_lo, -1
	ds_add_f32 v11, v10
	ds_add_f32 v11, v9 offset:4
.LBB208_108:                            ;   in Loop: Header=BB208_102 Depth=2
	s_or_b32 exec_lo, exec_lo, s22
	s_delay_alu instid0(SALU_CYCLE_1) | instskip(SKIP_1) | instid1(SALU_CYCLE_1)
	s_and_not1_b32 s19, s19, exec_lo
	s_and_b32 s21, s21, exec_lo
	s_or_b32 s19, s19, s21
.LBB208_109:                            ;   in Loop: Header=BB208_102 Depth=2
	s_or_b32 exec_lo, exec_lo, s20
	s_delay_alu instid0(SALU_CYCLE_1)
	s_and_b32 s19, s19, exec_lo
.LBB208_110:                            ;   in Loop: Header=BB208_102 Depth=2
	s_and_not1_saveexec_b32 s18, s18
	s_cbranch_execz .LBB208_101
; %bb.111:                              ;   in Loop: Header=BB208_102 Depth=2
	v_lshl_add_u32 v11, v8, 5, v13
	s_and_not1_b32 s19, s19, exec_lo
	ds_add_f32 v11, v10
	ds_add_f32 v11, v9 offset:4
	s_branch .LBB208_101
.LBB208_112:                            ;   in Loop: Header=BB208_76 Depth=1
	s_or_b32 exec_lo, exec_lo, s17
	v_mul_f32_e64 v8, v7, -s33
	v_mul_f32_e32 v7, s14, v7
	s_mov_b32 s17, 0
	s_delay_alu instid0(VALU_DEP_2) | instskip(NEXT) | instid1(VALU_DEP_2)
	v_fmac_f32_e32 v8, s14, v6
	v_fmac_f32_e32 v7, s33, v6
	s_branch .LBB208_114
.LBB208_113:                            ;   in Loop: Header=BB208_114 Depth=2
	s_or_b32 exec_lo, exec_lo, s18
	s_xor_b32 s18, s19, -1
	s_delay_alu instid0(SALU_CYCLE_1) | instskip(NEXT) | instid1(SALU_CYCLE_1)
	s_and_b32 s18, exec_lo, s18
	s_or_b32 s17, s18, s17
	s_delay_alu instid0(SALU_CYCLE_1)
	s_and_not1_b32 exec_lo, exec_lo, s17
	s_cbranch_execz .LBB208_75
.LBB208_114:                            ;   Parent Loop BB208_76 Depth=1
                                        ; =>  This Inner Loop Header: Depth=2
	v_lshl_add_u32 v6, v16, 2, v18
	s_mov_b32 s18, exec_lo
                                        ; implicit-def: $sgpr19
	ds_load_b32 v9, v6
	s_waitcnt lgkmcnt(0)
	v_cmpx_ne_u32_e64 v9, v15
	s_xor_b32 s18, exec_lo, s18
	s_cbranch_execz .LBB208_122
; %bb.115:                              ;   in Loop: Header=BB208_114 Depth=2
	s_mov_b32 s20, exec_lo
                                        ; implicit-def: $sgpr19
	v_cmpx_ne_u32_e64 s2, v9
	s_xor_b32 s20, exec_lo, s20
; %bb.116:                              ;   in Loop: Header=BB208_114 Depth=2
	v_add_nc_u32_e32 v6, 1, v16
	s_mov_b32 s19, -1
	s_delay_alu instid0(VALU_DEP_1)
	v_and_b32_e32 v16, 15, v6
                                        ; implicit-def: $vgpr6
; %bb.117:                              ;   in Loop: Header=BB208_114 Depth=2
	s_and_not1_saveexec_b32 s20, s20
	s_cbranch_execz .LBB208_121
; %bb.118:                              ;   in Loop: Header=BB208_114 Depth=2
	v_mov_b32_e32 v9, s2
	s_mov_b32 s21, -1
	s_mov_b32 s22, exec_lo
	ds_cmpstore_rtn_b32 v6, v6, v15, v9
	s_waitcnt lgkmcnt(0)
	v_cmpx_eq_u32_e64 s2, v6
	s_cbranch_execz .LBB208_120
; %bb.119:                              ;   in Loop: Header=BB208_114 Depth=2
	v_lshl_add_u32 v6, v16, 5, v14
	s_xor_b32 s21, exec_lo, -1
	ds_add_f32 v6, v8
	ds_add_f32 v6, v7 offset:4
.LBB208_120:                            ;   in Loop: Header=BB208_114 Depth=2
	s_or_b32 exec_lo, exec_lo, s22
	s_delay_alu instid0(SALU_CYCLE_1) | instskip(SKIP_1) | instid1(SALU_CYCLE_1)
	s_and_not1_b32 s19, s19, exec_lo
	s_and_b32 s21, s21, exec_lo
	s_or_b32 s19, s19, s21
.LBB208_121:                            ;   in Loop: Header=BB208_114 Depth=2
	s_or_b32 exec_lo, exec_lo, s20
	s_delay_alu instid0(SALU_CYCLE_1)
	s_and_b32 s19, s19, exec_lo
.LBB208_122:                            ;   in Loop: Header=BB208_114 Depth=2
	s_and_not1_saveexec_b32 s18, s18
	s_cbranch_execz .LBB208_113
; %bb.123:                              ;   in Loop: Header=BB208_114 Depth=2
	v_lshl_add_u32 v6, v16, 5, v14
	s_and_not1_b32 s19, s19, exec_lo
	ds_add_f32 v6, v8
	ds_add_f32 v6, v7 offset:4
	s_branch .LBB208_113
.LBB208_124:
	s_or_b32 exec_lo, exec_lo, s1
.LBB208_125:
	s_waitcnt lgkmcnt(0)
	buffer_gl0_inv
	ds_load_b32 v0, v21
	s_waitcnt lgkmcnt(0)
	v_cmp_gt_i32_e32 vcc_lo, s2, v0
	s_and_b32 exec_lo, exec_lo, vcc_lo
	s_cbranch_execz .LBB208_127
; %bb.126:
	v_add_co_u32 v1, vcc_lo, s8, v4
	v_add_co_ci_u32_e32 v2, vcc_lo, s9, v5, vcc_lo
	v_lshlrev_b32_e32 v9, 2, v19
	s_cmp_eq_u32 s0, 0
	v_lshl_add_u32 v17, v19, 5, v20
	global_load_b64 v[25:26], v[1:2], off
	ds_load_b128 v[1:4], v18
	ds_load_b128 v[5:8], v18 offset:16
	s_cselect_b32 s0, 1, 2
	s_cselect_b32 s1, 2, 1
	v_or_b32_e32 v19, s0, v9
	v_or_b32_e32 v27, s1, v9
	ds_load_b128 v[9:12], v18 offset:32
	ds_load_b128 v[13:16], v18 offset:48
	ds_load_2addr_b64 v[21:24], v17 offset1:3
	v_lshl_add_u32 v17, v19, 3, v20
	v_lshl_add_u32 v18, v27, 3, v20
	s_waitcnt lgkmcnt(4)
	v_cmp_gt_i32_e32 vcc_lo, v0, v1
	v_cndmask_b32_e64 v1, 0, 1, vcc_lo
	s_waitcnt vmcnt(0)
	v_sub_co_u32 v19, vcc_lo, v25, s38
	v_subrev_co_ci_u32_e32 v20, vcc_lo, 0, v26, vcc_lo
	v_cmp_gt_i32_e32 vcc_lo, v0, v2
	v_cndmask_b32_e64 v2, 0, 1, vcc_lo
	s_delay_alu instid0(VALU_DEP_4) | instskip(NEXT) | instid1(VALU_DEP_4)
	v_add_co_u32 v1, vcc_lo, v19, v1
	v_add_co_ci_u32_e32 v19, vcc_lo, 0, v20, vcc_lo
	v_cmp_gt_i32_e32 vcc_lo, v0, v3
	v_cndmask_b32_e64 v3, 0, 1, vcc_lo
	s_delay_alu instid0(VALU_DEP_4) | instskip(NEXT) | instid1(VALU_DEP_4)
	v_add_co_u32 v1, vcc_lo, v1, v2
	v_add_co_ci_u32_e32 v2, vcc_lo, 0, v19, vcc_lo
	v_cmp_gt_i32_e32 vcc_lo, v0, v4
	v_cndmask_b32_e64 v4, 0, 1, vcc_lo
	s_delay_alu instid0(VALU_DEP_4) | instskip(NEXT) | instid1(VALU_DEP_4)
	v_add_co_u32 v1, vcc_lo, v1, v3
	v_add_co_ci_u32_e32 v2, vcc_lo, 0, v2, vcc_lo
	s_waitcnt lgkmcnt(3)
	v_cmp_gt_i32_e32 vcc_lo, v0, v5
	v_cndmask_b32_e64 v3, 0, 1, vcc_lo
	v_add_co_u32 v1, vcc_lo, v1, v4
	v_add_co_ci_u32_e32 v2, vcc_lo, 0, v2, vcc_lo
	v_cmp_gt_i32_e32 vcc_lo, v0, v6
	v_cndmask_b32_e64 v4, 0, 1, vcc_lo
	s_delay_alu instid0(VALU_DEP_4) | instskip(NEXT) | instid1(VALU_DEP_4)
	v_add_co_u32 v1, vcc_lo, v1, v3
	v_add_co_ci_u32_e32 v2, vcc_lo, 0, v2, vcc_lo
	v_cmp_gt_i32_e32 vcc_lo, v0, v7
	v_cndmask_b32_e64 v3, 0, 1, vcc_lo
	s_delay_alu instid0(VALU_DEP_4) | instskip(NEXT) | instid1(VALU_DEP_4)
	v_add_co_u32 v1, vcc_lo, v1, v4
	v_add_co_ci_u32_e32 v2, vcc_lo, 0, v2, vcc_lo
	v_cmp_gt_i32_e32 vcc_lo, v0, v8
	v_cndmask_b32_e64 v4, 0, 1, vcc_lo
	s_delay_alu instid0(VALU_DEP_4) | instskip(NEXT) | instid1(VALU_DEP_4)
	v_add_co_u32 v1, vcc_lo, v1, v3
	v_add_co_ci_u32_e32 v2, vcc_lo, 0, v2, vcc_lo
	s_waitcnt lgkmcnt(2)
	v_cmp_gt_i32_e32 vcc_lo, v0, v9
	v_cndmask_b32_e64 v3, 0, 1, vcc_lo
	v_add_co_u32 v1, vcc_lo, v1, v4
	v_add_co_ci_u32_e32 v2, vcc_lo, 0, v2, vcc_lo
	;; [unrolled: 20-line block ×3, first 2 shown]
	v_cmp_gt_i32_e32 vcc_lo, v0, v14
	v_cndmask_b32_e64 v4, 0, 1, vcc_lo
	s_delay_alu instid0(VALU_DEP_4) | instskip(NEXT) | instid1(VALU_DEP_4)
	v_add_co_u32 v1, vcc_lo, v1, v3
	v_add_co_ci_u32_e32 v2, vcc_lo, 0, v2, vcc_lo
	v_cmp_gt_i32_e32 vcc_lo, v0, v15
	v_cndmask_b32_e64 v3, 0, 1, vcc_lo
	s_delay_alu instid0(VALU_DEP_4) | instskip(NEXT) | instid1(VALU_DEP_4)
	v_add_co_u32 v1, vcc_lo, v1, v4
	v_add_co_ci_u32_e32 v2, vcc_lo, 0, v2, vcc_lo
	v_cmp_gt_i32_e32 vcc_lo, v0, v16
	v_add_nc_u32_e32 v0, s38, v0
	v_cndmask_b32_e64 v4, 0, 1, vcc_lo
	v_add_co_u32 v3, vcc_lo, v1, v3
	v_add_co_ci_u32_e32 v2, vcc_lo, 0, v2, vcc_lo
	s_waitcnt lgkmcnt(0)
	v_mov_b32_e32 v1, v21
	s_delay_alu instid0(VALU_DEP_3) | instskip(NEXT) | instid1(VALU_DEP_3)
	v_add_co_u32 v5, vcc_lo, v3, v4
	v_add_co_ci_u32_e32 v6, vcc_lo, 0, v2, vcc_lo
	v_mov_b32_e32 v2, v22
	ds_load_b64 v[3:4], v17
	ds_load_b64 v[21:22], v18
	v_lshlrev_b64 v[7:8], 2, v[5:6]
	v_lshlrev_b64 v[5:6], 5, v[5:6]
	s_delay_alu instid0(VALU_DEP_2) | instskip(NEXT) | instid1(VALU_DEP_3)
	v_add_co_u32 v7, vcc_lo, s10, v7
	v_add_co_ci_u32_e32 v8, vcc_lo, s11, v8, vcc_lo
	s_delay_alu instid0(VALU_DEP_3) | instskip(NEXT) | instid1(VALU_DEP_4)
	v_add_co_u32 v5, vcc_lo, s12, v5
	v_add_co_ci_u32_e32 v6, vcc_lo, s13, v6, vcc_lo
	global_store_b32 v[7:8], v0, off
	s_waitcnt lgkmcnt(1)
	global_store_b128 v[5:6], v[1:4], off
	s_waitcnt lgkmcnt(0)
	global_store_b128 v[5:6], v[21:24], off offset:16
.LBB208_127:
	s_nop 0
	s_sendmsg sendmsg(MSG_DEALLOC_VGPRS)
	s_endpgm
	.section	.rodata,"a",@progbits
	.p2align	6, 0x0
	.amdhsa_kernel _ZN9rocsparseL27bsrgemm_fill_wf_per_row_2x2ILj256ELj16ELj16ELj137Eli21rocsparse_complex_numIfEEEv20rocsparse_direction_T4_S4_PKS4_S6_NS_24const_host_device_scalarIT5_EEPKT3_S6_PKS8_SC_S6_SE_S9_SC_S6_SE_SC_PS4_PS8_21rocsparse_index_base_SH_SH_SH_bbb
		.amdhsa_group_segment_fixed_size 9216
		.amdhsa_private_segment_fixed_size 0
		.amdhsa_kernarg_size 164
		.amdhsa_user_sgpr_count 15
		.amdhsa_user_sgpr_dispatch_ptr 0
		.amdhsa_user_sgpr_queue_ptr 0
		.amdhsa_user_sgpr_kernarg_segment_ptr 1
		.amdhsa_user_sgpr_dispatch_id 0
		.amdhsa_user_sgpr_private_segment_size 0
		.amdhsa_wavefront_size32 1
		.amdhsa_uses_dynamic_stack 0
		.amdhsa_enable_private_segment 0
		.amdhsa_system_sgpr_workgroup_id_x 1
		.amdhsa_system_sgpr_workgroup_id_y 0
		.amdhsa_system_sgpr_workgroup_id_z 0
		.amdhsa_system_sgpr_workgroup_info 0
		.amdhsa_system_vgpr_workitem_id 0
		.amdhsa_next_free_vgpr 40
		.amdhsa_next_free_sgpr 47
		.amdhsa_reserve_vcc 1
		.amdhsa_float_round_mode_32 0
		.amdhsa_float_round_mode_16_64 0
		.amdhsa_float_denorm_mode_32 3
		.amdhsa_float_denorm_mode_16_64 3
		.amdhsa_dx10_clamp 1
		.amdhsa_ieee_mode 1
		.amdhsa_fp16_overflow 0
		.amdhsa_workgroup_processor_mode 1
		.amdhsa_memory_ordered 1
		.amdhsa_forward_progress 0
		.amdhsa_shared_vgpr_count 0
		.amdhsa_exception_fp_ieee_invalid_op 0
		.amdhsa_exception_fp_denorm_src 0
		.amdhsa_exception_fp_ieee_div_zero 0
		.amdhsa_exception_fp_ieee_overflow 0
		.amdhsa_exception_fp_ieee_underflow 0
		.amdhsa_exception_fp_ieee_inexact 0
		.amdhsa_exception_int_div_zero 0
	.end_amdhsa_kernel
	.section	.text._ZN9rocsparseL27bsrgemm_fill_wf_per_row_2x2ILj256ELj16ELj16ELj137Eli21rocsparse_complex_numIfEEEv20rocsparse_direction_T4_S4_PKS4_S6_NS_24const_host_device_scalarIT5_EEPKT3_S6_PKS8_SC_S6_SE_S9_SC_S6_SE_SC_PS4_PS8_21rocsparse_index_base_SH_SH_SH_bbb,"axG",@progbits,_ZN9rocsparseL27bsrgemm_fill_wf_per_row_2x2ILj256ELj16ELj16ELj137Eli21rocsparse_complex_numIfEEEv20rocsparse_direction_T4_S4_PKS4_S6_NS_24const_host_device_scalarIT5_EEPKT3_S6_PKS8_SC_S6_SE_S9_SC_S6_SE_SC_PS4_PS8_21rocsparse_index_base_SH_SH_SH_bbb,comdat
.Lfunc_end208:
	.size	_ZN9rocsparseL27bsrgemm_fill_wf_per_row_2x2ILj256ELj16ELj16ELj137Eli21rocsparse_complex_numIfEEEv20rocsparse_direction_T4_S4_PKS4_S6_NS_24const_host_device_scalarIT5_EEPKT3_S6_PKS8_SC_S6_SE_S9_SC_S6_SE_SC_PS4_PS8_21rocsparse_index_base_SH_SH_SH_bbb, .Lfunc_end208-_ZN9rocsparseL27bsrgemm_fill_wf_per_row_2x2ILj256ELj16ELj16ELj137Eli21rocsparse_complex_numIfEEEv20rocsparse_direction_T4_S4_PKS4_S6_NS_24const_host_device_scalarIT5_EEPKT3_S6_PKS8_SC_S6_SE_S9_SC_S6_SE_SC_PS4_PS8_21rocsparse_index_base_SH_SH_SH_bbb
                                        ; -- End function
	.section	.AMDGPU.csdata,"",@progbits
; Kernel info:
; codeLenInByte = 4772
; NumSgprs: 49
; NumVgprs: 40
; ScratchSize: 0
; MemoryBound: 0
; FloatMode: 240
; IeeeMode: 1
; LDSByteSize: 9216 bytes/workgroup (compile time only)
; SGPRBlocks: 6
; VGPRBlocks: 4
; NumSGPRsForWavesPerEU: 49
; NumVGPRsForWavesPerEU: 40
; Occupancy: 16
; WaveLimiterHint : 1
; COMPUTE_PGM_RSRC2:SCRATCH_EN: 0
; COMPUTE_PGM_RSRC2:USER_SGPR: 15
; COMPUTE_PGM_RSRC2:TRAP_HANDLER: 0
; COMPUTE_PGM_RSRC2:TGID_X_EN: 1
; COMPUTE_PGM_RSRC2:TGID_Y_EN: 0
; COMPUTE_PGM_RSRC2:TGID_Z_EN: 0
; COMPUTE_PGM_RSRC2:TIDIG_COMP_CNT: 0
	.section	.text._ZN9rocsparseL27bsrgemm_fill_wf_per_row_2x2ILj256ELj16ELj32ELj137Eli21rocsparse_complex_numIfEEEv20rocsparse_direction_T4_S4_PKS4_S6_NS_24const_host_device_scalarIT5_EEPKT3_S6_PKS8_SC_S6_SE_S9_SC_S6_SE_SC_PS4_PS8_21rocsparse_index_base_SH_SH_SH_bbb,"axG",@progbits,_ZN9rocsparseL27bsrgemm_fill_wf_per_row_2x2ILj256ELj16ELj32ELj137Eli21rocsparse_complex_numIfEEEv20rocsparse_direction_T4_S4_PKS4_S6_NS_24const_host_device_scalarIT5_EEPKT3_S6_PKS8_SC_S6_SE_S9_SC_S6_SE_SC_PS4_PS8_21rocsparse_index_base_SH_SH_SH_bbb,comdat
	.globl	_ZN9rocsparseL27bsrgemm_fill_wf_per_row_2x2ILj256ELj16ELj32ELj137Eli21rocsparse_complex_numIfEEEv20rocsparse_direction_T4_S4_PKS4_S6_NS_24const_host_device_scalarIT5_EEPKT3_S6_PKS8_SC_S6_SE_S9_SC_S6_SE_SC_PS4_PS8_21rocsparse_index_base_SH_SH_SH_bbb ; -- Begin function _ZN9rocsparseL27bsrgemm_fill_wf_per_row_2x2ILj256ELj16ELj32ELj137Eli21rocsparse_complex_numIfEEEv20rocsparse_direction_T4_S4_PKS4_S6_NS_24const_host_device_scalarIT5_EEPKT3_S6_PKS8_SC_S6_SE_S9_SC_S6_SE_SC_PS4_PS8_21rocsparse_index_base_SH_SH_SH_bbb
	.p2align	8
	.type	_ZN9rocsparseL27bsrgemm_fill_wf_per_row_2x2ILj256ELj16ELj32ELj137Eli21rocsparse_complex_numIfEEEv20rocsparse_direction_T4_S4_PKS4_S6_NS_24const_host_device_scalarIT5_EEPKT3_S6_PKS8_SC_S6_SE_S9_SC_S6_SE_SC_PS4_PS8_21rocsparse_index_base_SH_SH_SH_bbb,@function
_ZN9rocsparseL27bsrgemm_fill_wf_per_row_2x2ILj256ELj16ELj32ELj137Eli21rocsparse_complex_numIfEEEv20rocsparse_direction_T4_S4_PKS4_S6_NS_24const_host_device_scalarIT5_EEPKT3_S6_PKS8_SC_S6_SE_S9_SC_S6_SE_SC_PS4_PS8_21rocsparse_index_base_SH_SH_SH_bbb: ; @_ZN9rocsparseL27bsrgemm_fill_wf_per_row_2x2ILj256ELj16ELj32ELj137Eli21rocsparse_complex_numIfEEEv20rocsparse_direction_T4_S4_PKS4_S6_NS_24const_host_device_scalarIT5_EEPKT3_S6_PKS8_SC_S6_SE_S9_SC_S6_SE_SC_PS4_PS8_21rocsparse_index_base_SH_SH_SH_bbb
; %bb.0:
	s_clause 0x6
	s_load_b32 s2, s[0:1], 0xa0
	s_load_b256 s[4:11], s[0:1], 0x68
	s_load_b256 s[16:23], s[0:1], 0x48
	s_load_b128 s[40:43], s[0:1], 0x10
	s_load_b256 s[24:31], s[0:1], 0x28
	s_load_b64 s[12:13], s[0:1], 0x88
	s_load_b128 s[36:39], s[0:1], 0x90
	s_mov_b32 s35, 0
	s_mov_b32 s44, 0
	s_waitcnt lgkmcnt(0)
	s_bitcmp1_b32 s2, 0
	s_cselect_b32 s45, -1, 0
	s_bitcmp1_b32 s2, 16
	s_cselect_b32 s3, -1, 0
	s_delay_alu instid0(SALU_CYCLE_1) | instskip(SKIP_2) | instid1(VALU_DEP_1)
	s_xor_b32 s3, s3, -1
	s_bitcmp0_b32 s2, 0
	v_cndmask_b32_e64 v1, 0, 1, s3
	v_cmp_ne_u32_e32 vcc_lo, 1, v1
	s_cbranch_scc1 .LBB209_5
; %bb.1:
	s_load_b64 s[34:35], s[0:1], 0x20
	s_and_b32 vcc_lo, exec_lo, vcc_lo
	s_waitcnt lgkmcnt(0)
	s_mov_b32 s44, s34
	s_cbranch_vccnz .LBB209_3
; %bb.2:
	s_load_b32 s44, s[34:35], 0x0
.LBB209_3:
	s_and_not1_b32 vcc_lo, exec_lo, s3
	s_cbranch_vccnz .LBB209_5
; %bb.4:
	s_load_b32 s35, s[34:35], 0x4
.LBB209_5:
	s_bitcmp1_b32 s2, 8
	s_mov_b32 s33, 0
	s_cselect_b32 s34, -1, 0
	s_bfe_u32 s2, s2, 0x10008
	s_mov_b32 s14, 0
	s_cmp_eq_u32 s2, 0
	s_cbranch_scc1 .LBB209_11
; %bb.6:
	v_cmp_ne_u32_e32 vcc_lo, 1, v1
	s_mov_b32 s14, s20
	s_cbranch_vccnz .LBB209_8
; %bb.7:
	s_load_b32 s14, s[20:21], 0x0
.LBB209_8:
	v_cmp_ne_u32_e32 vcc_lo, 1, v1
	s_cbranch_vccnz .LBB209_10
; %bb.9:
	s_load_b32 s21, s[20:21], 0x4
.LBB209_10:
	s_waitcnt lgkmcnt(0)
	s_mov_b32 s33, s21
.LBB209_11:
	s_load_b128 s[0:3], s[0:1], 0x0
	v_lshrrev_b32_e32 v2, 4, v0
	v_and_b32_e32 v21, 15, v0
	s_waitcnt lgkmcnt(0)
	s_mov_b32 s3, 0
	s_delay_alu instid0(VALU_DEP_2) | instskip(NEXT) | instid1(VALU_DEP_2)
	v_lshlrev_b32_e32 v3, 7, v2
	v_dual_mov_b32 v1, s2 :: v_dual_lshlrev_b32 v0, 2, v21
	s_delay_alu instid0(VALU_DEP_1) | instskip(NEXT) | instid1(VALU_DEP_1)
	v_or3_b32 v18, v3, v0, 0x4000
	v_mov_b32_e32 v0, v18
	v_or_b32_e32 v19, -16, v21
	s_delay_alu instid0(VALU_DEP_1)
	v_mov_b32_e32 v4, v19
.LBB209_12:                             ; =>This Inner Loop Header: Depth=1
	s_delay_alu instid0(VALU_DEP_1) | instskip(NEXT) | instid1(VALU_DEP_1)
	v_add_co_u32 v4, s20, v4, 16
	s_xor_b32 s20, s20, -1
	ds_store_b32 v0, v1
	v_add_nc_u32_e32 v0, 64, v0
	s_and_b32 s20, exec_lo, s20
	s_delay_alu instid0(SALU_CYCLE_1) | instskip(NEXT) | instid1(SALU_CYCLE_1)
	s_or_b32 s3, s20, s3
	s_and_not1_b32 exec_lo, exec_lo, s3
	s_cbranch_execnz .LBB209_12
; %bb.13:
	s_or_b32 exec_lo, exec_lo, s3
	v_dual_mov_b32 v0, 0 :: v_dual_mov_b32 v5, v19
	v_lshlrev_b32_e32 v22, 10, v2
	s_mov_b32 s3, 0
	s_delay_alu instid0(VALU_DEP_2) | instskip(NEXT) | instid1(VALU_DEP_2)
	v_mov_b32_e32 v1, v0
	v_lshl_or_b32 v4, v21, 3, v22
.LBB209_14:                             ; =>This Inner Loop Header: Depth=1
	v_add_nc_u32_e32 v5, 16, v5
	ds_store_b64 v4, v[0:1]
	v_add_nc_u32_e32 v4, 0x80, v4
	v_cmp_lt_u32_e32 vcc_lo, 0x6f, v5
	s_or_b32 s3, vcc_lo, s3
	s_delay_alu instid0(SALU_CYCLE_1)
	s_and_not1_b32 exec_lo, exec_lo, s3
	s_cbranch_execnz .LBB209_14
; %bb.15:
	s_or_b32 exec_lo, exec_lo, s3
	v_lshl_or_b32 v0, s15, 4, v2
	s_waitcnt lgkmcnt(0)
	s_barrier
	buffer_gl0_inv
	v_cmp_gt_i32_e32 vcc_lo, s1, v0
	s_and_saveexec_b32 s1, vcc_lo
	s_cbranch_execz .LBB209_131
; %bb.16:
	s_cmp_eq_u64 s[42:43], 0
	s_cbranch_scc1 .LBB209_18
; %bb.17:
	s_load_b32 s1, s[40:41], 0x0
	s_waitcnt lgkmcnt(0)
	v_add_nc_u32_e32 v0, s1, v0
	s_delay_alu instid0(VALU_DEP_1) | instskip(NEXT) | instid1(VALU_DEP_1)
	v_ashrrev_i32_e32 v1, 31, v0
	v_lshlrev_b64 v[0:1], 2, v[0:1]
	s_delay_alu instid0(VALU_DEP_1) | instskip(NEXT) | instid1(VALU_DEP_2)
	v_add_co_u32 v0, vcc_lo, s42, v0
	v_add_co_ci_u32_e32 v1, vcc_lo, s43, v1, vcc_lo
	global_load_b32 v0, v[0:1], off
.LBB209_18:
	s_waitcnt vmcnt(0)
	v_ashrrev_i32_e32 v1, 31, v0
	v_lshlrev_b32_e32 v23, 3, v3
	v_lshl_or_b32 v20, v2, 7, 0x4000
	s_and_not1_b32 vcc_lo, exec_lo, s45
	s_delay_alu instid0(VALU_DEP_3)
	v_lshlrev_b64 v[4:5], 3, v[0:1]
	s_cbranch_vccnz .LBB209_74
; %bb.19:
	s_delay_alu instid0(VALU_DEP_1) | instskip(NEXT) | instid1(VALU_DEP_2)
	v_add_co_u32 v0, vcc_lo, s24, v4
	v_add_co_ci_u32_e32 v1, vcc_lo, s25, v5, vcc_lo
	v_sub_co_u32 v8, s1, v21, s36
	s_delay_alu instid0(VALU_DEP_1)
	v_sub_co_ci_u32_e64 v9, null, 0, 0, s1
	global_load_b128 v[0:3], v[0:1], off
	s_mov_b32 s3, 0
	s_mov_b32 s1, exec_lo
	s_waitcnt vmcnt(0)
	v_sub_co_u32 v6, vcc_lo, v2, s36
	v_subrev_co_ci_u32_e32 v7, vcc_lo, 0, v3, vcc_lo
	v_add_co_u32 v8, vcc_lo, v0, v8
	v_add_co_ci_u32_e32 v9, vcc_lo, v1, v9, vcc_lo
	s_delay_alu instid0(VALU_DEP_1)
	v_cmpx_lt_i64_e64 v[8:9], v[6:7]
	s_cbranch_execz .LBB209_73
; %bb.20:
	v_add_nc_u32_e32 v24, 8, v23
	v_add_nc_u32_e32 v25, 16, v23
	;; [unrolled: 1-line block ×3, first 2 shown]
	s_cmp_eq_u32 s0, 0
	s_mov_b32 s15, s37
	s_cselect_b32 s20, 2, 1
	s_cselect_b32 s21, 1, 2
	s_branch .LBB209_22
.LBB209_21:                             ;   in Loop: Header=BB209_22 Depth=1
	s_or_b32 exec_lo, exec_lo, s24
	v_add_co_u32 v8, vcc_lo, v8, 16
	v_add_co_ci_u32_e32 v9, vcc_lo, 0, v9, vcc_lo
	s_delay_alu instid0(VALU_DEP_1) | instskip(SKIP_1) | instid1(SALU_CYCLE_1)
	v_cmp_ge_i64_e32 vcc_lo, v[8:9], v[6:7]
	s_or_b32 s3, vcc_lo, s3
	s_and_not1_b32 exec_lo, exec_lo, s3
	s_cbranch_execz .LBB209_73
.LBB209_22:                             ; =>This Loop Header: Depth=1
                                        ;     Child Loop BB209_25 Depth 2
                                        ;       Child Loop BB209_27 Depth 3
                                        ;       Child Loop BB209_39 Depth 3
	;; [unrolled: 1-line block ×4, first 2 shown]
	v_lshlrev_b64 v[10:11], 2, v[8:9]
	s_mov_b32 s24, exec_lo
	s_delay_alu instid0(VALU_DEP_1) | instskip(NEXT) | instid1(VALU_DEP_2)
	v_add_co_u32 v0, vcc_lo, s26, v10
	v_add_co_ci_u32_e32 v1, vcc_lo, s27, v11, vcc_lo
	global_load_b32 v0, v[0:1], off
	s_waitcnt vmcnt(0)
	v_subrev_nc_u32_e32 v0, s36, v0
	s_delay_alu instid0(VALU_DEP_1) | instskip(NEXT) | instid1(VALU_DEP_1)
	v_ashrrev_i32_e32 v1, 31, v0
	v_lshlrev_b64 v[0:1], 3, v[0:1]
	s_delay_alu instid0(VALU_DEP_1) | instskip(NEXT) | instid1(VALU_DEP_2)
	v_add_co_u32 v0, vcc_lo, s30, v0
	v_add_co_ci_u32_e32 v1, vcc_lo, s31, v1, vcc_lo
	global_load_b128 v[0:3], v[0:1], off
	s_waitcnt vmcnt(0)
	v_cmpx_lt_i64_e64 v[0:1], v[2:3]
	s_cbranch_execz .LBB209_21
; %bb.23:                               ;   in Loop: Header=BB209_22 Depth=1
	v_or_b32_e32 v15, 0, v11
	v_or_b32_e32 v14, s20, v10
	v_lshlrev_b64 v[12:13], 5, v[8:9]
	v_or_b32_e32 v11, 0, v11
	v_or_b32_e32 v10, s21, v10
	s_mov_b32 s25, 0
	v_lshlrev_b64 v[14:15], 3, v[14:15]
	s_delay_alu instid0(VALU_DEP_4) | instskip(NEXT) | instid1(VALU_DEP_3)
	v_add_co_u32 v12, vcc_lo, s28, v12
	v_lshlrev_b64 v[10:11], 3, v[10:11]
	v_add_co_ci_u32_e32 v13, vcc_lo, s29, v13, vcc_lo
	s_delay_alu instid0(VALU_DEP_4) | instskip(SKIP_1) | instid1(VALU_DEP_4)
	v_add_co_u32 v14, vcc_lo, s28, v14
	v_add_co_ci_u32_e32 v15, vcc_lo, s29, v15, vcc_lo
	v_add_co_u32 v10, vcc_lo, s28, v10
	v_add_co_ci_u32_e32 v11, vcc_lo, s29, v11, vcc_lo
	s_clause 0x3
	global_load_b64 v[16:17], v[12:13], off
	global_load_b64 v[14:15], v[14:15], off
	;; [unrolled: 1-line block ×3, first 2 shown]
	global_load_b64 v[12:13], v[12:13], off offset:24
	v_sub_co_u32 v2, vcc_lo, v2, s15
	v_subrev_co_ci_u32_e32 v3, vcc_lo, 0, v3, vcc_lo
	v_sub_co_u32 v0, vcc_lo, v0, s15
	v_subrev_co_ci_u32_e32 v1, vcc_lo, 0, v1, vcc_lo
	s_waitcnt vmcnt(3)
	v_mul_f32_e64 v27, v17, -s35
	v_mul_f32_e32 v28, s44, v17
	s_waitcnt vmcnt(2)
	v_mul_f32_e64 v29, v15, -s35
	s_waitcnt vmcnt(0)
	v_dual_mul_f32 v30, s44, v15 :: v_dual_mul_f32 v31, s44, v13
	v_fmac_f32_e32 v27, s44, v16
	v_fmac_f32_e32 v28, s35, v16
	v_mul_f32_e64 v32, v13, -s35
	v_mul_f32_e64 v34, v11, -s35
	v_fmac_f32_e32 v29, s44, v14
	v_dual_mul_f32 v33, s44, v11 :: v_dual_fmac_f32 v30, s35, v14
	s_delay_alu instid0(VALU_DEP_3) | instskip(NEXT) | instid1(VALU_DEP_2)
	v_dual_fmac_f32 v31, s35, v12 :: v_dual_fmac_f32 v34, s44, v10
	v_dual_fmac_f32 v32, s44, v12 :: v_dual_fmac_f32 v33, s35, v10
	s_branch .LBB209_25
.LBB209_24:                             ;   in Loop: Header=BB209_25 Depth=2
	s_or_b32 exec_lo, exec_lo, s40
	v_add_co_u32 v0, vcc_lo, v0, 1
	v_add_co_ci_u32_e32 v1, vcc_lo, 0, v1, vcc_lo
	s_delay_alu instid0(VALU_DEP_1) | instskip(SKIP_1) | instid1(SALU_CYCLE_1)
	v_cmp_ge_i64_e32 vcc_lo, v[0:1], v[2:3]
	s_or_b32 s25, vcc_lo, s25
	s_and_not1_b32 exec_lo, exec_lo, s25
	s_cbranch_execz .LBB209_21
.LBB209_25:                             ;   Parent Loop BB209_22 Depth=1
                                        ; =>  This Loop Header: Depth=2
                                        ;       Child Loop BB209_27 Depth 3
                                        ;       Child Loop BB209_39 Depth 3
                                        ;       Child Loop BB209_51 Depth 3
                                        ;       Child Loop BB209_63 Depth 3
	v_lshlrev_b64 v[10:11], 2, v[0:1]
	v_lshlrev_b64 v[35:36], 5, v[0:1]
	s_mov_b32 s40, 0
	s_delay_alu instid0(VALU_DEP_2) | instskip(NEXT) | instid1(VALU_DEP_3)
	v_or_b32_e32 v13, 0, v11
	v_or_b32_e32 v12, s20, v10
	s_delay_alu instid0(VALU_DEP_1) | instskip(NEXT) | instid1(VALU_DEP_1)
	v_lshlrev_b64 v[12:13], 3, v[12:13]
	v_add_co_u32 v12, vcc_lo, s18, v12
	s_delay_alu instid0(VALU_DEP_2)
	v_add_co_ci_u32_e32 v13, vcc_lo, s19, v13, vcc_lo
	v_add_co_u32 v14, vcc_lo, s16, v10
	v_add_co_ci_u32_e32 v15, vcc_lo, s17, v11, vcc_lo
	global_load_b64 v[16:17], v[12:13], off
	global_load_b32 v38, v[14:15], off
	v_or_b32_e32 v11, 0, v11
	v_or_b32_e32 v10, s21, v10
	v_add_co_u32 v12, vcc_lo, s18, v35
	v_add_co_ci_u32_e32 v13, vcc_lo, s19, v36, vcc_lo
	s_delay_alu instid0(VALU_DEP_3)
	v_lshlrev_b64 v[10:11], 3, v[10:11]
	global_load_b64 v[14:15], v[12:13], off
	v_add_co_u32 v10, vcc_lo, s18, v10
	v_add_co_ci_u32_e32 v11, vcc_lo, s19, v11, vcc_lo
	s_clause 0x1
	global_load_b64 v[10:11], v[10:11], off
	global_load_b64 v[12:13], v[12:13], off offset:24
	s_waitcnt vmcnt(4)
	v_mul_f32_e64 v39, v17, -v33
	s_waitcnt vmcnt(3)
	v_subrev_nc_u32_e32 v35, s37, v38
	s_delay_alu instid0(VALU_DEP_2) | instskip(NEXT) | instid1(VALU_DEP_2)
	v_fmac_f32_e32 v39, v34, v16
	v_lshl_add_u32 v36, v35, 3, v35
	s_delay_alu instid0(VALU_DEP_1) | instskip(NEXT) | instid1(VALU_DEP_1)
	v_dual_mul_f32 v37, v34, v17 :: v_dual_and_b32 v36, 31, v36
	v_fmac_f32_e32 v37, v33, v16
	s_waitcnt vmcnt(2)
	v_fmac_f32_e32 v39, v27, v14
	s_delay_alu instid0(VALU_DEP_2) | instskip(NEXT) | instid1(VALU_DEP_2)
	v_fmac_f32_e32 v37, v28, v14
	v_fma_f32 v38, -v28, v15, v39
	v_mov_b32_e32 v39, v36
	s_delay_alu instid0(VALU_DEP_3)
	v_fmac_f32_e32 v37, v27, v15
	s_branch .LBB209_27
.LBB209_26:                             ;   in Loop: Header=BB209_27 Depth=3
	s_or_b32 exec_lo, exec_lo, s41
	s_xor_b32 s41, s42, -1
	s_delay_alu instid0(SALU_CYCLE_1) | instskip(NEXT) | instid1(SALU_CYCLE_1)
	s_and_b32 s41, exec_lo, s41
	s_or_b32 s40, s41, s40
	s_delay_alu instid0(SALU_CYCLE_1)
	s_and_not1_b32 exec_lo, exec_lo, s40
	s_cbranch_execz .LBB209_37
.LBB209_27:                             ;   Parent Loop BB209_22 Depth=1
                                        ;     Parent Loop BB209_25 Depth=2
                                        ; =>    This Inner Loop Header: Depth=3
	s_delay_alu instid0(VALU_DEP_2)
	v_lshl_add_u32 v40, v39, 2, v20
	s_mov_b32 s41, exec_lo
                                        ; implicit-def: $sgpr42
	ds_load_b32 v41, v40
	s_waitcnt lgkmcnt(0)
	v_cmpx_ne_u32_e64 v41, v35
	s_xor_b32 s41, exec_lo, s41
	s_cbranch_execz .LBB209_35
; %bb.28:                               ;   in Loop: Header=BB209_27 Depth=3
	s_mov_b32 s43, exec_lo
                                        ; implicit-def: $sgpr42
	v_cmpx_ne_u32_e64 s2, v41
	s_xor_b32 s43, exec_lo, s43
; %bb.29:                               ;   in Loop: Header=BB209_27 Depth=3
	v_add_nc_u32_e32 v39, 1, v39
	s_mov_b32 s42, -1
                                        ; implicit-def: $vgpr40
	s_delay_alu instid0(VALU_DEP_1)
	v_and_b32_e32 v39, 31, v39
; %bb.30:                               ;   in Loop: Header=BB209_27 Depth=3
	s_and_not1_saveexec_b32 s43, s43
	s_cbranch_execz .LBB209_34
; %bb.31:                               ;   in Loop: Header=BB209_27 Depth=3
	v_mov_b32_e32 v41, s2
	s_mov_b32 s45, -1
	s_mov_b32 s46, exec_lo
	ds_cmpstore_rtn_b32 v40, v40, v35, v41
	s_waitcnt lgkmcnt(0)
	v_cmpx_eq_u32_e64 s2, v40
	s_cbranch_execz .LBB209_33
; %bb.32:                               ;   in Loop: Header=BB209_27 Depth=3
	v_lshl_add_u32 v40, v39, 5, v23
	s_xor_b32 s45, exec_lo, -1
	ds_add_f32 v40, v38
	ds_add_f32 v40, v37 offset:4
.LBB209_33:                             ;   in Loop: Header=BB209_27 Depth=3
	s_or_b32 exec_lo, exec_lo, s46
	s_delay_alu instid0(SALU_CYCLE_1) | instskip(SKIP_1) | instid1(SALU_CYCLE_1)
	s_and_not1_b32 s42, s42, exec_lo
	s_and_b32 s45, s45, exec_lo
	s_or_b32 s42, s42, s45
.LBB209_34:                             ;   in Loop: Header=BB209_27 Depth=3
	s_or_b32 exec_lo, exec_lo, s43
	s_delay_alu instid0(SALU_CYCLE_1)
	s_and_b32 s42, s42, exec_lo
.LBB209_35:                             ;   in Loop: Header=BB209_27 Depth=3
	s_and_not1_saveexec_b32 s41, s41
	s_cbranch_execz .LBB209_26
; %bb.36:                               ;   in Loop: Header=BB209_27 Depth=3
	v_lshl_add_u32 v40, v39, 5, v23
	s_and_not1_b32 s42, s42, exec_lo
	ds_add_f32 v40, v38
	ds_add_f32 v40, v37 offset:4
	s_branch .LBB209_26
.LBB209_37:                             ;   in Loop: Header=BB209_25 Depth=2
	s_or_b32 exec_lo, exec_lo, s40
	s_waitcnt vmcnt(0)
	v_mul_f32_e64 v38, v13, -v33
	v_mov_b32_e32 v39, v36
	s_mov_b32 s40, 0
	s_delay_alu instid0(VALU_DEP_2) | instskip(NEXT) | instid1(VALU_DEP_1)
	v_fmac_f32_e32 v38, v34, v12
	v_dual_mul_f32 v37, v34, v13 :: v_dual_fmac_f32 v38, v27, v10
	s_delay_alu instid0(VALU_DEP_1) | instskip(NEXT) | instid1(VALU_DEP_2)
	v_fmac_f32_e32 v37, v33, v12
	v_fma_f32 v38, -v28, v11, v38
	s_delay_alu instid0(VALU_DEP_2) | instskip(NEXT) | instid1(VALU_DEP_1)
	v_fmac_f32_e32 v37, v28, v10
	v_fmac_f32_e32 v37, v27, v11
	s_branch .LBB209_39
.LBB209_38:                             ;   in Loop: Header=BB209_39 Depth=3
	s_or_b32 exec_lo, exec_lo, s41
	s_xor_b32 s41, s42, -1
	s_delay_alu instid0(SALU_CYCLE_1) | instskip(NEXT) | instid1(SALU_CYCLE_1)
	s_and_b32 s41, exec_lo, s41
	s_or_b32 s40, s41, s40
	s_delay_alu instid0(SALU_CYCLE_1)
	s_and_not1_b32 exec_lo, exec_lo, s40
	s_cbranch_execz .LBB209_49
.LBB209_39:                             ;   Parent Loop BB209_22 Depth=1
                                        ;     Parent Loop BB209_25 Depth=2
                                        ; =>    This Inner Loop Header: Depth=3
	v_lshl_add_u32 v40, v39, 2, v20
	s_mov_b32 s41, exec_lo
                                        ; implicit-def: $sgpr42
	ds_load_b32 v41, v40
	s_waitcnt lgkmcnt(0)
	v_cmpx_ne_u32_e64 v41, v35
	s_xor_b32 s41, exec_lo, s41
	s_cbranch_execz .LBB209_47
; %bb.40:                               ;   in Loop: Header=BB209_39 Depth=3
	s_mov_b32 s43, exec_lo
                                        ; implicit-def: $sgpr42
	v_cmpx_ne_u32_e64 s2, v41
	s_xor_b32 s43, exec_lo, s43
; %bb.41:                               ;   in Loop: Header=BB209_39 Depth=3
	v_add_nc_u32_e32 v39, 1, v39
	s_mov_b32 s42, -1
                                        ; implicit-def: $vgpr40
	s_delay_alu instid0(VALU_DEP_1)
	v_and_b32_e32 v39, 31, v39
; %bb.42:                               ;   in Loop: Header=BB209_39 Depth=3
	s_and_not1_saveexec_b32 s43, s43
	s_cbranch_execz .LBB209_46
; %bb.43:                               ;   in Loop: Header=BB209_39 Depth=3
	v_mov_b32_e32 v41, s2
	s_mov_b32 s45, -1
	s_mov_b32 s46, exec_lo
	ds_cmpstore_rtn_b32 v40, v40, v35, v41
	s_waitcnt lgkmcnt(0)
	v_cmpx_eq_u32_e64 s2, v40
	s_cbranch_execz .LBB209_45
; %bb.44:                               ;   in Loop: Header=BB209_39 Depth=3
	v_lshl_add_u32 v40, v39, 5, v24
	s_xor_b32 s45, exec_lo, -1
	ds_add_f32 v40, v38
	ds_add_f32 v40, v37 offset:4
.LBB209_45:                             ;   in Loop: Header=BB209_39 Depth=3
	s_or_b32 exec_lo, exec_lo, s46
	s_delay_alu instid0(SALU_CYCLE_1) | instskip(SKIP_1) | instid1(SALU_CYCLE_1)
	s_and_not1_b32 s42, s42, exec_lo
	s_and_b32 s45, s45, exec_lo
	s_or_b32 s42, s42, s45
.LBB209_46:                             ;   in Loop: Header=BB209_39 Depth=3
	s_or_b32 exec_lo, exec_lo, s43
	s_delay_alu instid0(SALU_CYCLE_1)
	s_and_b32 s42, s42, exec_lo
.LBB209_47:                             ;   in Loop: Header=BB209_39 Depth=3
	s_and_not1_saveexec_b32 s41, s41
	s_cbranch_execz .LBB209_38
; %bb.48:                               ;   in Loop: Header=BB209_39 Depth=3
	v_lshl_add_u32 v40, v39, 5, v24
	s_and_not1_b32 s42, s42, exec_lo
	ds_add_f32 v40, v38
	ds_add_f32 v40, v37 offset:4
	s_branch .LBB209_38
.LBB209_49:                             ;   in Loop: Header=BB209_25 Depth=2
	s_or_b32 exec_lo, exec_lo, s40
	v_mul_f32_e64 v37, v17, -v31
	v_mul_f32_e32 v17, v32, v17
	s_mov_b32 s40, 0
	s_delay_alu instid0(VALU_DEP_2) | instskip(NEXT) | instid1(VALU_DEP_2)
	v_fmac_f32_e32 v37, v32, v16
	v_fmac_f32_e32 v17, v31, v16
	s_delay_alu instid0(VALU_DEP_2) | instskip(NEXT) | instid1(VALU_DEP_2)
	v_fmac_f32_e32 v37, v29, v14
	v_fmac_f32_e32 v17, v30, v14
	s_delay_alu instid0(VALU_DEP_2) | instskip(NEXT) | instid1(VALU_DEP_2)
	v_fma_f32 v14, -v30, v15, v37
	v_fmac_f32_e32 v17, v29, v15
	v_mov_b32_e32 v15, v36
	s_branch .LBB209_51
.LBB209_50:                             ;   in Loop: Header=BB209_51 Depth=3
	s_or_b32 exec_lo, exec_lo, s41
	s_xor_b32 s41, s42, -1
	s_delay_alu instid0(SALU_CYCLE_1) | instskip(NEXT) | instid1(SALU_CYCLE_1)
	s_and_b32 s41, exec_lo, s41
	s_or_b32 s40, s41, s40
	s_delay_alu instid0(SALU_CYCLE_1)
	s_and_not1_b32 exec_lo, exec_lo, s40
	s_cbranch_execz .LBB209_61
.LBB209_51:                             ;   Parent Loop BB209_22 Depth=1
                                        ;     Parent Loop BB209_25 Depth=2
                                        ; =>    This Inner Loop Header: Depth=3
	s_delay_alu instid0(VALU_DEP_1)
	v_lshl_add_u32 v16, v15, 2, v20
	s_mov_b32 s41, exec_lo
                                        ; implicit-def: $sgpr42
	ds_load_b32 v37, v16
	s_waitcnt lgkmcnt(0)
	v_cmpx_ne_u32_e64 v37, v35
	s_xor_b32 s41, exec_lo, s41
	s_cbranch_execz .LBB209_59
; %bb.52:                               ;   in Loop: Header=BB209_51 Depth=3
	s_mov_b32 s43, exec_lo
                                        ; implicit-def: $sgpr42
	v_cmpx_ne_u32_e64 s2, v37
	s_xor_b32 s43, exec_lo, s43
; %bb.53:                               ;   in Loop: Header=BB209_51 Depth=3
	v_add_nc_u32_e32 v15, 1, v15
	s_mov_b32 s42, -1
                                        ; implicit-def: $vgpr16
	s_delay_alu instid0(VALU_DEP_1)
	v_and_b32_e32 v15, 31, v15
; %bb.54:                               ;   in Loop: Header=BB209_51 Depth=3
	s_and_not1_saveexec_b32 s43, s43
	s_cbranch_execz .LBB209_58
; %bb.55:                               ;   in Loop: Header=BB209_51 Depth=3
	v_mov_b32_e32 v37, s2
	s_mov_b32 s45, -1
	s_mov_b32 s46, exec_lo
	ds_cmpstore_rtn_b32 v16, v16, v35, v37
	s_waitcnt lgkmcnt(0)
	v_cmpx_eq_u32_e64 s2, v16
	s_cbranch_execz .LBB209_57
; %bb.56:                               ;   in Loop: Header=BB209_51 Depth=3
	v_lshl_add_u32 v16, v15, 5, v25
	s_xor_b32 s45, exec_lo, -1
	ds_add_f32 v16, v14
	ds_add_f32 v16, v17 offset:4
.LBB209_57:                             ;   in Loop: Header=BB209_51 Depth=3
	s_or_b32 exec_lo, exec_lo, s46
	s_delay_alu instid0(SALU_CYCLE_1) | instskip(SKIP_1) | instid1(SALU_CYCLE_1)
	s_and_not1_b32 s42, s42, exec_lo
	s_and_b32 s45, s45, exec_lo
	s_or_b32 s42, s42, s45
.LBB209_58:                             ;   in Loop: Header=BB209_51 Depth=3
	s_or_b32 exec_lo, exec_lo, s43
	s_delay_alu instid0(SALU_CYCLE_1)
	s_and_b32 s42, s42, exec_lo
.LBB209_59:                             ;   in Loop: Header=BB209_51 Depth=3
	s_and_not1_saveexec_b32 s41, s41
	s_cbranch_execz .LBB209_50
; %bb.60:                               ;   in Loop: Header=BB209_51 Depth=3
	v_lshl_add_u32 v16, v15, 5, v25
	s_and_not1_b32 s42, s42, exec_lo
	ds_add_f32 v16, v14
	ds_add_f32 v16, v17 offset:4
	s_branch .LBB209_50
.LBB209_61:                             ;   in Loop: Header=BB209_25 Depth=2
	s_or_b32 exec_lo, exec_lo, s40
	v_mul_f32_e64 v14, v13, -v31
	s_mov_b32 s40, 0
	s_delay_alu instid0(VALU_DEP_1) | instskip(NEXT) | instid1(VALU_DEP_1)
	v_fmac_f32_e32 v14, v32, v12
	v_dual_mul_f32 v13, v32, v13 :: v_dual_fmac_f32 v14, v29, v10
	s_delay_alu instid0(VALU_DEP_1) | instskip(NEXT) | instid1(VALU_DEP_1)
	v_fmac_f32_e32 v13, v31, v12
	v_fmac_f32_e32 v13, v30, v10
	s_delay_alu instid0(VALU_DEP_3) | instskip(NEXT) | instid1(VALU_DEP_2)
	v_fma_f32 v10, -v30, v11, v14
	v_fmac_f32_e32 v13, v29, v11
	s_branch .LBB209_63
.LBB209_62:                             ;   in Loop: Header=BB209_63 Depth=3
	s_or_b32 exec_lo, exec_lo, s41
	s_xor_b32 s41, s42, -1
	s_delay_alu instid0(SALU_CYCLE_1) | instskip(NEXT) | instid1(SALU_CYCLE_1)
	s_and_b32 s41, exec_lo, s41
	s_or_b32 s40, s41, s40
	s_delay_alu instid0(SALU_CYCLE_1)
	s_and_not1_b32 exec_lo, exec_lo, s40
	s_cbranch_execz .LBB209_24
.LBB209_63:                             ;   Parent Loop BB209_22 Depth=1
                                        ;     Parent Loop BB209_25 Depth=2
                                        ; =>    This Inner Loop Header: Depth=3
	v_lshl_add_u32 v11, v36, 2, v20
	s_mov_b32 s41, exec_lo
                                        ; implicit-def: $sgpr42
	ds_load_b32 v12, v11
	s_waitcnt lgkmcnt(0)
	v_cmpx_ne_u32_e64 v12, v35
	s_xor_b32 s41, exec_lo, s41
	s_cbranch_execz .LBB209_71
; %bb.64:                               ;   in Loop: Header=BB209_63 Depth=3
	s_mov_b32 s43, exec_lo
                                        ; implicit-def: $sgpr42
	v_cmpx_ne_u32_e64 s2, v12
	s_xor_b32 s43, exec_lo, s43
; %bb.65:                               ;   in Loop: Header=BB209_63 Depth=3
	v_add_nc_u32_e32 v11, 1, v36
	s_mov_b32 s42, -1
	s_delay_alu instid0(VALU_DEP_1)
	v_and_b32_e32 v36, 31, v11
                                        ; implicit-def: $vgpr11
; %bb.66:                               ;   in Loop: Header=BB209_63 Depth=3
	s_and_not1_saveexec_b32 s43, s43
	s_cbranch_execz .LBB209_70
; %bb.67:                               ;   in Loop: Header=BB209_63 Depth=3
	v_mov_b32_e32 v12, s2
	s_mov_b32 s45, -1
	s_mov_b32 s46, exec_lo
	ds_cmpstore_rtn_b32 v11, v11, v35, v12
	s_waitcnt lgkmcnt(0)
	v_cmpx_eq_u32_e64 s2, v11
	s_cbranch_execz .LBB209_69
; %bb.68:                               ;   in Loop: Header=BB209_63 Depth=3
	v_lshl_add_u32 v11, v36, 5, v26
	s_xor_b32 s45, exec_lo, -1
	ds_add_f32 v11, v10
	ds_add_f32 v11, v13 offset:4
.LBB209_69:                             ;   in Loop: Header=BB209_63 Depth=3
	s_or_b32 exec_lo, exec_lo, s46
	s_delay_alu instid0(SALU_CYCLE_1) | instskip(SKIP_1) | instid1(SALU_CYCLE_1)
	s_and_not1_b32 s42, s42, exec_lo
	s_and_b32 s45, s45, exec_lo
	s_or_b32 s42, s42, s45
.LBB209_70:                             ;   in Loop: Header=BB209_63 Depth=3
	s_or_b32 exec_lo, exec_lo, s43
	s_delay_alu instid0(SALU_CYCLE_1)
	s_and_b32 s42, s42, exec_lo
.LBB209_71:                             ;   in Loop: Header=BB209_63 Depth=3
	s_and_not1_saveexec_b32 s41, s41
	s_cbranch_execz .LBB209_62
; %bb.72:                               ;   in Loop: Header=BB209_63 Depth=3
	v_lshl_add_u32 v11, v36, 5, v26
	s_and_not1_b32 s42, s42, exec_lo
	ds_add_f32 v11, v10
	ds_add_f32 v11, v13 offset:4
	s_branch .LBB209_62
.LBB209_73:
	s_or_b32 exec_lo, exec_lo, s1
.LBB209_74:
	s_delay_alu instid0(SALU_CYCLE_1)
	s_and_not1_b32 vcc_lo, exec_lo, s34
	s_waitcnt lgkmcnt(0)
	buffer_gl0_inv
	s_cbranch_vccnz .LBB209_127
; %bb.75:
	v_add_co_u32 v0, vcc_lo, s22, v4
	v_add_co_ci_u32_e32 v1, vcc_lo, s23, v5, vcc_lo
	v_sub_co_u32 v2, s1, v21, s39
	s_delay_alu instid0(VALU_DEP_1)
	v_sub_co_ci_u32_e64 v3, null, 0, 0, s1
	global_load_b128 v[6:9], v[0:1], off
	s_mov_b32 s3, 0
	s_mov_b32 s1, exec_lo
	s_waitcnt vmcnt(0)
	v_sub_co_u32 v0, vcc_lo, v8, s39
	v_subrev_co_ci_u32_e32 v1, vcc_lo, 0, v9, vcc_lo
	v_add_co_u32 v2, vcc_lo, v6, v2
	v_add_co_ci_u32_e32 v3, vcc_lo, v7, v3, vcc_lo
	s_delay_alu instid0(VALU_DEP_1)
	v_cmpx_lt_i64_e64 v[2:3], v[0:1]
	s_cbranch_execz .LBB209_126
; %bb.76:
	v_add_nc_u32_e32 v12, 8, v23
	v_add_nc_u32_e32 v13, 16, v23
	;; [unrolled: 1-line block ×3, first 2 shown]
	s_cmp_eq_u32 s0, 0
	s_cselect_b32 s15, 1, 2
	s_cselect_b32 s16, 2, 1
	s_branch .LBB209_78
.LBB209_77:                             ;   in Loop: Header=BB209_78 Depth=1
	s_or_b32 exec_lo, exec_lo, s17
	v_add_co_u32 v2, vcc_lo, v2, 16
	v_add_co_ci_u32_e32 v3, vcc_lo, 0, v3, vcc_lo
	s_delay_alu instid0(VALU_DEP_1) | instskip(SKIP_1) | instid1(SALU_CYCLE_1)
	v_cmp_ge_i64_e32 vcc_lo, v[2:3], v[0:1]
	s_or_b32 s3, vcc_lo, s3
	s_and_not1_b32 exec_lo, exec_lo, s3
	s_cbranch_execz .LBB209_126
.LBB209_78:                             ; =>This Loop Header: Depth=1
                                        ;     Child Loop BB209_80 Depth 2
                                        ;     Child Loop BB209_92 Depth 2
	;; [unrolled: 1-line block ×4, first 2 shown]
	v_lshlrev_b64 v[6:7], 2, v[2:3]
	v_lshlrev_b64 v[8:9], 5, v[2:3]
	s_mov_b32 s17, 0
	s_delay_alu instid0(VALU_DEP_2) | instskip(NEXT) | instid1(VALU_DEP_3)
	v_add_co_u32 v15, vcc_lo, s4, v6
	v_add_co_ci_u32_e32 v16, vcc_lo, s5, v7, vcc_lo
	v_or_b32_e32 v11, 0, v7
	v_or_b32_e32 v10, s15, v6
	v_add_co_u32 v8, vcc_lo, s6, v8
	global_load_b32 v17, v[15:16], off
	v_or_b32_e32 v7, 0, v7
	v_or_b32_e32 v6, s16, v6
	v_add_co_ci_u32_e32 v9, vcc_lo, s7, v9, vcc_lo
	v_lshlrev_b64 v[10:11], 3, v[10:11]
	s_delay_alu instid0(VALU_DEP_3)
	v_lshlrev_b64 v[6:7], 3, v[6:7]
	global_load_b64 v[25:26], v[8:9], off
	v_add_co_u32 v10, vcc_lo, s6, v10
	v_add_co_ci_u32_e32 v11, vcc_lo, s7, v11, vcc_lo
	v_add_co_u32 v15, vcc_lo, s6, v6
	v_add_co_ci_u32_e32 v16, vcc_lo, s7, v7, vcc_lo
	s_clause 0x2
	global_load_b64 v[6:7], v[8:9], off offset:24
	global_load_b64 v[10:11], v[10:11], off
	global_load_b64 v[8:9], v[15:16], off
	s_waitcnt vmcnt(4)
	v_subrev_nc_u32_e32 v15, s39, v17
	s_delay_alu instid0(VALU_DEP_1) | instskip(SKIP_3) | instid1(VALU_DEP_2)
	v_lshl_add_u32 v16, v15, 3, v15
	s_waitcnt vmcnt(3)
	v_mul_f32_e64 v17, v26, -s33
	v_mul_f32_e32 v24, s14, v26
	v_dual_fmac_f32 v17, s14, v25 :: v_dual_and_b32 v16, 31, v16
	s_delay_alu instid0(VALU_DEP_1)
	v_dual_fmac_f32 v24, s33, v25 :: v_dual_mov_b32 v25, v16
	s_branch .LBB209_80
.LBB209_79:                             ;   in Loop: Header=BB209_80 Depth=2
	s_or_b32 exec_lo, exec_lo, s18
	s_xor_b32 s18, s19, -1
	s_delay_alu instid0(SALU_CYCLE_1) | instskip(NEXT) | instid1(SALU_CYCLE_1)
	s_and_b32 s18, exec_lo, s18
	s_or_b32 s17, s18, s17
	s_delay_alu instid0(SALU_CYCLE_1)
	s_and_not1_b32 exec_lo, exec_lo, s17
	s_cbranch_execz .LBB209_90
.LBB209_80:                             ;   Parent Loop BB209_78 Depth=1
                                        ; =>  This Inner Loop Header: Depth=2
	s_delay_alu instid0(VALU_DEP_1)
	v_lshl_add_u32 v26, v25, 2, v20
	s_mov_b32 s18, exec_lo
                                        ; implicit-def: $sgpr19
	ds_load_b32 v27, v26
	s_waitcnt lgkmcnt(0)
	v_cmpx_ne_u32_e64 v27, v15
	s_xor_b32 s18, exec_lo, s18
	s_cbranch_execz .LBB209_88
; %bb.81:                               ;   in Loop: Header=BB209_80 Depth=2
	s_mov_b32 s20, exec_lo
                                        ; implicit-def: $sgpr19
	v_cmpx_ne_u32_e64 s2, v27
	s_xor_b32 s20, exec_lo, s20
; %bb.82:                               ;   in Loop: Header=BB209_80 Depth=2
	v_add_nc_u32_e32 v25, 1, v25
	s_mov_b32 s19, -1
                                        ; implicit-def: $vgpr26
	s_delay_alu instid0(VALU_DEP_1)
	v_and_b32_e32 v25, 31, v25
; %bb.83:                               ;   in Loop: Header=BB209_80 Depth=2
	s_and_not1_saveexec_b32 s20, s20
	s_cbranch_execz .LBB209_87
; %bb.84:                               ;   in Loop: Header=BB209_80 Depth=2
	v_mov_b32_e32 v27, s2
	s_mov_b32 s21, -1
	s_mov_b32 s22, exec_lo
	ds_cmpstore_rtn_b32 v26, v26, v15, v27
	s_waitcnt lgkmcnt(0)
	v_cmpx_eq_u32_e64 s2, v26
	s_cbranch_execz .LBB209_86
; %bb.85:                               ;   in Loop: Header=BB209_80 Depth=2
	v_lshl_add_u32 v26, v25, 5, v23
	s_xor_b32 s21, exec_lo, -1
	ds_add_f32 v26, v17
	ds_add_f32 v26, v24 offset:4
.LBB209_86:                             ;   in Loop: Header=BB209_80 Depth=2
	s_or_b32 exec_lo, exec_lo, s22
	s_delay_alu instid0(SALU_CYCLE_1) | instskip(SKIP_1) | instid1(SALU_CYCLE_1)
	s_and_not1_b32 s19, s19, exec_lo
	s_and_b32 s21, s21, exec_lo
	s_or_b32 s19, s19, s21
.LBB209_87:                             ;   in Loop: Header=BB209_80 Depth=2
	s_or_b32 exec_lo, exec_lo, s20
	s_delay_alu instid0(SALU_CYCLE_1)
	s_and_b32 s19, s19, exec_lo
.LBB209_88:                             ;   in Loop: Header=BB209_80 Depth=2
	s_and_not1_saveexec_b32 s18, s18
	s_cbranch_execz .LBB209_79
; %bb.89:                               ;   in Loop: Header=BB209_80 Depth=2
	v_lshl_add_u32 v26, v25, 5, v23
	s_and_not1_b32 s19, s19, exec_lo
	ds_add_f32 v26, v17
	ds_add_f32 v26, v24 offset:4
	s_branch .LBB209_79
.LBB209_90:                             ;   in Loop: Header=BB209_78 Depth=1
	s_or_b32 exec_lo, exec_lo, s17
	s_waitcnt vmcnt(1)
	v_mul_f32_e64 v17, v11, -s33
	v_mul_f32_e32 v11, s14, v11
	s_mov_b32 s17, 0
	s_delay_alu instid0(VALU_DEP_2) | instskip(NEXT) | instid1(VALU_DEP_2)
	v_fmac_f32_e32 v17, s14, v10
	v_dual_fmac_f32 v11, s33, v10 :: v_dual_mov_b32 v10, v16
	s_branch .LBB209_92
.LBB209_91:                             ;   in Loop: Header=BB209_92 Depth=2
	s_or_b32 exec_lo, exec_lo, s18
	s_xor_b32 s18, s19, -1
	s_delay_alu instid0(SALU_CYCLE_1) | instskip(NEXT) | instid1(SALU_CYCLE_1)
	s_and_b32 s18, exec_lo, s18
	s_or_b32 s17, s18, s17
	s_delay_alu instid0(SALU_CYCLE_1)
	s_and_not1_b32 exec_lo, exec_lo, s17
	s_cbranch_execz .LBB209_102
.LBB209_92:                             ;   Parent Loop BB209_78 Depth=1
                                        ; =>  This Inner Loop Header: Depth=2
	s_delay_alu instid0(VALU_DEP_1)
	v_lshl_add_u32 v24, v10, 2, v20
	s_mov_b32 s18, exec_lo
                                        ; implicit-def: $sgpr19
	ds_load_b32 v25, v24
	s_waitcnt lgkmcnt(0)
	v_cmpx_ne_u32_e64 v25, v15
	s_xor_b32 s18, exec_lo, s18
	s_cbranch_execz .LBB209_100
; %bb.93:                               ;   in Loop: Header=BB209_92 Depth=2
	s_mov_b32 s20, exec_lo
                                        ; implicit-def: $sgpr19
	v_cmpx_ne_u32_e64 s2, v25
	s_xor_b32 s20, exec_lo, s20
; %bb.94:                               ;   in Loop: Header=BB209_92 Depth=2
	v_add_nc_u32_e32 v10, 1, v10
	s_mov_b32 s19, -1
                                        ; implicit-def: $vgpr24
	s_delay_alu instid0(VALU_DEP_1)
	v_and_b32_e32 v10, 31, v10
; %bb.95:                               ;   in Loop: Header=BB209_92 Depth=2
	s_and_not1_saveexec_b32 s20, s20
	s_cbranch_execz .LBB209_99
; %bb.96:                               ;   in Loop: Header=BB209_92 Depth=2
	v_mov_b32_e32 v25, s2
	s_mov_b32 s21, -1
	s_mov_b32 s22, exec_lo
	ds_cmpstore_rtn_b32 v24, v24, v15, v25
	s_waitcnt lgkmcnt(0)
	v_cmpx_eq_u32_e64 s2, v24
	s_cbranch_execz .LBB209_98
; %bb.97:                               ;   in Loop: Header=BB209_92 Depth=2
	v_lshl_add_u32 v24, v10, 5, v12
	s_xor_b32 s21, exec_lo, -1
	ds_add_f32 v24, v17
	ds_add_f32 v24, v11 offset:4
.LBB209_98:                             ;   in Loop: Header=BB209_92 Depth=2
	s_or_b32 exec_lo, exec_lo, s22
	s_delay_alu instid0(SALU_CYCLE_1) | instskip(SKIP_1) | instid1(SALU_CYCLE_1)
	s_and_not1_b32 s19, s19, exec_lo
	s_and_b32 s21, s21, exec_lo
	s_or_b32 s19, s19, s21
.LBB209_99:                             ;   in Loop: Header=BB209_92 Depth=2
	s_or_b32 exec_lo, exec_lo, s20
	s_delay_alu instid0(SALU_CYCLE_1)
	s_and_b32 s19, s19, exec_lo
.LBB209_100:                            ;   in Loop: Header=BB209_92 Depth=2
	s_and_not1_saveexec_b32 s18, s18
	s_cbranch_execz .LBB209_91
; %bb.101:                              ;   in Loop: Header=BB209_92 Depth=2
	v_lshl_add_u32 v24, v10, 5, v12
	s_and_not1_b32 s19, s19, exec_lo
	ds_add_f32 v24, v17
	ds_add_f32 v24, v11 offset:4
	s_branch .LBB209_91
.LBB209_102:                            ;   in Loop: Header=BB209_78 Depth=1
	s_or_b32 exec_lo, exec_lo, s17
	s_waitcnt vmcnt(0)
	v_mul_f32_e64 v10, v9, -s33
	v_mul_f32_e32 v9, s14, v9
	s_mov_b32 s17, 0
	s_delay_alu instid0(VALU_DEP_2) | instskip(NEXT) | instid1(VALU_DEP_2)
	v_fmac_f32_e32 v10, s14, v8
	v_dual_fmac_f32 v9, s33, v8 :: v_dual_mov_b32 v8, v16
	s_branch .LBB209_104
.LBB209_103:                            ;   in Loop: Header=BB209_104 Depth=2
	s_or_b32 exec_lo, exec_lo, s18
	s_xor_b32 s18, s19, -1
	s_delay_alu instid0(SALU_CYCLE_1) | instskip(NEXT) | instid1(SALU_CYCLE_1)
	s_and_b32 s18, exec_lo, s18
	s_or_b32 s17, s18, s17
	s_delay_alu instid0(SALU_CYCLE_1)
	s_and_not1_b32 exec_lo, exec_lo, s17
	s_cbranch_execz .LBB209_114
.LBB209_104:                            ;   Parent Loop BB209_78 Depth=1
                                        ; =>  This Inner Loop Header: Depth=2
	s_delay_alu instid0(VALU_DEP_1)
	v_lshl_add_u32 v11, v8, 2, v20
	s_mov_b32 s18, exec_lo
                                        ; implicit-def: $sgpr19
	ds_load_b32 v17, v11
	s_waitcnt lgkmcnt(0)
	v_cmpx_ne_u32_e64 v17, v15
	s_xor_b32 s18, exec_lo, s18
	s_cbranch_execz .LBB209_112
; %bb.105:                              ;   in Loop: Header=BB209_104 Depth=2
	s_mov_b32 s20, exec_lo
                                        ; implicit-def: $sgpr19
	v_cmpx_ne_u32_e64 s2, v17
	s_xor_b32 s20, exec_lo, s20
; %bb.106:                              ;   in Loop: Header=BB209_104 Depth=2
	v_add_nc_u32_e32 v8, 1, v8
	s_mov_b32 s19, -1
                                        ; implicit-def: $vgpr11
	s_delay_alu instid0(VALU_DEP_1)
	v_and_b32_e32 v8, 31, v8
; %bb.107:                              ;   in Loop: Header=BB209_104 Depth=2
	s_and_not1_saveexec_b32 s20, s20
	s_cbranch_execz .LBB209_111
; %bb.108:                              ;   in Loop: Header=BB209_104 Depth=2
	v_mov_b32_e32 v17, s2
	s_mov_b32 s21, -1
	s_mov_b32 s22, exec_lo
	ds_cmpstore_rtn_b32 v11, v11, v15, v17
	s_waitcnt lgkmcnt(0)
	v_cmpx_eq_u32_e64 s2, v11
	s_cbranch_execz .LBB209_110
; %bb.109:                              ;   in Loop: Header=BB209_104 Depth=2
	v_lshl_add_u32 v11, v8, 5, v13
	s_xor_b32 s21, exec_lo, -1
	ds_add_f32 v11, v10
	ds_add_f32 v11, v9 offset:4
.LBB209_110:                            ;   in Loop: Header=BB209_104 Depth=2
	s_or_b32 exec_lo, exec_lo, s22
	s_delay_alu instid0(SALU_CYCLE_1) | instskip(SKIP_1) | instid1(SALU_CYCLE_1)
	s_and_not1_b32 s19, s19, exec_lo
	s_and_b32 s21, s21, exec_lo
	s_or_b32 s19, s19, s21
.LBB209_111:                            ;   in Loop: Header=BB209_104 Depth=2
	s_or_b32 exec_lo, exec_lo, s20
	s_delay_alu instid0(SALU_CYCLE_1)
	s_and_b32 s19, s19, exec_lo
.LBB209_112:                            ;   in Loop: Header=BB209_104 Depth=2
	s_and_not1_saveexec_b32 s18, s18
	s_cbranch_execz .LBB209_103
; %bb.113:                              ;   in Loop: Header=BB209_104 Depth=2
	v_lshl_add_u32 v11, v8, 5, v13
	s_and_not1_b32 s19, s19, exec_lo
	ds_add_f32 v11, v10
	ds_add_f32 v11, v9 offset:4
	s_branch .LBB209_103
.LBB209_114:                            ;   in Loop: Header=BB209_78 Depth=1
	s_or_b32 exec_lo, exec_lo, s17
	v_mul_f32_e64 v8, v7, -s33
	v_mul_f32_e32 v7, s14, v7
	s_mov_b32 s17, 0
	s_delay_alu instid0(VALU_DEP_2) | instskip(NEXT) | instid1(VALU_DEP_2)
	v_fmac_f32_e32 v8, s14, v6
	v_fmac_f32_e32 v7, s33, v6
	s_branch .LBB209_116
.LBB209_115:                            ;   in Loop: Header=BB209_116 Depth=2
	s_or_b32 exec_lo, exec_lo, s18
	s_xor_b32 s18, s19, -1
	s_delay_alu instid0(SALU_CYCLE_1) | instskip(NEXT) | instid1(SALU_CYCLE_1)
	s_and_b32 s18, exec_lo, s18
	s_or_b32 s17, s18, s17
	s_delay_alu instid0(SALU_CYCLE_1)
	s_and_not1_b32 exec_lo, exec_lo, s17
	s_cbranch_execz .LBB209_77
.LBB209_116:                            ;   Parent Loop BB209_78 Depth=1
                                        ; =>  This Inner Loop Header: Depth=2
	v_lshl_add_u32 v6, v16, 2, v20
	s_mov_b32 s18, exec_lo
                                        ; implicit-def: $sgpr19
	ds_load_b32 v9, v6
	s_waitcnt lgkmcnt(0)
	v_cmpx_ne_u32_e64 v9, v15
	s_xor_b32 s18, exec_lo, s18
	s_cbranch_execz .LBB209_124
; %bb.117:                              ;   in Loop: Header=BB209_116 Depth=2
	s_mov_b32 s20, exec_lo
                                        ; implicit-def: $sgpr19
	v_cmpx_ne_u32_e64 s2, v9
	s_xor_b32 s20, exec_lo, s20
; %bb.118:                              ;   in Loop: Header=BB209_116 Depth=2
	v_add_nc_u32_e32 v6, 1, v16
	s_mov_b32 s19, -1
	s_delay_alu instid0(VALU_DEP_1)
	v_and_b32_e32 v16, 31, v6
                                        ; implicit-def: $vgpr6
; %bb.119:                              ;   in Loop: Header=BB209_116 Depth=2
	s_and_not1_saveexec_b32 s20, s20
	s_cbranch_execz .LBB209_123
; %bb.120:                              ;   in Loop: Header=BB209_116 Depth=2
	v_mov_b32_e32 v9, s2
	s_mov_b32 s21, -1
	s_mov_b32 s22, exec_lo
	ds_cmpstore_rtn_b32 v6, v6, v15, v9
	s_waitcnt lgkmcnt(0)
	v_cmpx_eq_u32_e64 s2, v6
	s_cbranch_execz .LBB209_122
; %bb.121:                              ;   in Loop: Header=BB209_116 Depth=2
	v_lshl_add_u32 v6, v16, 5, v14
	s_xor_b32 s21, exec_lo, -1
	ds_add_f32 v6, v8
	ds_add_f32 v6, v7 offset:4
.LBB209_122:                            ;   in Loop: Header=BB209_116 Depth=2
	s_or_b32 exec_lo, exec_lo, s22
	s_delay_alu instid0(SALU_CYCLE_1) | instskip(SKIP_1) | instid1(SALU_CYCLE_1)
	s_and_not1_b32 s19, s19, exec_lo
	s_and_b32 s21, s21, exec_lo
	s_or_b32 s19, s19, s21
.LBB209_123:                            ;   in Loop: Header=BB209_116 Depth=2
	s_or_b32 exec_lo, exec_lo, s20
	s_delay_alu instid0(SALU_CYCLE_1)
	s_and_b32 s19, s19, exec_lo
.LBB209_124:                            ;   in Loop: Header=BB209_116 Depth=2
	s_and_not1_saveexec_b32 s18, s18
	s_cbranch_execz .LBB209_115
; %bb.125:                              ;   in Loop: Header=BB209_116 Depth=2
	v_lshl_add_u32 v6, v16, 5, v14
	s_and_not1_b32 s19, s19, exec_lo
	ds_add_f32 v6, v8
	ds_add_f32 v6, v7 offset:4
	s_branch .LBB209_115
.LBB209_126:
	s_or_b32 exec_lo, exec_lo, s1
.LBB209_127:
	v_add_co_u32 v0, vcc_lo, s8, v4
	v_add_co_ci_u32_e32 v1, vcc_lo, s9, v5, vcc_lo
	s_waitcnt lgkmcnt(0)
	buffer_gl0_inv
	v_lshl_add_u32 v2, v21, 5, v22
	s_cmp_eq_u32 s0, 0
	global_load_b64 v[0:1], v[0:1], off
	s_mov_b32 s0, 0
	s_cselect_b32 s1, 8, 16
	s_cselect_b32 s3, 16, 8
	s_waitcnt vmcnt(0)
	v_sub_co_u32 v0, vcc_lo, v0, s38
	v_subrev_co_ci_u32_e32 v1, vcc_lo, 0, v1, vcc_lo
	s_branch .LBB209_129
.LBB209_128:                            ;   in Loop: Header=BB209_129 Depth=1
	s_or_b32 exec_lo, exec_lo, s4
	v_add_co_u32 v19, s4, v19, 16
	s_delay_alu instid0(VALU_DEP_1) | instskip(SKIP_3) | instid1(SALU_CYCLE_1)
	s_xor_b32 s4, s4, -1
	v_add_nc_u32_e32 v2, 0x200, v2
	v_add_nc_u32_e32 v18, 64, v18
	s_and_b32 s4, exec_lo, s4
	s_or_b32 s0, s4, s0
	s_delay_alu instid0(SALU_CYCLE_1)
	s_and_not1_b32 exec_lo, exec_lo, s0
	s_cbranch_execz .LBB209_131
.LBB209_129:                            ; =>This Inner Loop Header: Depth=1
	ds_load_b32 v3, v18
	s_mov_b32 s4, exec_lo
	s_waitcnt lgkmcnt(0)
	v_cmpx_gt_i32_e64 s2, v3
	s_cbranch_execz .LBB209_128
; %bb.130:                              ;   in Loop: Header=BB209_129 Depth=1
	ds_load_b128 v[4:7], v20
	ds_load_b128 v[8:11], v20 offset:16
	ds_load_b128 v[12:15], v20 offset:32
	;; [unrolled: 1-line block ×4, first 2 shown]
	s_waitcnt lgkmcnt(4)
	v_cmp_gt_i32_e32 vcc_lo, v3, v4
	v_cndmask_b32_e64 v4, 0, 1, vcc_lo
	v_cmp_gt_i32_e32 vcc_lo, v3, v5
	v_cndmask_b32_e64 v5, 0, 1, vcc_lo
	s_delay_alu instid0(VALU_DEP_3) | instskip(SKIP_3) | instid1(VALU_DEP_4)
	v_add_co_u32 v4, vcc_lo, v0, v4
	v_add_co_ci_u32_e32 v16, vcc_lo, 0, v1, vcc_lo
	v_cmp_gt_i32_e32 vcc_lo, v3, v6
	v_cndmask_b32_e64 v6, 0, 1, vcc_lo
	v_add_co_u32 v4, vcc_lo, v4, v5
	s_delay_alu instid0(VALU_DEP_4) | instskip(SKIP_2) | instid1(VALU_DEP_4)
	v_add_co_ci_u32_e32 v5, vcc_lo, 0, v16, vcc_lo
	v_cmp_gt_i32_e32 vcc_lo, v3, v7
	v_cndmask_b32_e64 v7, 0, 1, vcc_lo
	v_add_co_u32 v4, vcc_lo, v4, v6
	s_delay_alu instid0(VALU_DEP_4)
	v_add_co_ci_u32_e32 v5, vcc_lo, 0, v5, vcc_lo
	s_waitcnt lgkmcnt(3)
	v_cmp_gt_i32_e32 vcc_lo, v3, v8
	v_cndmask_b32_e64 v6, 0, 1, vcc_lo
	v_add_co_u32 v4, vcc_lo, v4, v7
	v_add_co_ci_u32_e32 v5, vcc_lo, 0, v5, vcc_lo
	v_cmp_gt_i32_e32 vcc_lo, v3, v9
	v_cndmask_b32_e64 v7, 0, 1, vcc_lo
	s_delay_alu instid0(VALU_DEP_4) | instskip(NEXT) | instid1(VALU_DEP_4)
	v_add_co_u32 v4, vcc_lo, v4, v6
	v_add_co_ci_u32_e32 v5, vcc_lo, 0, v5, vcc_lo
	v_cmp_gt_i32_e32 vcc_lo, v3, v10
	v_cndmask_b32_e64 v6, 0, 1, vcc_lo
	s_delay_alu instid0(VALU_DEP_4) | instskip(NEXT) | instid1(VALU_DEP_4)
	;; [unrolled: 5-line block ×3, first 2 shown]
	v_add_co_u32 v4, vcc_lo, v4, v6
	v_add_co_ci_u32_e32 v5, vcc_lo, 0, v5, vcc_lo
	s_waitcnt lgkmcnt(2)
	v_cmp_gt_i32_e32 vcc_lo, v3, v12
	v_cndmask_b32_e64 v6, 0, 1, vcc_lo
	v_add_co_u32 v4, vcc_lo, v4, v7
	v_add_co_ci_u32_e32 v5, vcc_lo, 0, v5, vcc_lo
	v_cmp_gt_i32_e32 vcc_lo, v3, v13
	v_cndmask_b32_e64 v7, 0, 1, vcc_lo
	s_delay_alu instid0(VALU_DEP_4) | instskip(NEXT) | instid1(VALU_DEP_4)
	v_add_co_u32 v4, vcc_lo, v4, v6
	v_add_co_ci_u32_e32 v5, vcc_lo, 0, v5, vcc_lo
	v_cmp_gt_i32_e32 vcc_lo, v3, v14
	v_cndmask_b32_e64 v6, 0, 1, vcc_lo
	s_delay_alu instid0(VALU_DEP_4) | instskip(NEXT) | instid1(VALU_DEP_4)
	;; [unrolled: 5-line block ×3, first 2 shown]
	v_add_co_u32 v4, vcc_lo, v4, v6
	v_add_co_ci_u32_e32 v5, vcc_lo, 0, v5, vcc_lo
	s_waitcnt lgkmcnt(1)
	v_cmp_gt_i32_e32 vcc_lo, v3, v21
	v_cndmask_b32_e64 v6, 0, 1, vcc_lo
	v_add_co_u32 v4, vcc_lo, v4, v7
	v_add_co_ci_u32_e32 v5, vcc_lo, 0, v5, vcc_lo
	v_cmp_gt_i32_e32 vcc_lo, v3, v22
	v_cndmask_b32_e64 v7, 0, 1, vcc_lo
	s_delay_alu instid0(VALU_DEP_4) | instskip(NEXT) | instid1(VALU_DEP_4)
	v_add_co_u32 v4, vcc_lo, v4, v6
	v_add_co_ci_u32_e32 v5, vcc_lo, 0, v5, vcc_lo
	v_cmp_gt_i32_e32 vcc_lo, v3, v23
	v_cndmask_b32_e64 v6, 0, 1, vcc_lo
	s_delay_alu instid0(VALU_DEP_4) | instskip(NEXT) | instid1(VALU_DEP_4)
	v_add_co_u32 v4, vcc_lo, v4, v7
	v_add_co_ci_u32_e32 v5, vcc_lo, 0, v5, vcc_lo
	s_delay_alu instid0(VALU_DEP_2) | instskip(NEXT) | instid1(VALU_DEP_2)
	v_add_co_u32 v8, vcc_lo, v4, v6
	v_add_co_ci_u32_e32 v9, vcc_lo, 0, v5, vcc_lo
	ds_load_b128 v[4:7], v20 offset:80
	v_cmp_gt_i32_e32 vcc_lo, v3, v24
	v_cndmask_b32_e64 v10, 0, 1, vcc_lo
	s_waitcnt lgkmcnt(1)
	v_cmp_gt_i32_e32 vcc_lo, v3, v25
	v_cndmask_b32_e64 v11, 0, 1, vcc_lo
	s_delay_alu instid0(VALU_DEP_3) | instskip(SKIP_3) | instid1(VALU_DEP_4)
	v_add_co_u32 v8, vcc_lo, v8, v10
	v_add_co_ci_u32_e32 v9, vcc_lo, 0, v9, vcc_lo
	v_cmp_gt_i32_e32 vcc_lo, v3, v26
	v_cndmask_b32_e64 v10, 0, 1, vcc_lo
	v_add_co_u32 v8, vcc_lo, v8, v11
	s_delay_alu instid0(VALU_DEP_4) | instskip(SKIP_2) | instid1(VALU_DEP_4)
	v_add_co_ci_u32_e32 v9, vcc_lo, 0, v9, vcc_lo
	v_cmp_gt_i32_e32 vcc_lo, v3, v27
	v_cndmask_b32_e64 v11, 0, 1, vcc_lo
	v_add_co_u32 v8, vcc_lo, v8, v10
	s_delay_alu instid0(VALU_DEP_4) | instskip(SKIP_2) | instid1(VALU_DEP_4)
	v_add_co_ci_u32_e32 v9, vcc_lo, 0, v9, vcc_lo
	v_cmp_gt_i32_e32 vcc_lo, v3, v28
	v_cndmask_b32_e64 v10, 0, 1, vcc_lo
	v_add_co_u32 v8, vcc_lo, v8, v11
	s_delay_alu instid0(VALU_DEP_4) | instskip(NEXT) | instid1(VALU_DEP_2)
	v_add_co_ci_u32_e32 v9, vcc_lo, 0, v9, vcc_lo
	v_add_co_u32 v12, vcc_lo, v8, v10
	s_delay_alu instid0(VALU_DEP_2)
	v_add_co_ci_u32_e32 v13, vcc_lo, 0, v9, vcc_lo
	s_waitcnt lgkmcnt(0)
	v_cmp_gt_i32_e32 vcc_lo, v3, v4
	ds_load_b128 v[8:11], v20 offset:96
	v_cndmask_b32_e64 v4, 0, 1, vcc_lo
	v_cmp_gt_i32_e32 vcc_lo, v3, v5
	v_cndmask_b32_e64 v5, 0, 1, vcc_lo
	s_delay_alu instid0(VALU_DEP_3) | instskip(SKIP_3) | instid1(VALU_DEP_4)
	v_add_co_u32 v4, vcc_lo, v12, v4
	v_add_co_ci_u32_e32 v12, vcc_lo, 0, v13, vcc_lo
	v_cmp_gt_i32_e32 vcc_lo, v3, v6
	v_cndmask_b32_e64 v6, 0, 1, vcc_lo
	v_add_co_u32 v4, vcc_lo, v4, v5
	s_delay_alu instid0(VALU_DEP_4) | instskip(NEXT) | instid1(VALU_DEP_2)
	v_add_co_ci_u32_e32 v5, vcc_lo, 0, v12, vcc_lo
	v_add_co_u32 v12, vcc_lo, v4, v6
	s_delay_alu instid0(VALU_DEP_2)
	v_add_co_ci_u32_e32 v13, vcc_lo, 0, v5, vcc_lo
	v_cmp_gt_i32_e32 vcc_lo, v3, v7
	ds_load_b128 v[4:7], v20 offset:112
	v_cndmask_b32_e64 v14, 0, 1, vcc_lo
	s_waitcnt lgkmcnt(1)
	v_cmp_gt_i32_e32 vcc_lo, v3, v8
	v_cndmask_b32_e64 v8, 0, 1, vcc_lo
	s_delay_alu instid0(VALU_DEP_3)
	v_add_co_u32 v12, vcc_lo, v12, v14
	v_add_co_ci_u32_e32 v13, vcc_lo, 0, v13, vcc_lo
	v_cmp_gt_i32_e32 vcc_lo, v3, v9
	v_add_nc_u32_e32 v14, s3, v2
	v_cndmask_b32_e64 v9, 0, 1, vcc_lo
	v_add_co_u32 v8, vcc_lo, v12, v8
	v_add_co_ci_u32_e32 v12, vcc_lo, 0, v13, vcc_lo
	v_cmp_gt_i32_e32 vcc_lo, v3, v10
	v_cndmask_b32_e64 v10, 0, 1, vcc_lo
	s_delay_alu instid0(VALU_DEP_4) | instskip(NEXT) | instid1(VALU_DEP_4)
	v_add_co_u32 v8, vcc_lo, v8, v9
	v_add_co_ci_u32_e32 v9, vcc_lo, 0, v12, vcc_lo
	v_cmp_gt_i32_e32 vcc_lo, v3, v11
	v_cndmask_b32_e64 v11, 0, 1, vcc_lo
	s_delay_alu instid0(VALU_DEP_4) | instskip(NEXT) | instid1(VALU_DEP_4)
	v_add_co_u32 v8, vcc_lo, v8, v10
	v_add_co_ci_u32_e32 v9, vcc_lo, 0, v9, vcc_lo
	s_delay_alu instid0(VALU_DEP_2) | instskip(NEXT) | instid1(VALU_DEP_2)
	v_add_co_u32 v12, vcc_lo, v8, v11
	v_add_co_ci_u32_e32 v13, vcc_lo, 0, v9, vcc_lo
	s_waitcnt lgkmcnt(0)
	v_cmp_gt_i32_e32 vcc_lo, v3, v4
	ds_load_2addr_b64 v[8:11], v2 offset1:3
	v_cndmask_b32_e64 v4, 0, 1, vcc_lo
	v_cmp_gt_i32_e32 vcc_lo, v3, v5
	v_cndmask_b32_e64 v5, 0, 1, vcc_lo
	s_delay_alu instid0(VALU_DEP_3) | instskip(SKIP_3) | instid1(VALU_DEP_4)
	v_add_co_u32 v4, vcc_lo, v12, v4
	v_add_co_ci_u32_e32 v12, vcc_lo, 0, v13, vcc_lo
	v_cmp_gt_i32_e32 vcc_lo, v3, v6
	v_cndmask_b32_e64 v6, 0, 1, vcc_lo
	v_add_co_u32 v4, vcc_lo, v4, v5
	s_delay_alu instid0(VALU_DEP_4)
	v_add_co_ci_u32_e32 v5, vcc_lo, 0, v12, vcc_lo
	v_cmp_gt_i32_e32 vcc_lo, v3, v7
	v_add_nc_u32_e32 v3, s38, v3
	v_cndmask_b32_e64 v7, 0, 1, vcc_lo
	v_add_co_u32 v4, vcc_lo, v4, v6
	v_add_co_ci_u32_e32 v5, vcc_lo, 0, v5, vcc_lo
	v_add_nc_u32_e32 v6, s1, v2
	s_delay_alu instid0(VALU_DEP_3) | instskip(NEXT) | instid1(VALU_DEP_3)
	v_add_co_u32 v12, vcc_lo, v4, v7
	v_add_co_ci_u32_e32 v13, vcc_lo, 0, v5, vcc_lo
	s_waitcnt lgkmcnt(0)
	v_dual_mov_b32 v5, v9 :: v_dual_mov_b32 v4, v8
	ds_load_b64 v[6:7], v6
	ds_load_b64 v[8:9], v14
	v_lshlrev_b64 v[14:15], 2, v[12:13]
	v_lshlrev_b64 v[12:13], 5, v[12:13]
	s_delay_alu instid0(VALU_DEP_2) | instskip(NEXT) | instid1(VALU_DEP_3)
	v_add_co_u32 v14, vcc_lo, s10, v14
	v_add_co_ci_u32_e32 v15, vcc_lo, s11, v15, vcc_lo
	s_delay_alu instid0(VALU_DEP_3) | instskip(NEXT) | instid1(VALU_DEP_4)
	v_add_co_u32 v12, vcc_lo, s12, v12
	v_add_co_ci_u32_e32 v13, vcc_lo, s13, v13, vcc_lo
	global_store_b32 v[14:15], v3, off
	s_waitcnt lgkmcnt(1)
	global_store_b128 v[12:13], v[4:7], off
	s_waitcnt lgkmcnt(0)
	global_store_b128 v[12:13], v[8:11], off offset:16
	s_branch .LBB209_128
.LBB209_131:
	s_nop 0
	s_sendmsg sendmsg(MSG_DEALLOC_VGPRS)
	s_endpgm
	.section	.rodata,"a",@progbits
	.p2align	6, 0x0
	.amdhsa_kernel _ZN9rocsparseL27bsrgemm_fill_wf_per_row_2x2ILj256ELj16ELj32ELj137Eli21rocsparse_complex_numIfEEEv20rocsparse_direction_T4_S4_PKS4_S6_NS_24const_host_device_scalarIT5_EEPKT3_S6_PKS8_SC_S6_SE_S9_SC_S6_SE_SC_PS4_PS8_21rocsparse_index_base_SH_SH_SH_bbb
		.amdhsa_group_segment_fixed_size 18432
		.amdhsa_private_segment_fixed_size 0
		.amdhsa_kernarg_size 164
		.amdhsa_user_sgpr_count 15
		.amdhsa_user_sgpr_dispatch_ptr 0
		.amdhsa_user_sgpr_queue_ptr 0
		.amdhsa_user_sgpr_kernarg_segment_ptr 1
		.amdhsa_user_sgpr_dispatch_id 0
		.amdhsa_user_sgpr_private_segment_size 0
		.amdhsa_wavefront_size32 1
		.amdhsa_uses_dynamic_stack 0
		.amdhsa_enable_private_segment 0
		.amdhsa_system_sgpr_workgroup_id_x 1
		.amdhsa_system_sgpr_workgroup_id_y 0
		.amdhsa_system_sgpr_workgroup_id_z 0
		.amdhsa_system_sgpr_workgroup_info 0
		.amdhsa_system_vgpr_workitem_id 0
		.amdhsa_next_free_vgpr 42
		.amdhsa_next_free_sgpr 47
		.amdhsa_reserve_vcc 1
		.amdhsa_float_round_mode_32 0
		.amdhsa_float_round_mode_16_64 0
		.amdhsa_float_denorm_mode_32 3
		.amdhsa_float_denorm_mode_16_64 3
		.amdhsa_dx10_clamp 1
		.amdhsa_ieee_mode 1
		.amdhsa_fp16_overflow 0
		.amdhsa_workgroup_processor_mode 1
		.amdhsa_memory_ordered 1
		.amdhsa_forward_progress 0
		.amdhsa_shared_vgpr_count 0
		.amdhsa_exception_fp_ieee_invalid_op 0
		.amdhsa_exception_fp_denorm_src 0
		.amdhsa_exception_fp_ieee_div_zero 0
		.amdhsa_exception_fp_ieee_overflow 0
		.amdhsa_exception_fp_ieee_underflow 0
		.amdhsa_exception_fp_ieee_inexact 0
		.amdhsa_exception_int_div_zero 0
	.end_amdhsa_kernel
	.section	.text._ZN9rocsparseL27bsrgemm_fill_wf_per_row_2x2ILj256ELj16ELj32ELj137Eli21rocsparse_complex_numIfEEEv20rocsparse_direction_T4_S4_PKS4_S6_NS_24const_host_device_scalarIT5_EEPKT3_S6_PKS8_SC_S6_SE_S9_SC_S6_SE_SC_PS4_PS8_21rocsparse_index_base_SH_SH_SH_bbb,"axG",@progbits,_ZN9rocsparseL27bsrgemm_fill_wf_per_row_2x2ILj256ELj16ELj32ELj137Eli21rocsparse_complex_numIfEEEv20rocsparse_direction_T4_S4_PKS4_S6_NS_24const_host_device_scalarIT5_EEPKT3_S6_PKS8_SC_S6_SE_S9_SC_S6_SE_SC_PS4_PS8_21rocsparse_index_base_SH_SH_SH_bbb,comdat
.Lfunc_end209:
	.size	_ZN9rocsparseL27bsrgemm_fill_wf_per_row_2x2ILj256ELj16ELj32ELj137Eli21rocsparse_complex_numIfEEEv20rocsparse_direction_T4_S4_PKS4_S6_NS_24const_host_device_scalarIT5_EEPKT3_S6_PKS8_SC_S6_SE_S9_SC_S6_SE_SC_PS4_PS8_21rocsparse_index_base_SH_SH_SH_bbb, .Lfunc_end209-_ZN9rocsparseL27bsrgemm_fill_wf_per_row_2x2ILj256ELj16ELj32ELj137Eli21rocsparse_complex_numIfEEEv20rocsparse_direction_T4_S4_PKS4_S6_NS_24const_host_device_scalarIT5_EEPKT3_S6_PKS8_SC_S6_SE_S9_SC_S6_SE_SC_PS4_PS8_21rocsparse_index_base_SH_SH_SH_bbb
                                        ; -- End function
	.section	.AMDGPU.csdata,"",@progbits
; Kernel info:
; codeLenInByte = 5392
; NumSgprs: 49
; NumVgprs: 42
; ScratchSize: 0
; MemoryBound: 0
; FloatMode: 240
; IeeeMode: 1
; LDSByteSize: 18432 bytes/workgroup (compile time only)
; SGPRBlocks: 6
; VGPRBlocks: 5
; NumSGPRsForWavesPerEU: 49
; NumVGPRsForWavesPerEU: 42
; Occupancy: 14
; WaveLimiterHint : 1
; COMPUTE_PGM_RSRC2:SCRATCH_EN: 0
; COMPUTE_PGM_RSRC2:USER_SGPR: 15
; COMPUTE_PGM_RSRC2:TRAP_HANDLER: 0
; COMPUTE_PGM_RSRC2:TGID_X_EN: 1
; COMPUTE_PGM_RSRC2:TGID_Y_EN: 0
; COMPUTE_PGM_RSRC2:TGID_Z_EN: 0
; COMPUTE_PGM_RSRC2:TIDIG_COMP_CNT: 0
	.section	.text._ZN9rocsparseL30bsrgemm_fill_block_per_row_2x2ILj256ELj16ELj64ELj137Eli21rocsparse_complex_numIfEEEv20rocsparse_direction_T4_S4_PKS4_S6_NS_24const_host_device_scalarIT5_EEPKT3_S6_PKS8_SC_S6_SE_S9_SC_S6_SE_SC_PS4_PS8_21rocsparse_index_base_SH_SH_SH_bbb,"axG",@progbits,_ZN9rocsparseL30bsrgemm_fill_block_per_row_2x2ILj256ELj16ELj64ELj137Eli21rocsparse_complex_numIfEEEv20rocsparse_direction_T4_S4_PKS4_S6_NS_24const_host_device_scalarIT5_EEPKT3_S6_PKS8_SC_S6_SE_S9_SC_S6_SE_SC_PS4_PS8_21rocsparse_index_base_SH_SH_SH_bbb,comdat
	.globl	_ZN9rocsparseL30bsrgemm_fill_block_per_row_2x2ILj256ELj16ELj64ELj137Eli21rocsparse_complex_numIfEEEv20rocsparse_direction_T4_S4_PKS4_S6_NS_24const_host_device_scalarIT5_EEPKT3_S6_PKS8_SC_S6_SE_S9_SC_S6_SE_SC_PS4_PS8_21rocsparse_index_base_SH_SH_SH_bbb ; -- Begin function _ZN9rocsparseL30bsrgemm_fill_block_per_row_2x2ILj256ELj16ELj64ELj137Eli21rocsparse_complex_numIfEEEv20rocsparse_direction_T4_S4_PKS4_S6_NS_24const_host_device_scalarIT5_EEPKT3_S6_PKS8_SC_S6_SE_S9_SC_S6_SE_SC_PS4_PS8_21rocsparse_index_base_SH_SH_SH_bbb
	.p2align	8
	.type	_ZN9rocsparseL30bsrgemm_fill_block_per_row_2x2ILj256ELj16ELj64ELj137Eli21rocsparse_complex_numIfEEEv20rocsparse_direction_T4_S4_PKS4_S6_NS_24const_host_device_scalarIT5_EEPKT3_S6_PKS8_SC_S6_SE_S9_SC_S6_SE_SC_PS4_PS8_21rocsparse_index_base_SH_SH_SH_bbb,@function
_ZN9rocsparseL30bsrgemm_fill_block_per_row_2x2ILj256ELj16ELj64ELj137Eli21rocsparse_complex_numIfEEEv20rocsparse_direction_T4_S4_PKS4_S6_NS_24const_host_device_scalarIT5_EEPKT3_S6_PKS8_SC_S6_SE_S9_SC_S6_SE_SC_PS4_PS8_21rocsparse_index_base_SH_SH_SH_bbb: ; @_ZN9rocsparseL30bsrgemm_fill_block_per_row_2x2ILj256ELj16ELj64ELj137Eli21rocsparse_complex_numIfEEEv20rocsparse_direction_T4_S4_PKS4_S6_NS_24const_host_device_scalarIT5_EEPKT3_S6_PKS8_SC_S6_SE_S9_SC_S6_SE_SC_PS4_PS8_21rocsparse_index_base_SH_SH_SH_bbb
; %bb.0:
	s_mov_b32 s40, s15
	s_clause 0x6
	s_load_b32 s33, s[0:1], 0xa0
	s_load_b256 s[4:11], s[0:1], 0x68
	s_load_b256 s[12:19], s[0:1], 0x48
	s_load_b128 s[36:39], s[0:1], 0x10
	s_load_b256 s[20:27], s[0:1], 0x28
	s_load_b64 s[34:35], s[0:1], 0x88
	s_load_b128 s[28:31], s[0:1], 0x90
	s_mov_b32 s3, 0
	s_mov_b32 s43, 0
	s_waitcnt lgkmcnt(0)
	s_bitcmp1_b32 s33, 0
	s_cselect_b32 s41, -1, 0
	s_bitcmp1_b32 s33, 16
	s_cselect_b32 s2, -1, 0
	s_delay_alu instid0(SALU_CYCLE_1) | instskip(SKIP_2) | instid1(VALU_DEP_1)
	s_xor_b32 s42, s2, -1
	s_bitcmp0_b32 s33, 0
	v_cndmask_b32_e64 v1, 0, 1, s42
	v_cmp_ne_u32_e32 vcc_lo, 1, v1
	s_cbranch_scc1 .LBB210_5
; %bb.1:
	s_load_b64 s[2:3], s[0:1], 0x20
	s_and_b32 vcc_lo, exec_lo, vcc_lo
	s_waitcnt lgkmcnt(0)
	s_mov_b32 s43, s2
	s_cbranch_vccnz .LBB210_3
; %bb.2:
	s_load_b32 s43, s[2:3], 0x0
.LBB210_3:
	s_and_not1_b32 vcc_lo, exec_lo, s42
	s_cbranch_vccnz .LBB210_5
; %bb.4:
	s_load_b32 s3, s[2:3], 0x4
.LBB210_5:
	s_bitcmp1_b32 s33, 8
	s_mov_b32 s42, 0
	s_cselect_b32 s44, -1, 0
	s_bfe_u32 s2, s33, 0x10008
	s_mov_b32 s33, 0
	s_cmp_eq_u32 s2, 0
	s_cbranch_scc1 .LBB210_11
; %bb.6:
	v_cmp_ne_u32_e32 vcc_lo, 1, v1
	s_mov_b32 s33, s16
	s_cbranch_vccnz .LBB210_8
; %bb.7:
	s_load_b32 s33, s[16:17], 0x0
.LBB210_8:
	v_cmp_ne_u32_e32 vcc_lo, 1, v1
	s_cbranch_vccnz .LBB210_10
; %bb.9:
	s_load_b32 s17, s[16:17], 0x4
.LBB210_10:
	s_waitcnt lgkmcnt(0)
	s_mov_b32 s42, s17
.LBB210_11:
	s_load_b32 s17, s[0:1], 0x8
	v_cmp_gt_u32_e64 s2, 64, v0
	v_lshl_add_u32 v16, v0, 2, 0
	s_delay_alu instid0(VALU_DEP_2)
	s_and_saveexec_b32 s16, s2
	s_cbranch_execz .LBB210_13
; %bb.12:
	s_waitcnt lgkmcnt(0)
	v_mov_b32_e32 v1, s17
	ds_store_b32 v16, v1
.LBB210_13:
	s_or_b32 exec_lo, exec_lo, s16
	s_delay_alu instid0(SALU_CYCLE_1)
	s_mov_b32 s16, exec_lo
	v_cmpx_gt_u32_e32 0x100, v0
	s_cbranch_execz .LBB210_15
; %bb.14:
	v_lshl_add_u32 v1, v0, 3, 0
	v_mov_b32_e32 v2, 0
	ds_store_2addr_b32 v1, v2, v2 offset0:64 offset1:65
.LBB210_15:
	s_or_b32 exec_lo, exec_lo, s16
	s_cmp_eq_u64 s[38:39], 0
	s_waitcnt lgkmcnt(0)
	s_barrier
	buffer_gl0_inv
	s_cbranch_scc1 .LBB210_17
; %bb.16:
	s_load_b32 s16, s[36:37], 0x0
	s_mov_b32 s37, 0
	s_waitcnt lgkmcnt(0)
	s_add_i32 s36, s16, s40
	s_delay_alu instid0(SALU_CYCLE_1) | instskip(NEXT) | instid1(SALU_CYCLE_1)
	s_lshl_b64 s[36:37], s[36:37], 2
	s_add_u32 s36, s38, s36
	s_addc_u32 s37, s39, s37
	s_load_b32 s40, s[36:37], 0x0
.LBB210_17:
	s_load_b32 s16, s[0:1], 0x0
	s_and_not1_b32 vcc_lo, exec_lo, s41
	s_waitcnt lgkmcnt(0)
	s_ashr_i32 s41, s40, 31
	s_cbranch_vccnz .LBB210_73
; %bb.18:
	s_lshl_b64 s[0:1], s[40:41], 3
	v_lshrrev_b32_e32 v1, 4, v0
	s_add_u32 s0, s20, s0
	s_addc_u32 s1, s21, s1
	s_mov_b32 s21, 0
	s_load_b128 s[36:39], s[0:1], 0x0
	v_sub_co_u32 v1, s0, v1, s28
	s_delay_alu instid0(VALU_DEP_1) | instskip(SKIP_2) | instid1(VALU_DEP_2)
	v_sub_co_ci_u32_e64 v2, null, 0, 0, s0
	s_mov_b32 s20, exec_lo
	s_waitcnt lgkmcnt(0)
	v_add_co_u32 v1, vcc_lo, s36, v1
	s_delay_alu instid0(VALU_DEP_2)
	v_add_co_ci_u32_e32 v2, vcc_lo, s37, v2, vcc_lo
	s_sub_u32 s0, s38, s28
	s_subb_u32 s1, s39, 0
	s_delay_alu instid0(VALU_DEP_1) | instid1(SALU_CYCLE_1)
	v_cmpx_gt_i64_e64 s[0:1], v[1:2]
	s_cbranch_execz .LBB210_72
; %bb.19:
	v_and_b32_e32 v3, 15, v0
	s_cmp_eq_u32 s16, 0
	s_cselect_b32 s37, 2, 1
	s_cselect_b32 s38, 1, 2
	s_delay_alu instid0(VALU_DEP_1) | instskip(NEXT) | instid1(VALU_DEP_1)
	v_sub_co_u32 v17, s36, v3, s29
	v_sub_co_ci_u32_e64 v18, null, 0, 0, s36
	s_mov_b32 s36, s29
	s_branch .LBB210_21
.LBB210_20:                             ;   in Loop: Header=BB210_21 Depth=1
	s_or_b32 exec_lo, exec_lo, s39
	v_add_co_u32 v1, vcc_lo, v1, 16
	v_add_co_ci_u32_e32 v2, vcc_lo, 0, v2, vcc_lo
	s_delay_alu instid0(VALU_DEP_1) | instskip(SKIP_1) | instid1(SALU_CYCLE_1)
	v_cmp_le_i64_e32 vcc_lo, s[0:1], v[1:2]
	s_or_b32 s21, vcc_lo, s21
	s_and_not1_b32 exec_lo, exec_lo, s21
	s_cbranch_execz .LBB210_72
.LBB210_21:                             ; =>This Loop Header: Depth=1
                                        ;     Child Loop BB210_24 Depth 2
                                        ;       Child Loop BB210_26 Depth 3
                                        ;       Child Loop BB210_38 Depth 3
	;; [unrolled: 1-line block ×4, first 2 shown]
	v_lshlrev_b64 v[7:8], 2, v[1:2]
	s_mov_b32 s39, exec_lo
	s_delay_alu instid0(VALU_DEP_1) | instskip(NEXT) | instid1(VALU_DEP_2)
	v_add_co_u32 v3, vcc_lo, s22, v7
	v_add_co_ci_u32_e32 v4, vcc_lo, s23, v8, vcc_lo
	global_load_b32 v3, v[3:4], off
	s_waitcnt vmcnt(0)
	v_subrev_nc_u32_e32 v3, s28, v3
	s_delay_alu instid0(VALU_DEP_1) | instskip(NEXT) | instid1(VALU_DEP_1)
	v_ashrrev_i32_e32 v4, 31, v3
	v_lshlrev_b64 v[3:4], 3, v[3:4]
	s_delay_alu instid0(VALU_DEP_1) | instskip(NEXT) | instid1(VALU_DEP_2)
	v_add_co_u32 v3, vcc_lo, s26, v3
	v_add_co_ci_u32_e32 v4, vcc_lo, s27, v4, vcc_lo
	global_load_b128 v[9:12], v[3:4], off
	s_waitcnt vmcnt(0)
	v_sub_co_u32 v3, vcc_lo, v11, s36
	v_subrev_co_ci_u32_e32 v4, vcc_lo, 0, v12, vcc_lo
	v_add_co_u32 v5, vcc_lo, v9, v17
	v_add_co_ci_u32_e32 v6, vcc_lo, v10, v18, vcc_lo
	s_delay_alu instid0(VALU_DEP_1)
	v_cmpx_lt_i64_e64 v[5:6], v[3:4]
	s_cbranch_execz .LBB210_20
; %bb.22:                               ;   in Loop: Header=BB210_21 Depth=1
	v_or_b32_e32 v12, 0, v8
	v_or_b32_e32 v11, s37, v7
	v_lshlrev_b64 v[9:10], 5, v[1:2]
	v_or_b32_e32 v8, 0, v8
	v_or_b32_e32 v7, s38, v7
	s_mov_b32 s45, 0
	v_lshlrev_b64 v[11:12], 3, v[11:12]
	s_delay_alu instid0(VALU_DEP_4) | instskip(NEXT) | instid1(VALU_DEP_3)
	v_add_co_u32 v9, vcc_lo, s24, v9
	v_lshlrev_b64 v[7:8], 3, v[7:8]
	v_add_co_ci_u32_e32 v10, vcc_lo, s25, v10, vcc_lo
	s_delay_alu instid0(VALU_DEP_4) | instskip(SKIP_1) | instid1(VALU_DEP_4)
	v_add_co_u32 v11, vcc_lo, s24, v11
	v_add_co_ci_u32_e32 v12, vcc_lo, s25, v12, vcc_lo
	v_add_co_u32 v7, vcc_lo, s24, v7
	v_add_co_ci_u32_e32 v8, vcc_lo, s25, v8, vcc_lo
	s_clause 0x3
	global_load_b64 v[13:14], v[9:10], off
	global_load_b64 v[11:12], v[11:12], off
	global_load_b64 v[7:8], v[7:8], off
	global_load_b64 v[9:10], v[9:10], off offset:24
	s_waitcnt vmcnt(3)
	v_mul_f32_e64 v19, v14, -s3
	v_mul_f32_e32 v20, s43, v14
	s_waitcnt vmcnt(2)
	v_mul_f32_e64 v21, v12, -s3
	s_waitcnt vmcnt(0)
	v_dual_mul_f32 v22, s43, v12 :: v_dual_mul_f32 v23, s43, v10
	v_fmac_f32_e32 v19, s43, v13
	v_fmac_f32_e32 v20, s3, v13
	v_mul_f32_e64 v24, v10, -s3
	v_mul_f32_e64 v26, v8, -s3
	v_fmac_f32_e32 v21, s43, v11
	v_dual_mul_f32 v25, s43, v8 :: v_dual_fmac_f32 v22, s3, v11
	s_delay_alu instid0(VALU_DEP_3) | instskip(NEXT) | instid1(VALU_DEP_2)
	v_dual_fmac_f32 v23, s3, v9 :: v_dual_fmac_f32 v26, s43, v7
	v_dual_fmac_f32 v24, s43, v9 :: v_dual_fmac_f32 v25, s3, v7
	s_branch .LBB210_24
.LBB210_23:                             ;   in Loop: Header=BB210_24 Depth=2
	s_or_b32 exec_lo, exec_lo, s46
	v_add_co_u32 v5, vcc_lo, v5, 16
	v_add_co_ci_u32_e32 v6, vcc_lo, 0, v6, vcc_lo
	s_delay_alu instid0(VALU_DEP_1) | instskip(SKIP_1) | instid1(SALU_CYCLE_1)
	v_cmp_ge_i64_e32 vcc_lo, v[5:6], v[3:4]
	s_or_b32 s45, vcc_lo, s45
	s_and_not1_b32 exec_lo, exec_lo, s45
	s_cbranch_execz .LBB210_20
.LBB210_24:                             ;   Parent Loop BB210_21 Depth=1
                                        ; =>  This Loop Header: Depth=2
                                        ;       Child Loop BB210_26 Depth 3
                                        ;       Child Loop BB210_38 Depth 3
	;; [unrolled: 1-line block ×4, first 2 shown]
	v_lshlrev_b64 v[7:8], 2, v[5:6]
	v_lshlrev_b64 v[27:28], 5, v[5:6]
	s_mov_b32 s46, 0
	s_delay_alu instid0(VALU_DEP_2) | instskip(NEXT) | instid1(VALU_DEP_3)
	v_or_b32_e32 v10, 0, v8
	v_or_b32_e32 v9, s37, v7
	s_delay_alu instid0(VALU_DEP_1) | instskip(NEXT) | instid1(VALU_DEP_1)
	v_lshlrev_b64 v[9:10], 3, v[9:10]
	v_add_co_u32 v9, vcc_lo, s14, v9
	s_delay_alu instid0(VALU_DEP_2)
	v_add_co_ci_u32_e32 v10, vcc_lo, s15, v10, vcc_lo
	v_add_co_u32 v11, vcc_lo, s12, v7
	v_add_co_ci_u32_e32 v12, vcc_lo, s13, v8, vcc_lo
	global_load_b64 v[13:14], v[9:10], off
	global_load_b32 v15, v[11:12], off
	v_add_co_u32 v9, vcc_lo, s14, v27
	v_add_co_ci_u32_e32 v10, vcc_lo, s15, v28, vcc_lo
	v_or_b32_e32 v8, 0, v8
	v_or_b32_e32 v7, s38, v7
	global_load_b64 v[11:12], v[9:10], off
	v_lshlrev_b64 v[7:8], 3, v[7:8]
	s_delay_alu instid0(VALU_DEP_1) | instskip(NEXT) | instid1(VALU_DEP_2)
	v_add_co_u32 v7, vcc_lo, s14, v7
	v_add_co_ci_u32_e32 v8, vcc_lo, s15, v8, vcc_lo
	s_clause 0x1
	global_load_b64 v[7:8], v[7:8], off
	global_load_b64 v[9:10], v[9:10], off offset:24
	s_waitcnt vmcnt(4)
	v_mul_f32_e64 v30, v14, -v25
	s_waitcnt vmcnt(3)
	v_subrev_nc_u32_e32 v27, s29, v15
	s_delay_alu instid0(VALU_DEP_2) | instskip(SKIP_1) | instid1(VALU_DEP_3)
	v_fmac_f32_e32 v30, v26, v13
	v_mul_f32_e32 v29, v26, v14
	v_lshl_add_u32 v15, v27, 3, v27
	s_waitcnt vmcnt(2)
	s_delay_alu instid0(VALU_DEP_2) | instskip(NEXT) | instid1(VALU_DEP_2)
	v_dual_fmac_f32 v30, v19, v11 :: v_dual_fmac_f32 v29, v25, v13
	v_and_b32_e32 v28, 63, v15
	s_delay_alu instid0(VALU_DEP_2) | instskip(NEXT) | instid1(VALU_DEP_3)
	v_fma_f32 v30, -v20, v12, v30
	v_fmac_f32_e32 v29, v20, v11
	s_delay_alu instid0(VALU_DEP_3) | instskip(NEXT) | instid1(VALU_DEP_2)
	v_mov_b32_e32 v31, v28
	v_fmac_f32_e32 v29, v19, v12
	s_branch .LBB210_26
.LBB210_25:                             ;   in Loop: Header=BB210_26 Depth=3
	s_or_b32 exec_lo, exec_lo, s47
	s_xor_b32 s47, s48, -1
	s_delay_alu instid0(SALU_CYCLE_1) | instskip(NEXT) | instid1(SALU_CYCLE_1)
	s_and_b32 s47, exec_lo, s47
	s_or_b32 s46, s47, s46
	s_delay_alu instid0(SALU_CYCLE_1)
	s_and_not1_b32 exec_lo, exec_lo, s46
	s_cbranch_execz .LBB210_36
.LBB210_26:                             ;   Parent Loop BB210_21 Depth=1
                                        ;     Parent Loop BB210_24 Depth=2
                                        ; =>    This Inner Loop Header: Depth=3
	s_delay_alu instid0(VALU_DEP_2)
	v_lshl_add_u32 v15, v31, 2, 0
	s_mov_b32 s47, exec_lo
                                        ; implicit-def: $sgpr48
	ds_load_b32 v32, v15
	s_waitcnt lgkmcnt(0)
	v_cmpx_ne_u32_e64 v32, v27
	s_xor_b32 s47, exec_lo, s47
	s_cbranch_execz .LBB210_34
; %bb.27:                               ;   in Loop: Header=BB210_26 Depth=3
	s_mov_b32 s49, exec_lo
                                        ; implicit-def: $sgpr48
	v_cmpx_ne_u32_e64 s17, v32
	s_xor_b32 s49, exec_lo, s49
; %bb.28:                               ;   in Loop: Header=BB210_26 Depth=3
	v_add_nc_u32_e32 v15, 1, v31
	s_mov_b32 s48, -1
	s_delay_alu instid0(VALU_DEP_1)
	v_and_b32_e32 v31, 63, v15
                                        ; implicit-def: $vgpr15
; %bb.29:                               ;   in Loop: Header=BB210_26 Depth=3
	s_and_not1_saveexec_b32 s49, s49
	s_cbranch_execz .LBB210_33
; %bb.30:                               ;   in Loop: Header=BB210_26 Depth=3
	v_mov_b32_e32 v32, s17
	s_mov_b32 s51, -1
	s_mov_b32 s50, exec_lo
	ds_cmpstore_rtn_b32 v32, v15, v27, v32
	s_waitcnt lgkmcnt(0)
	v_cmpx_eq_u32_e64 s17, v32
	s_cbranch_execz .LBB210_32
; %bb.31:                               ;   in Loop: Header=BB210_26 Depth=3
	v_mad_u64_u32 v[32:33], null, v31, 28, v[15:16]
	s_xor_b32 s51, exec_lo, -1
	ds_add_f32 v32, v30 offset:256
	ds_add_f32 v32, v29 offset:260
.LBB210_32:                             ;   in Loop: Header=BB210_26 Depth=3
	s_or_b32 exec_lo, exec_lo, s50
	s_delay_alu instid0(SALU_CYCLE_1) | instskip(SKIP_1) | instid1(SALU_CYCLE_1)
	s_and_not1_b32 s48, s48, exec_lo
	s_and_b32 s50, s51, exec_lo
	s_or_b32 s48, s48, s50
.LBB210_33:                             ;   in Loop: Header=BB210_26 Depth=3
	s_or_b32 exec_lo, exec_lo, s49
	s_delay_alu instid0(SALU_CYCLE_1)
	s_and_b32 s48, s48, exec_lo
                                        ; implicit-def: $vgpr15
.LBB210_34:                             ;   in Loop: Header=BB210_26 Depth=3
	s_and_not1_saveexec_b32 s47, s47
	s_cbranch_execz .LBB210_25
; %bb.35:                               ;   in Loop: Header=BB210_26 Depth=3
	v_mad_u64_u32 v[32:33], null, v31, 28, v[15:16]
	s_and_not1_b32 s48, s48, exec_lo
	ds_add_f32 v32, v30 offset:256
	ds_add_f32 v32, v29 offset:260
	s_branch .LBB210_25
.LBB210_36:                             ;   in Loop: Header=BB210_24 Depth=2
	s_or_b32 exec_lo, exec_lo, s46
	s_waitcnt vmcnt(0)
	v_mul_f32_e64 v15, v10, -v25
	v_mul_f32_e32 v29, v26, v10
	v_mov_b32_e32 v31, v28
	s_mov_b32 s46, 0
	s_delay_alu instid0(VALU_DEP_3) | instskip(NEXT) | instid1(VALU_DEP_3)
	v_fmac_f32_e32 v15, v26, v9
	v_fmac_f32_e32 v29, v25, v9
	s_delay_alu instid0(VALU_DEP_2) | instskip(NEXT) | instid1(VALU_DEP_2)
	v_fmac_f32_e32 v15, v19, v7
	v_fmac_f32_e32 v29, v20, v7
	s_delay_alu instid0(VALU_DEP_2) | instskip(NEXT) | instid1(VALU_DEP_2)
	v_fma_f32 v30, -v20, v8, v15
	v_fmac_f32_e32 v29, v19, v8
	s_branch .LBB210_38
.LBB210_37:                             ;   in Loop: Header=BB210_38 Depth=3
	s_or_b32 exec_lo, exec_lo, s47
	s_xor_b32 s47, s48, -1
	s_delay_alu instid0(SALU_CYCLE_1) | instskip(NEXT) | instid1(SALU_CYCLE_1)
	s_and_b32 s47, exec_lo, s47
	s_or_b32 s46, s47, s46
	s_delay_alu instid0(SALU_CYCLE_1)
	s_and_not1_b32 exec_lo, exec_lo, s46
	s_cbranch_execz .LBB210_48
.LBB210_38:                             ;   Parent Loop BB210_21 Depth=1
                                        ;     Parent Loop BB210_24 Depth=2
                                        ; =>    This Inner Loop Header: Depth=3
	v_lshl_add_u32 v15, v31, 2, 0
	s_mov_b32 s47, exec_lo
                                        ; implicit-def: $sgpr48
	ds_load_b32 v32, v15
	s_waitcnt lgkmcnt(0)
	v_cmpx_ne_u32_e64 v32, v27
	s_xor_b32 s47, exec_lo, s47
	s_cbranch_execz .LBB210_46
; %bb.39:                               ;   in Loop: Header=BB210_38 Depth=3
	s_mov_b32 s49, exec_lo
                                        ; implicit-def: $sgpr48
	v_cmpx_ne_u32_e64 s17, v32
	s_xor_b32 s49, exec_lo, s49
; %bb.40:                               ;   in Loop: Header=BB210_38 Depth=3
	v_add_nc_u32_e32 v15, 1, v31
	s_mov_b32 s48, -1
	s_delay_alu instid0(VALU_DEP_1)
	v_and_b32_e32 v31, 63, v15
                                        ; implicit-def: $vgpr15
; %bb.41:                               ;   in Loop: Header=BB210_38 Depth=3
	s_and_not1_saveexec_b32 s49, s49
	s_cbranch_execz .LBB210_45
; %bb.42:                               ;   in Loop: Header=BB210_38 Depth=3
	v_mov_b32_e32 v32, s17
	s_mov_b32 s51, -1
	s_mov_b32 s50, exec_lo
	ds_cmpstore_rtn_b32 v32, v15, v27, v32
	s_waitcnt lgkmcnt(0)
	v_cmpx_eq_u32_e64 s17, v32
	s_cbranch_execz .LBB210_44
; %bb.43:                               ;   in Loop: Header=BB210_38 Depth=3
	v_mad_u64_u32 v[32:33], null, v31, 28, v[15:16]
	s_xor_b32 s51, exec_lo, -1
	ds_add_f32 v32, v30 offset:264
	ds_add_f32 v32, v29 offset:268
.LBB210_44:                             ;   in Loop: Header=BB210_38 Depth=3
	s_or_b32 exec_lo, exec_lo, s50
	s_delay_alu instid0(SALU_CYCLE_1) | instskip(SKIP_1) | instid1(SALU_CYCLE_1)
	s_and_not1_b32 s48, s48, exec_lo
	s_and_b32 s50, s51, exec_lo
	s_or_b32 s48, s48, s50
.LBB210_45:                             ;   in Loop: Header=BB210_38 Depth=3
	s_or_b32 exec_lo, exec_lo, s49
	s_delay_alu instid0(SALU_CYCLE_1)
	s_and_b32 s48, s48, exec_lo
                                        ; implicit-def: $vgpr15
.LBB210_46:                             ;   in Loop: Header=BB210_38 Depth=3
	s_and_not1_saveexec_b32 s47, s47
	s_cbranch_execz .LBB210_37
; %bb.47:                               ;   in Loop: Header=BB210_38 Depth=3
	v_mad_u64_u32 v[32:33], null, v31, 28, v[15:16]
	s_and_not1_b32 s48, s48, exec_lo
	ds_add_f32 v32, v30 offset:264
	ds_add_f32 v32, v29 offset:268
	s_branch .LBB210_37
.LBB210_48:                             ;   in Loop: Header=BB210_24 Depth=2
	s_or_b32 exec_lo, exec_lo, s46
	v_mul_f32_e64 v15, v14, -v23
	s_mov_b32 s46, 0
	s_delay_alu instid0(VALU_DEP_1) | instskip(NEXT) | instid1(VALU_DEP_1)
	v_fmac_f32_e32 v15, v24, v13
	v_dual_mul_f32 v14, v24, v14 :: v_dual_fmac_f32 v15, v21, v11
	s_delay_alu instid0(VALU_DEP_1) | instskip(NEXT) | instid1(VALU_DEP_2)
	v_fmac_f32_e32 v14, v23, v13
	v_fma_f32 v13, -v22, v12, v15
	s_delay_alu instid0(VALU_DEP_2) | instskip(NEXT) | instid1(VALU_DEP_1)
	v_fmac_f32_e32 v14, v22, v11
	v_fmac_f32_e32 v14, v21, v12
	v_mov_b32_e32 v12, v28
	s_branch .LBB210_50
.LBB210_49:                             ;   in Loop: Header=BB210_50 Depth=3
	s_or_b32 exec_lo, exec_lo, s47
	s_xor_b32 s47, s48, -1
	s_delay_alu instid0(SALU_CYCLE_1) | instskip(NEXT) | instid1(SALU_CYCLE_1)
	s_and_b32 s47, exec_lo, s47
	s_or_b32 s46, s47, s46
	s_delay_alu instid0(SALU_CYCLE_1)
	s_and_not1_b32 exec_lo, exec_lo, s46
	s_cbranch_execz .LBB210_60
.LBB210_50:                             ;   Parent Loop BB210_21 Depth=1
                                        ;     Parent Loop BB210_24 Depth=2
                                        ; =>    This Inner Loop Header: Depth=3
	s_delay_alu instid0(VALU_DEP_1)
	v_lshl_add_u32 v11, v12, 2, 0
	s_mov_b32 s47, exec_lo
                                        ; implicit-def: $sgpr48
	ds_load_b32 v15, v11
	s_waitcnt lgkmcnt(0)
	v_cmpx_ne_u32_e64 v15, v27
	s_xor_b32 s47, exec_lo, s47
	s_cbranch_execz .LBB210_58
; %bb.51:                               ;   in Loop: Header=BB210_50 Depth=3
	s_mov_b32 s49, exec_lo
                                        ; implicit-def: $sgpr48
	v_cmpx_ne_u32_e64 s17, v15
	s_xor_b32 s49, exec_lo, s49
; %bb.52:                               ;   in Loop: Header=BB210_50 Depth=3
	v_add_nc_u32_e32 v11, 1, v12
	s_mov_b32 s48, -1
	s_delay_alu instid0(VALU_DEP_1)
	v_and_b32_e32 v12, 63, v11
                                        ; implicit-def: $vgpr11
; %bb.53:                               ;   in Loop: Header=BB210_50 Depth=3
	s_and_not1_saveexec_b32 s49, s49
	s_cbranch_execz .LBB210_57
; %bb.54:                               ;   in Loop: Header=BB210_50 Depth=3
	v_mov_b32_e32 v15, s17
	s_mov_b32 s51, -1
	s_mov_b32 s50, exec_lo
	ds_cmpstore_rtn_b32 v15, v11, v27, v15
	s_waitcnt lgkmcnt(0)
	v_cmpx_eq_u32_e64 s17, v15
	s_cbranch_execz .LBB210_56
; %bb.55:                               ;   in Loop: Header=BB210_50 Depth=3
	v_mad_u64_u32 v[29:30], null, v12, 28, v[11:12]
	s_xor_b32 s51, exec_lo, -1
	ds_add_f32 v29, v13 offset:272
	ds_add_f32 v29, v14 offset:276
.LBB210_56:                             ;   in Loop: Header=BB210_50 Depth=3
	s_or_b32 exec_lo, exec_lo, s50
	s_delay_alu instid0(SALU_CYCLE_1) | instskip(SKIP_1) | instid1(SALU_CYCLE_1)
	s_and_not1_b32 s48, s48, exec_lo
	s_and_b32 s50, s51, exec_lo
	s_or_b32 s48, s48, s50
.LBB210_57:                             ;   in Loop: Header=BB210_50 Depth=3
	s_or_b32 exec_lo, exec_lo, s49
	s_delay_alu instid0(SALU_CYCLE_1)
	s_and_b32 s48, s48, exec_lo
                                        ; implicit-def: $vgpr11
.LBB210_58:                             ;   in Loop: Header=BB210_50 Depth=3
	s_and_not1_saveexec_b32 s47, s47
	s_cbranch_execz .LBB210_49
; %bb.59:                               ;   in Loop: Header=BB210_50 Depth=3
	v_mad_u64_u32 v[29:30], null, v12, 28, v[11:12]
	s_and_not1_b32 s48, s48, exec_lo
	ds_add_f32 v29, v13 offset:272
	ds_add_f32 v29, v14 offset:276
	s_branch .LBB210_49
.LBB210_60:                             ;   in Loop: Header=BB210_24 Depth=2
	s_or_b32 exec_lo, exec_lo, s46
	v_mul_f32_e64 v11, v10, -v23
	s_mov_b32 s46, 0
	s_delay_alu instid0(VALU_DEP_1) | instskip(NEXT) | instid1(VALU_DEP_1)
	v_fmac_f32_e32 v11, v24, v9
	v_dual_mul_f32 v10, v24, v10 :: v_dual_fmac_f32 v11, v21, v7
	s_delay_alu instid0(VALU_DEP_1) | instskip(NEXT) | instid1(VALU_DEP_2)
	v_fmac_f32_e32 v10, v23, v9
	v_fma_f32 v9, -v22, v8, v11
	s_delay_alu instid0(VALU_DEP_2) | instskip(NEXT) | instid1(VALU_DEP_1)
	v_fmac_f32_e32 v10, v22, v7
	v_fmac_f32_e32 v10, v21, v8
	s_branch .LBB210_62
.LBB210_61:                             ;   in Loop: Header=BB210_62 Depth=3
	s_or_b32 exec_lo, exec_lo, s47
	s_xor_b32 s47, s48, -1
	s_delay_alu instid0(SALU_CYCLE_1) | instskip(NEXT) | instid1(SALU_CYCLE_1)
	s_and_b32 s47, exec_lo, s47
	s_or_b32 s46, s47, s46
	s_delay_alu instid0(SALU_CYCLE_1)
	s_and_not1_b32 exec_lo, exec_lo, s46
	s_cbranch_execz .LBB210_23
.LBB210_62:                             ;   Parent Loop BB210_21 Depth=1
                                        ;     Parent Loop BB210_24 Depth=2
                                        ; =>    This Inner Loop Header: Depth=3
	v_lshl_add_u32 v7, v28, 2, 0
	s_mov_b32 s47, exec_lo
                                        ; implicit-def: $sgpr48
	ds_load_b32 v8, v7
	s_waitcnt lgkmcnt(0)
	v_cmpx_ne_u32_e64 v8, v27
	s_xor_b32 s47, exec_lo, s47
	s_cbranch_execz .LBB210_70
; %bb.63:                               ;   in Loop: Header=BB210_62 Depth=3
	s_mov_b32 s49, exec_lo
                                        ; implicit-def: $sgpr48
	v_cmpx_ne_u32_e64 s17, v8
	s_xor_b32 s49, exec_lo, s49
; %bb.64:                               ;   in Loop: Header=BB210_62 Depth=3
	v_add_nc_u32_e32 v7, 1, v28
	s_mov_b32 s48, -1
	s_delay_alu instid0(VALU_DEP_1)
	v_and_b32_e32 v28, 63, v7
                                        ; implicit-def: $vgpr7
; %bb.65:                               ;   in Loop: Header=BB210_62 Depth=3
	s_and_not1_saveexec_b32 s49, s49
	s_cbranch_execz .LBB210_69
; %bb.66:                               ;   in Loop: Header=BB210_62 Depth=3
	v_mov_b32_e32 v8, s17
	s_mov_b32 s51, -1
	s_mov_b32 s50, exec_lo
	ds_cmpstore_rtn_b32 v8, v7, v27, v8
	s_waitcnt lgkmcnt(0)
	v_cmpx_eq_u32_e64 s17, v8
	s_cbranch_execz .LBB210_68
; %bb.67:                               ;   in Loop: Header=BB210_62 Depth=3
	v_mad_u64_u32 v[11:12], null, v28, 28, v[7:8]
	s_xor_b32 s51, exec_lo, -1
	ds_add_f32 v11, v9 offset:280
	ds_add_f32 v11, v10 offset:284
.LBB210_68:                             ;   in Loop: Header=BB210_62 Depth=3
	s_or_b32 exec_lo, exec_lo, s50
	s_delay_alu instid0(SALU_CYCLE_1) | instskip(SKIP_1) | instid1(SALU_CYCLE_1)
	s_and_not1_b32 s48, s48, exec_lo
	s_and_b32 s50, s51, exec_lo
	s_or_b32 s48, s48, s50
.LBB210_69:                             ;   in Loop: Header=BB210_62 Depth=3
	s_or_b32 exec_lo, exec_lo, s49
	s_delay_alu instid0(SALU_CYCLE_1)
	s_and_b32 s48, s48, exec_lo
                                        ; implicit-def: $vgpr7
.LBB210_70:                             ;   in Loop: Header=BB210_62 Depth=3
	s_and_not1_saveexec_b32 s47, s47
	s_cbranch_execz .LBB210_61
; %bb.71:                               ;   in Loop: Header=BB210_62 Depth=3
	v_mad_u64_u32 v[11:12], null, v28, 28, v[7:8]
	s_and_not1_b32 s48, s48, exec_lo
	ds_add_f32 v11, v9 offset:280
	ds_add_f32 v11, v10 offset:284
	s_branch .LBB210_61
.LBB210_72:
	s_or_b32 exec_lo, exec_lo, s20
.LBB210_73:
	s_delay_alu instid0(SALU_CYCLE_1)
	s_and_not1_b32 vcc_lo, exec_lo, s44
	s_waitcnt lgkmcnt(0)
	s_barrier
	buffer_gl0_inv
	s_cbranch_vccnz .LBB210_126
; %bb.74:
	s_lshl_b64 s[0:1], s[40:41], 3
	s_mov_b32 s3, exec_lo
	s_add_u32 s0, s18, s0
	s_addc_u32 s1, s19, s1
	s_load_b128 s[12:15], s[0:1], 0x0
	v_sub_co_u32 v1, s0, v0, s31
	s_delay_alu instid0(VALU_DEP_1) | instskip(SKIP_1) | instid1(VALU_DEP_2)
	v_sub_co_ci_u32_e64 v2, null, 0, 0, s0
	s_waitcnt lgkmcnt(0)
	v_add_co_u32 v1, vcc_lo, s12, v1
	s_delay_alu instid0(VALU_DEP_2) | instskip(SKIP_3) | instid1(VALU_DEP_1)
	v_add_co_ci_u32_e32 v2, vcc_lo, s13, v2, vcc_lo
	s_sub_u32 s0, s14, s31
	s_subb_u32 s1, s15, 0
	s_mov_b32 s12, 0
	v_cmpx_gt_i64_e64 s[0:1], v[1:2]
	s_cbranch_execz .LBB210_125
; %bb.75:
	s_cmp_eq_u32 s16, 0
	s_cselect_b32 s13, 1, 2
	s_cselect_b32 s14, 2, 1
	s_branch .LBB210_77
.LBB210_76:                             ;   in Loop: Header=BB210_77 Depth=1
	s_or_b32 exec_lo, exec_lo, s15
	v_add_co_u32 v1, vcc_lo, 0x100, v1
	v_add_co_ci_u32_e32 v2, vcc_lo, 0, v2, vcc_lo
	s_delay_alu instid0(VALU_DEP_1) | instskip(SKIP_1) | instid1(SALU_CYCLE_1)
	v_cmp_le_i64_e32 vcc_lo, s[0:1], v[1:2]
	s_or_b32 s12, vcc_lo, s12
	s_and_not1_b32 exec_lo, exec_lo, s12
	s_cbranch_execz .LBB210_125
.LBB210_77:                             ; =>This Loop Header: Depth=1
                                        ;     Child Loop BB210_79 Depth 2
                                        ;     Child Loop BB210_91 Depth 2
	;; [unrolled: 1-line block ×4, first 2 shown]
	v_lshlrev_b64 v[3:4], 2, v[1:2]
	v_lshlrev_b64 v[5:6], 5, v[1:2]
	s_mov_b32 s15, 0
	s_delay_alu instid0(VALU_DEP_2) | instskip(NEXT) | instid1(VALU_DEP_3)
	v_add_co_u32 v9, vcc_lo, s4, v3
	v_add_co_ci_u32_e32 v10, vcc_lo, s5, v4, vcc_lo
	v_or_b32_e32 v8, 0, v4
	v_or_b32_e32 v7, s13, v3
	v_add_co_u32 v5, vcc_lo, s6, v5
	global_load_b32 v11, v[9:10], off
	v_or_b32_e32 v4, 0, v4
	v_or_b32_e32 v3, s14, v3
	v_add_co_ci_u32_e32 v6, vcc_lo, s7, v6, vcc_lo
	v_lshlrev_b64 v[7:8], 3, v[7:8]
	s_delay_alu instid0(VALU_DEP_3)
	v_lshlrev_b64 v[3:4], 3, v[3:4]
	global_load_b64 v[14:15], v[5:6], off
	v_add_co_u32 v7, vcc_lo, s6, v7
	v_add_co_ci_u32_e32 v8, vcc_lo, s7, v8, vcc_lo
	v_add_co_u32 v9, vcc_lo, s6, v3
	v_add_co_ci_u32_e32 v10, vcc_lo, s7, v4, vcc_lo
	s_clause 0x2
	global_load_b64 v[3:4], v[5:6], off offset:24
	global_load_b64 v[7:8], v[7:8], off
	global_load_b64 v[5:6], v[9:10], off
	s_waitcnt vmcnt(4)
	v_subrev_nc_u32_e32 v10, s31, v11
	s_delay_alu instid0(VALU_DEP_1) | instskip(SKIP_3) | instid1(VALU_DEP_2)
	v_lshl_add_u32 v9, v10, 3, v10
	s_waitcnt vmcnt(3)
	v_mul_f32_e64 v12, v15, -s42
	v_mul_f32_e32 v13, s33, v15
	v_dual_fmac_f32 v12, s33, v14 :: v_dual_and_b32 v11, 63, v9
	s_delay_alu instid0(VALU_DEP_1)
	v_dual_fmac_f32 v13, s42, v14 :: v_dual_mov_b32 v14, v11
	s_branch .LBB210_79
.LBB210_78:                             ;   in Loop: Header=BB210_79 Depth=2
	s_or_b32 exec_lo, exec_lo, s18
	s_xor_b32 s18, s19, -1
	s_delay_alu instid0(SALU_CYCLE_1) | instskip(NEXT) | instid1(SALU_CYCLE_1)
	s_and_b32 s18, exec_lo, s18
	s_or_b32 s15, s18, s15
	s_delay_alu instid0(SALU_CYCLE_1)
	s_and_not1_b32 exec_lo, exec_lo, s15
	s_cbranch_execz .LBB210_89
.LBB210_79:                             ;   Parent Loop BB210_77 Depth=1
                                        ; =>  This Inner Loop Header: Depth=2
	s_delay_alu instid0(VALU_DEP_1)
	v_lshl_add_u32 v9, v14, 2, 0
	s_mov_b32 s18, exec_lo
                                        ; implicit-def: $sgpr19
	ds_load_b32 v15, v9
	s_waitcnt lgkmcnt(0)
	v_cmpx_ne_u32_e64 v15, v10
	s_xor_b32 s18, exec_lo, s18
	s_cbranch_execz .LBB210_87
; %bb.80:                               ;   in Loop: Header=BB210_79 Depth=2
	s_mov_b32 s20, exec_lo
                                        ; implicit-def: $sgpr19
	v_cmpx_ne_u32_e64 s17, v15
	s_xor_b32 s20, exec_lo, s20
; %bb.81:                               ;   in Loop: Header=BB210_79 Depth=2
	v_add_nc_u32_e32 v9, 1, v14
	s_mov_b32 s19, -1
	s_delay_alu instid0(VALU_DEP_1)
	v_and_b32_e32 v14, 63, v9
                                        ; implicit-def: $vgpr9
; %bb.82:                               ;   in Loop: Header=BB210_79 Depth=2
	s_and_not1_saveexec_b32 s20, s20
	s_cbranch_execz .LBB210_86
; %bb.83:                               ;   in Loop: Header=BB210_79 Depth=2
	v_mov_b32_e32 v15, s17
	s_mov_b32 s22, -1
	s_mov_b32 s21, exec_lo
	ds_cmpstore_rtn_b32 v15, v9, v10, v15
	s_waitcnt lgkmcnt(0)
	v_cmpx_eq_u32_e64 s17, v15
	s_cbranch_execz .LBB210_85
; %bb.84:                               ;   in Loop: Header=BB210_79 Depth=2
	v_mad_u64_u32 v[17:18], null, v14, 28, v[9:10]
	s_xor_b32 s22, exec_lo, -1
	ds_add_f32 v17, v12 offset:256
	ds_add_f32 v17, v13 offset:260
.LBB210_85:                             ;   in Loop: Header=BB210_79 Depth=2
	s_or_b32 exec_lo, exec_lo, s21
	s_delay_alu instid0(SALU_CYCLE_1) | instskip(SKIP_1) | instid1(SALU_CYCLE_1)
	s_and_not1_b32 s19, s19, exec_lo
	s_and_b32 s21, s22, exec_lo
	s_or_b32 s19, s19, s21
.LBB210_86:                             ;   in Loop: Header=BB210_79 Depth=2
	s_or_b32 exec_lo, exec_lo, s20
	s_delay_alu instid0(SALU_CYCLE_1)
	s_and_b32 s19, s19, exec_lo
                                        ; implicit-def: $vgpr9
.LBB210_87:                             ;   in Loop: Header=BB210_79 Depth=2
	s_and_not1_saveexec_b32 s18, s18
	s_cbranch_execz .LBB210_78
; %bb.88:                               ;   in Loop: Header=BB210_79 Depth=2
	v_mad_u64_u32 v[17:18], null, v14, 28, v[9:10]
	s_and_not1_b32 s19, s19, exec_lo
	ds_add_f32 v17, v12 offset:256
	ds_add_f32 v17, v13 offset:260
	s_branch .LBB210_78
.LBB210_89:                             ;   in Loop: Header=BB210_77 Depth=1
	s_or_b32 exec_lo, exec_lo, s15
	s_waitcnt vmcnt(1)
	v_mul_f32_e64 v9, v8, -s42
	v_mul_f32_e32 v8, s33, v8
	v_mov_b32_e32 v12, v11
	s_mov_b32 s15, 0
	s_delay_alu instid0(VALU_DEP_3) | instskip(NEXT) | instid1(VALU_DEP_3)
	v_fmac_f32_e32 v9, s33, v7
	v_fmac_f32_e32 v8, s42, v7
	s_branch .LBB210_91
.LBB210_90:                             ;   in Loop: Header=BB210_91 Depth=2
	s_or_b32 exec_lo, exec_lo, s18
	s_xor_b32 s18, s19, -1
	s_delay_alu instid0(SALU_CYCLE_1) | instskip(NEXT) | instid1(SALU_CYCLE_1)
	s_and_b32 s18, exec_lo, s18
	s_or_b32 s15, s18, s15
	s_delay_alu instid0(SALU_CYCLE_1)
	s_and_not1_b32 exec_lo, exec_lo, s15
	s_cbranch_execz .LBB210_101
.LBB210_91:                             ;   Parent Loop BB210_77 Depth=1
                                        ; =>  This Inner Loop Header: Depth=2
	v_lshl_add_u32 v7, v12, 2, 0
	s_mov_b32 s18, exec_lo
                                        ; implicit-def: $sgpr19
	ds_load_b32 v13, v7
	s_waitcnt lgkmcnt(0)
	v_cmpx_ne_u32_e64 v13, v10
	s_xor_b32 s18, exec_lo, s18
	s_cbranch_execz .LBB210_99
; %bb.92:                               ;   in Loop: Header=BB210_91 Depth=2
	s_mov_b32 s20, exec_lo
                                        ; implicit-def: $sgpr19
	v_cmpx_ne_u32_e64 s17, v13
	s_xor_b32 s20, exec_lo, s20
; %bb.93:                               ;   in Loop: Header=BB210_91 Depth=2
	v_add_nc_u32_e32 v7, 1, v12
	s_mov_b32 s19, -1
	s_delay_alu instid0(VALU_DEP_1)
	v_and_b32_e32 v12, 63, v7
                                        ; implicit-def: $vgpr7
; %bb.94:                               ;   in Loop: Header=BB210_91 Depth=2
	s_and_not1_saveexec_b32 s20, s20
	s_cbranch_execz .LBB210_98
; %bb.95:                               ;   in Loop: Header=BB210_91 Depth=2
	v_mov_b32_e32 v13, s17
	s_mov_b32 s22, -1
	s_mov_b32 s21, exec_lo
	ds_cmpstore_rtn_b32 v13, v7, v10, v13
	s_waitcnt lgkmcnt(0)
	v_cmpx_eq_u32_e64 s17, v13
	s_cbranch_execz .LBB210_97
; %bb.96:                               ;   in Loop: Header=BB210_91 Depth=2
	v_mad_u64_u32 v[13:14], null, v12, 28, v[7:8]
	s_xor_b32 s22, exec_lo, -1
	ds_add_f32 v13, v9 offset:264
	ds_add_f32 v13, v8 offset:268
.LBB210_97:                             ;   in Loop: Header=BB210_91 Depth=2
	s_or_b32 exec_lo, exec_lo, s21
	s_delay_alu instid0(SALU_CYCLE_1) | instskip(SKIP_1) | instid1(SALU_CYCLE_1)
	s_and_not1_b32 s19, s19, exec_lo
	s_and_b32 s21, s22, exec_lo
	s_or_b32 s19, s19, s21
.LBB210_98:                             ;   in Loop: Header=BB210_91 Depth=2
	s_or_b32 exec_lo, exec_lo, s20
	s_delay_alu instid0(SALU_CYCLE_1)
	s_and_b32 s19, s19, exec_lo
                                        ; implicit-def: $vgpr7
.LBB210_99:                             ;   in Loop: Header=BB210_91 Depth=2
	s_and_not1_saveexec_b32 s18, s18
	s_cbranch_execz .LBB210_90
; %bb.100:                              ;   in Loop: Header=BB210_91 Depth=2
	v_mad_u64_u32 v[13:14], null, v12, 28, v[7:8]
	s_and_not1_b32 s19, s19, exec_lo
	ds_add_f32 v13, v9 offset:264
	ds_add_f32 v13, v8 offset:268
	s_branch .LBB210_90
.LBB210_101:                            ;   in Loop: Header=BB210_77 Depth=1
	s_or_b32 exec_lo, exec_lo, s15
	s_waitcnt vmcnt(0)
	v_mul_f32_e64 v7, v6, -s42
	v_mul_f32_e32 v6, s33, v6
	v_mov_b32_e32 v8, v11
	s_mov_b32 s15, 0
	s_delay_alu instid0(VALU_DEP_3) | instskip(NEXT) | instid1(VALU_DEP_3)
	v_fmac_f32_e32 v7, s33, v5
	v_fmac_f32_e32 v6, s42, v5
	s_branch .LBB210_103
.LBB210_102:                            ;   in Loop: Header=BB210_103 Depth=2
	s_or_b32 exec_lo, exec_lo, s18
	s_xor_b32 s18, s19, -1
	s_delay_alu instid0(SALU_CYCLE_1) | instskip(NEXT) | instid1(SALU_CYCLE_1)
	s_and_b32 s18, exec_lo, s18
	s_or_b32 s15, s18, s15
	s_delay_alu instid0(SALU_CYCLE_1)
	s_and_not1_b32 exec_lo, exec_lo, s15
	s_cbranch_execz .LBB210_113
.LBB210_103:                            ;   Parent Loop BB210_77 Depth=1
                                        ; =>  This Inner Loop Header: Depth=2
	v_lshl_add_u32 v5, v8, 2, 0
	s_mov_b32 s18, exec_lo
                                        ; implicit-def: $sgpr19
	ds_load_b32 v9, v5
	s_waitcnt lgkmcnt(0)
	v_cmpx_ne_u32_e64 v9, v10
	s_xor_b32 s18, exec_lo, s18
	s_cbranch_execz .LBB210_111
; %bb.104:                              ;   in Loop: Header=BB210_103 Depth=2
	s_mov_b32 s20, exec_lo
                                        ; implicit-def: $sgpr19
	v_cmpx_ne_u32_e64 s17, v9
	s_xor_b32 s20, exec_lo, s20
; %bb.105:                              ;   in Loop: Header=BB210_103 Depth=2
	v_add_nc_u32_e32 v5, 1, v8
	s_mov_b32 s19, -1
	s_delay_alu instid0(VALU_DEP_1)
	v_and_b32_e32 v8, 63, v5
                                        ; implicit-def: $vgpr5
; %bb.106:                              ;   in Loop: Header=BB210_103 Depth=2
	s_and_not1_saveexec_b32 s20, s20
	s_cbranch_execz .LBB210_110
; %bb.107:                              ;   in Loop: Header=BB210_103 Depth=2
	v_mov_b32_e32 v9, s17
	s_mov_b32 s22, -1
	s_mov_b32 s21, exec_lo
	ds_cmpstore_rtn_b32 v9, v5, v10, v9
	s_waitcnt lgkmcnt(0)
	v_cmpx_eq_u32_e64 s17, v9
	s_cbranch_execz .LBB210_109
; %bb.108:                              ;   in Loop: Header=BB210_103 Depth=2
	v_mad_u64_u32 v[12:13], null, v8, 28, v[5:6]
	s_xor_b32 s22, exec_lo, -1
	ds_add_f32 v12, v7 offset:272
	ds_add_f32 v12, v6 offset:276
.LBB210_109:                            ;   in Loop: Header=BB210_103 Depth=2
	s_or_b32 exec_lo, exec_lo, s21
	s_delay_alu instid0(SALU_CYCLE_1) | instskip(SKIP_1) | instid1(SALU_CYCLE_1)
	s_and_not1_b32 s19, s19, exec_lo
	s_and_b32 s21, s22, exec_lo
	s_or_b32 s19, s19, s21
.LBB210_110:                            ;   in Loop: Header=BB210_103 Depth=2
	s_or_b32 exec_lo, exec_lo, s20
	s_delay_alu instid0(SALU_CYCLE_1)
	s_and_b32 s19, s19, exec_lo
                                        ; implicit-def: $vgpr5
.LBB210_111:                            ;   in Loop: Header=BB210_103 Depth=2
	s_and_not1_saveexec_b32 s18, s18
	s_cbranch_execz .LBB210_102
; %bb.112:                              ;   in Loop: Header=BB210_103 Depth=2
	v_mad_u64_u32 v[12:13], null, v8, 28, v[5:6]
	s_and_not1_b32 s19, s19, exec_lo
	ds_add_f32 v12, v7 offset:272
	ds_add_f32 v12, v6 offset:276
	s_branch .LBB210_102
.LBB210_113:                            ;   in Loop: Header=BB210_77 Depth=1
	s_or_b32 exec_lo, exec_lo, s15
	v_mul_f32_e64 v5, v4, -s42
	v_mul_f32_e32 v4, s33, v4
	s_mov_b32 s15, 0
	s_delay_alu instid0(VALU_DEP_2) | instskip(NEXT) | instid1(VALU_DEP_2)
	v_fmac_f32_e32 v5, s33, v3
	v_fmac_f32_e32 v4, s42, v3
	s_branch .LBB210_115
.LBB210_114:                            ;   in Loop: Header=BB210_115 Depth=2
	s_or_b32 exec_lo, exec_lo, s18
	s_xor_b32 s18, s19, -1
	s_delay_alu instid0(SALU_CYCLE_1) | instskip(NEXT) | instid1(SALU_CYCLE_1)
	s_and_b32 s18, exec_lo, s18
	s_or_b32 s15, s18, s15
	s_delay_alu instid0(SALU_CYCLE_1)
	s_and_not1_b32 exec_lo, exec_lo, s15
	s_cbranch_execz .LBB210_76
.LBB210_115:                            ;   Parent Loop BB210_77 Depth=1
                                        ; =>  This Inner Loop Header: Depth=2
	v_lshl_add_u32 v3, v11, 2, 0
	s_mov_b32 s18, exec_lo
                                        ; implicit-def: $sgpr19
	ds_load_b32 v6, v3
	s_waitcnt lgkmcnt(0)
	v_cmpx_ne_u32_e64 v6, v10
	s_xor_b32 s18, exec_lo, s18
	s_cbranch_execz .LBB210_123
; %bb.116:                              ;   in Loop: Header=BB210_115 Depth=2
	s_mov_b32 s20, exec_lo
                                        ; implicit-def: $sgpr19
	v_cmpx_ne_u32_e64 s17, v6
	s_xor_b32 s20, exec_lo, s20
; %bb.117:                              ;   in Loop: Header=BB210_115 Depth=2
	v_add_nc_u32_e32 v3, 1, v11
	s_mov_b32 s19, -1
	s_delay_alu instid0(VALU_DEP_1)
	v_and_b32_e32 v11, 63, v3
                                        ; implicit-def: $vgpr3
; %bb.118:                              ;   in Loop: Header=BB210_115 Depth=2
	s_and_not1_saveexec_b32 s20, s20
	s_cbranch_execz .LBB210_122
; %bb.119:                              ;   in Loop: Header=BB210_115 Depth=2
	v_mov_b32_e32 v6, s17
	s_mov_b32 s22, -1
	s_mov_b32 s21, exec_lo
	ds_cmpstore_rtn_b32 v6, v3, v10, v6
	s_waitcnt lgkmcnt(0)
	v_cmpx_eq_u32_e64 s17, v6
	s_cbranch_execz .LBB210_121
; %bb.120:                              ;   in Loop: Header=BB210_115 Depth=2
	v_mad_u64_u32 v[6:7], null, v11, 28, v[3:4]
	s_xor_b32 s22, exec_lo, -1
	ds_add_f32 v6, v5 offset:280
	ds_add_f32 v6, v4 offset:284
.LBB210_121:                            ;   in Loop: Header=BB210_115 Depth=2
	s_or_b32 exec_lo, exec_lo, s21
	s_delay_alu instid0(SALU_CYCLE_1) | instskip(SKIP_1) | instid1(SALU_CYCLE_1)
	s_and_not1_b32 s19, s19, exec_lo
	s_and_b32 s21, s22, exec_lo
	s_or_b32 s19, s19, s21
.LBB210_122:                            ;   in Loop: Header=BB210_115 Depth=2
	s_or_b32 exec_lo, exec_lo, s20
	s_delay_alu instid0(SALU_CYCLE_1)
	s_and_b32 s19, s19, exec_lo
                                        ; implicit-def: $vgpr3
.LBB210_123:                            ;   in Loop: Header=BB210_115 Depth=2
	s_and_not1_saveexec_b32 s18, s18
	s_cbranch_execz .LBB210_114
; %bb.124:                              ;   in Loop: Header=BB210_115 Depth=2
	v_mad_u64_u32 v[6:7], null, v11, 28, v[3:4]
	s_and_not1_b32 s19, s19, exec_lo
	ds_add_f32 v6, v5 offset:280
	ds_add_f32 v6, v4 offset:284
	s_branch .LBB210_114
.LBB210_125:
	s_or_b32 exec_lo, exec_lo, s3
.LBB210_126:
	s_waitcnt lgkmcnt(0)
	s_barrier
	buffer_gl0_inv
	s_and_saveexec_b32 s0, s2
	s_cbranch_execz .LBB210_129
; %bb.127:
	ds_load_b32 v1, v16
	s_waitcnt lgkmcnt(0)
	v_cmp_gt_i32_e32 vcc_lo, s17, v1
	s_and_b32 exec_lo, exec_lo, vcc_lo
	s_cbranch_execz .LBB210_129
; %bb.128:
	s_lshl_b64 s[0:1], s[40:41], 3
	v_mov_b32_e32 v18, 0
	s_add_u32 s0, s8, s0
	s_addc_u32 s1, s9, s1
	s_load_b64 s[0:1], s[0:1], 0x0
	ds_load_2addr_b32 v[2:3], v18 offset1:1
	ds_load_2addr_b32 v[4:5], v18 offset0:2 offset1:3
	ds_load_2addr_b32 v[6:7], v18 offset0:4 offset1:5
	;; [unrolled: 1-line block ×7, first 2 shown]
	s_waitcnt lgkmcnt(0)
	v_cmp_gt_i32_e32 vcc_lo, v1, v2
	v_cndmask_b32_e64 v2, 0, 1, vcc_lo
	v_cmp_gt_i32_e32 vcc_lo, v1, v3
	s_sub_u32 s0, s0, s30
	s_subb_u32 s1, s1, 0
	s_cmp_eq_u32 s16, 0
	v_add_co_u32 v2, s0, s0, v2
	v_cndmask_b32_e64 v3, 0, 1, vcc_lo
	v_cmp_gt_i32_e32 vcc_lo, v1, v4
	v_add_co_ci_u32_e64 v19, null, s1, 0, s0
	s_cselect_b32 s0, 1, 2
	s_cselect_b32 s1, 2, 1
	v_cndmask_b32_e64 v4, 0, 1, vcc_lo
	v_add_co_u32 v2, vcc_lo, v2, v3
	v_add_co_ci_u32_e32 v3, vcc_lo, 0, v19, vcc_lo
	v_cmp_gt_i32_e32 vcc_lo, v1, v5
	v_cndmask_b32_e64 v5, 0, 1, vcc_lo
	s_delay_alu instid0(VALU_DEP_4) | instskip(NEXT) | instid1(VALU_DEP_4)
	v_add_co_u32 v2, vcc_lo, v2, v4
	v_add_co_ci_u32_e32 v3, vcc_lo, 0, v3, vcc_lo
	v_cmp_gt_i32_e32 vcc_lo, v1, v6
	v_cndmask_b32_e64 v4, 0, 1, vcc_lo
	s_delay_alu instid0(VALU_DEP_4) | instskip(NEXT) | instid1(VALU_DEP_4)
	;; [unrolled: 5-line block ×9, first 2 shown]
	v_add_co_u32 v2, vcc_lo, v2, v4
	v_add_co_ci_u32_e32 v3, vcc_lo, 0, v3, vcc_lo
	s_delay_alu instid0(VALU_DEP_2) | instskip(NEXT) | instid1(VALU_DEP_2)
	v_add_co_u32 v4, vcc_lo, v2, v5
	v_add_co_ci_u32_e32 v5, vcc_lo, 0, v3, vcc_lo
	v_cmp_gt_i32_e32 vcc_lo, v1, v14
	ds_load_2addr_b32 v[2:3], v18 offset0:16 offset1:17
	v_add_nc_u32_e32 v14, s30, v1
	v_cndmask_b32_e64 v6, 0, 1, vcc_lo
	v_cmp_gt_i32_e32 vcc_lo, v1, v15
	v_cndmask_b32_e64 v7, 0, 1, vcc_lo
	s_delay_alu instid0(VALU_DEP_3) | instskip(SKIP_3) | instid1(VALU_DEP_4)
	v_add_co_u32 v4, vcc_lo, v4, v6
	v_add_co_ci_u32_e32 v5, vcc_lo, 0, v5, vcc_lo
	v_cmp_gt_i32_e32 vcc_lo, v1, v16
	v_cndmask_b32_e64 v6, 0, 1, vcc_lo
	v_add_co_u32 v7, vcc_lo, v4, v7
	s_delay_alu instid0(VALU_DEP_4)
	v_add_co_ci_u32_e32 v8, vcc_lo, 0, v5, vcc_lo
	ds_load_2addr_b32 v[4:5], v18 offset0:18 offset1:19
	v_add_co_u32 v10, vcc_lo, v7, v6
	v_add_co_ci_u32_e32 v11, vcc_lo, 0, v8, vcc_lo
	v_cmp_gt_i32_e32 vcc_lo, v1, v17
	ds_load_2addr_b32 v[6:7], v18 offset0:20 offset1:21
	ds_load_2addr_b32 v[8:9], v18 offset0:22 offset1:23
	v_cndmask_b32_e64 v12, 0, 1, vcc_lo
	s_waitcnt lgkmcnt(3)
	v_cmp_gt_i32_e32 vcc_lo, v1, v2
	v_cndmask_b32_e64 v2, 0, 1, vcc_lo
	s_delay_alu instid0(VALU_DEP_3) | instskip(SKIP_3) | instid1(VALU_DEP_4)
	v_add_co_u32 v10, vcc_lo, v10, v12
	v_add_co_ci_u32_e32 v11, vcc_lo, 0, v11, vcc_lo
	v_cmp_gt_i32_e32 vcc_lo, v1, v3
	v_cndmask_b32_e64 v3, 0, 1, vcc_lo
	v_add_co_u32 v2, vcc_lo, v10, v2
	s_delay_alu instid0(VALU_DEP_4)
	v_add_co_ci_u32_e32 v10, vcc_lo, 0, v11, vcc_lo
	s_waitcnt lgkmcnt(2)
	v_cmp_gt_i32_e32 vcc_lo, v1, v4
	v_cndmask_b32_e64 v4, 0, 1, vcc_lo
	v_add_co_u32 v2, vcc_lo, v2, v3
	v_add_co_ci_u32_e32 v3, vcc_lo, 0, v10, vcc_lo
	v_cmp_gt_i32_e32 vcc_lo, v1, v5
	v_cndmask_b32_e64 v5, 0, 1, vcc_lo
	s_delay_alu instid0(VALU_DEP_4) | instskip(NEXT) | instid1(VALU_DEP_4)
	v_add_co_u32 v2, vcc_lo, v2, v4
	v_add_co_ci_u32_e32 v3, vcc_lo, 0, v3, vcc_lo
	s_delay_alu instid0(VALU_DEP_2) | instskip(NEXT) | instid1(VALU_DEP_2)
	v_add_co_u32 v4, vcc_lo, v2, v5
	v_add_co_ci_u32_e32 v5, vcc_lo, 0, v3, vcc_lo
	s_waitcnt lgkmcnt(1)
	v_cmp_gt_i32_e32 vcc_lo, v1, v6
	ds_load_2addr_b32 v[2:3], v18 offset0:24 offset1:25
	v_cndmask_b32_e64 v6, 0, 1, vcc_lo
	v_cmp_gt_i32_e32 vcc_lo, v1, v7
	v_cndmask_b32_e64 v7, 0, 1, vcc_lo
	s_delay_alu instid0(VALU_DEP_3)
	v_add_co_u32 v4, vcc_lo, v4, v6
	v_add_co_ci_u32_e32 v5, vcc_lo, 0, v5, vcc_lo
	s_waitcnt lgkmcnt(1)
	v_cmp_gt_i32_e32 vcc_lo, v1, v8
	v_cndmask_b32_e64 v6, 0, 1, vcc_lo
	v_add_co_u32 v7, vcc_lo, v4, v7
	v_add_co_ci_u32_e32 v8, vcc_lo, 0, v5, vcc_lo
	ds_load_2addr_b32 v[4:5], v18 offset0:26 offset1:27
	v_add_co_u32 v10, vcc_lo, v7, v6
	v_add_co_ci_u32_e32 v11, vcc_lo, 0, v8, vcc_lo
	v_cmp_gt_i32_e32 vcc_lo, v1, v9
	ds_load_2addr_b32 v[6:7], v18 offset0:28 offset1:29
	ds_load_2addr_b32 v[8:9], v18 offset0:30 offset1:31
	v_cndmask_b32_e64 v12, 0, 1, vcc_lo
	s_waitcnt lgkmcnt(3)
	v_cmp_gt_i32_e32 vcc_lo, v1, v2
	v_cndmask_b32_e64 v2, 0, 1, vcc_lo
	s_delay_alu instid0(VALU_DEP_3) | instskip(SKIP_3) | instid1(VALU_DEP_4)
	v_add_co_u32 v10, vcc_lo, v10, v12
	v_add_co_ci_u32_e32 v11, vcc_lo, 0, v11, vcc_lo
	v_cmp_gt_i32_e32 vcc_lo, v1, v3
	v_cndmask_b32_e64 v3, 0, 1, vcc_lo
	v_add_co_u32 v2, vcc_lo, v10, v2
	s_delay_alu instid0(VALU_DEP_4)
	v_add_co_ci_u32_e32 v10, vcc_lo, 0, v11, vcc_lo
	s_waitcnt lgkmcnt(2)
	v_cmp_gt_i32_e32 vcc_lo, v1, v4
	v_cndmask_b32_e64 v4, 0, 1, vcc_lo
	v_add_co_u32 v2, vcc_lo, v2, v3
	v_add_co_ci_u32_e32 v3, vcc_lo, 0, v10, vcc_lo
	v_cmp_gt_i32_e32 vcc_lo, v1, v5
	v_cndmask_b32_e64 v5, 0, 1, vcc_lo
	s_delay_alu instid0(VALU_DEP_4) | instskip(NEXT) | instid1(VALU_DEP_4)
	v_add_co_u32 v2, vcc_lo, v2, v4
	v_add_co_ci_u32_e32 v3, vcc_lo, 0, v3, vcc_lo
	s_delay_alu instid0(VALU_DEP_2) | instskip(NEXT) | instid1(VALU_DEP_2)
	v_add_co_u32 v4, vcc_lo, v2, v5
	v_add_co_ci_u32_e32 v5, vcc_lo, 0, v3, vcc_lo
	s_waitcnt lgkmcnt(1)
	v_cmp_gt_i32_e32 vcc_lo, v1, v6
	ds_load_2addr_b32 v[2:3], v18 offset0:32 offset1:33
	v_cndmask_b32_e64 v6, 0, 1, vcc_lo
	v_cmp_gt_i32_e32 vcc_lo, v1, v7
	v_cndmask_b32_e64 v7, 0, 1, vcc_lo
	s_delay_alu instid0(VALU_DEP_3)
	v_add_co_u32 v4, vcc_lo, v4, v6
	v_add_co_ci_u32_e32 v5, vcc_lo, 0, v5, vcc_lo
	s_waitcnt lgkmcnt(1)
	v_cmp_gt_i32_e32 vcc_lo, v1, v8
	v_cndmask_b32_e64 v6, 0, 1, vcc_lo
	v_add_co_u32 v7, vcc_lo, v4, v7
	;; [unrolled: 45-line block ×5, first 2 shown]
	v_add_co_ci_u32_e32 v8, vcc_lo, 0, v5, vcc_lo
	ds_load_2addr_b32 v[4:5], v18 offset0:58 offset1:59
	v_add_co_u32 v10, vcc_lo, v7, v6
	v_add_co_ci_u32_e32 v11, vcc_lo, 0, v8, vcc_lo
	v_cmp_gt_i32_e32 vcc_lo, v1, v9
	ds_load_2addr_b32 v[6:7], v18 offset0:60 offset1:61
	ds_load_2addr_b32 v[8:9], v18 offset0:62 offset1:63
	v_cndmask_b32_e64 v12, 0, 1, vcc_lo
	s_waitcnt lgkmcnt(3)
	v_cmp_gt_i32_e32 vcc_lo, v1, v2
	v_cndmask_b32_e64 v2, 0, 1, vcc_lo
	s_delay_alu instid0(VALU_DEP_3) | instskip(SKIP_3) | instid1(VALU_DEP_4)
	v_add_co_u32 v10, vcc_lo, v10, v12
	v_add_co_ci_u32_e32 v11, vcc_lo, 0, v11, vcc_lo
	v_cmp_gt_i32_e32 vcc_lo, v1, v3
	v_cndmask_b32_e64 v3, 0, 1, vcc_lo
	v_add_co_u32 v2, vcc_lo, v10, v2
	s_delay_alu instid0(VALU_DEP_4)
	v_add_co_ci_u32_e32 v10, vcc_lo, 0, v11, vcc_lo
	s_waitcnt lgkmcnt(2)
	v_cmp_gt_i32_e32 vcc_lo, v1, v4
	v_cndmask_b32_e64 v4, 0, 1, vcc_lo
	v_add_co_u32 v2, vcc_lo, v2, v3
	v_add_co_ci_u32_e32 v3, vcc_lo, 0, v10, vcc_lo
	v_cmp_gt_i32_e32 vcc_lo, v1, v5
	v_cndmask_b32_e64 v5, 0, 1, vcc_lo
	s_delay_alu instid0(VALU_DEP_4) | instskip(NEXT) | instid1(VALU_DEP_4)
	v_add_co_u32 v2, vcc_lo, v2, v4
	v_add_co_ci_u32_e32 v3, vcc_lo, 0, v3, vcc_lo
	s_waitcnt lgkmcnt(1)
	v_cmp_gt_i32_e32 vcc_lo, v1, v6
	v_cndmask_b32_e64 v4, 0, 1, vcc_lo
	v_add_co_u32 v2, vcc_lo, v2, v5
	v_add_co_ci_u32_e32 v3, vcc_lo, 0, v3, vcc_lo
	v_cmp_gt_i32_e32 vcc_lo, v1, v7
	v_cndmask_b32_e64 v5, 0, 1, vcc_lo
	s_delay_alu instid0(VALU_DEP_4) | instskip(NEXT) | instid1(VALU_DEP_4)
	v_add_co_u32 v2, vcc_lo, v2, v4
	v_add_co_ci_u32_e32 v3, vcc_lo, 0, v3, vcc_lo
	s_waitcnt lgkmcnt(0)
	v_cmp_gt_i32_e32 vcc_lo, v1, v8
	v_cndmask_b32_e64 v4, 0, 1, vcc_lo
	v_add_co_u32 v2, vcc_lo, v2, v5
	v_add_co_ci_u32_e32 v3, vcc_lo, 0, v3, vcc_lo
	v_lshlrev_b32_e32 v5, 2, v0
	s_delay_alu instid0(VALU_DEP_3) | instskip(NEXT) | instid1(VALU_DEP_3)
	v_add_co_u32 v2, vcc_lo, v2, v4
	v_add_co_ci_u32_e32 v3, vcc_lo, 0, v3, vcc_lo
	v_cmp_gt_i32_e32 vcc_lo, v1, v9
	v_lshlrev_b32_e32 v0, 5, v0
	v_or_b32_e32 v4, s0, v5
	v_or_b32_e32 v5, s1, v5
	v_cndmask_b32_e64 v6, 0, 1, vcc_lo
	s_delay_alu instid0(VALU_DEP_4) | instskip(NEXT) | instid1(VALU_DEP_4)
	v_add_nc_u32_e32 v7, 0, v0
	v_lshl_add_u32 v4, v4, 3, 0
	s_delay_alu instid0(VALU_DEP_4)
	v_lshl_add_u32 v5, v5, 3, 0
	v_add3_u32 v0, 0, 0x100, v0
	v_add_co_u32 v10, vcc_lo, v2, v6
	v_add_co_ci_u32_e32 v11, vcc_lo, 0, v3, vcc_lo
	ds_load_2addr_b32 v[2:3], v7 offset0:64 offset1:65
	ds_load_2addr_b32 v[6:7], v5 offset0:64 offset1:65
	;; [unrolled: 1-line block ×4, first 2 shown]
	v_lshlrev_b64 v[12:13], 2, v[10:11]
	v_lshlrev_b64 v[0:1], 5, v[10:11]
	s_delay_alu instid0(VALU_DEP_2) | instskip(NEXT) | instid1(VALU_DEP_3)
	v_add_co_u32 v10, vcc_lo, s10, v12
	v_add_co_ci_u32_e32 v11, vcc_lo, s11, v13, vcc_lo
	s_delay_alu instid0(VALU_DEP_3) | instskip(NEXT) | instid1(VALU_DEP_4)
	v_add_co_u32 v0, vcc_lo, s34, v0
	v_add_co_ci_u32_e32 v1, vcc_lo, s35, v1, vcc_lo
	global_store_b32 v[10:11], v14, off
	s_waitcnt lgkmcnt(1)
	global_store_b128 v[0:1], v[2:5], off
	s_waitcnt lgkmcnt(0)
	global_store_b128 v[0:1], v[6:9], off offset:16
.LBB210_129:
	s_nop 0
	s_sendmsg sendmsg(MSG_DEALLOC_VGPRS)
	s_endpgm
	.section	.rodata,"a",@progbits
	.p2align	6, 0x0
	.amdhsa_kernel _ZN9rocsparseL30bsrgemm_fill_block_per_row_2x2ILj256ELj16ELj64ELj137Eli21rocsparse_complex_numIfEEEv20rocsparse_direction_T4_S4_PKS4_S6_NS_24const_host_device_scalarIT5_EEPKT3_S6_PKS8_SC_S6_SE_S9_SC_S6_SE_SC_PS4_PS8_21rocsparse_index_base_SH_SH_SH_bbb
		.amdhsa_group_segment_fixed_size 0
		.amdhsa_private_segment_fixed_size 0
		.amdhsa_kernarg_size 164
		.amdhsa_user_sgpr_count 15
		.amdhsa_user_sgpr_dispatch_ptr 0
		.amdhsa_user_sgpr_queue_ptr 0
		.amdhsa_user_sgpr_kernarg_segment_ptr 1
		.amdhsa_user_sgpr_dispatch_id 0
		.amdhsa_user_sgpr_private_segment_size 0
		.amdhsa_wavefront_size32 1
		.amdhsa_uses_dynamic_stack 0
		.amdhsa_enable_private_segment 0
		.amdhsa_system_sgpr_workgroup_id_x 1
		.amdhsa_system_sgpr_workgroup_id_y 0
		.amdhsa_system_sgpr_workgroup_id_z 0
		.amdhsa_system_sgpr_workgroup_info 0
		.amdhsa_system_vgpr_workitem_id 0
		.amdhsa_next_free_vgpr 34
		.amdhsa_next_free_sgpr 52
		.amdhsa_reserve_vcc 1
		.amdhsa_float_round_mode_32 0
		.amdhsa_float_round_mode_16_64 0
		.amdhsa_float_denorm_mode_32 3
		.amdhsa_float_denorm_mode_16_64 3
		.amdhsa_dx10_clamp 1
		.amdhsa_ieee_mode 1
		.amdhsa_fp16_overflow 0
		.amdhsa_workgroup_processor_mode 1
		.amdhsa_memory_ordered 1
		.amdhsa_forward_progress 0
		.amdhsa_shared_vgpr_count 0
		.amdhsa_exception_fp_ieee_invalid_op 0
		.amdhsa_exception_fp_denorm_src 0
		.amdhsa_exception_fp_ieee_div_zero 0
		.amdhsa_exception_fp_ieee_overflow 0
		.amdhsa_exception_fp_ieee_underflow 0
		.amdhsa_exception_fp_ieee_inexact 0
		.amdhsa_exception_int_div_zero 0
	.end_amdhsa_kernel
	.section	.text._ZN9rocsparseL30bsrgemm_fill_block_per_row_2x2ILj256ELj16ELj64ELj137Eli21rocsparse_complex_numIfEEEv20rocsparse_direction_T4_S4_PKS4_S6_NS_24const_host_device_scalarIT5_EEPKT3_S6_PKS8_SC_S6_SE_S9_SC_S6_SE_SC_PS4_PS8_21rocsparse_index_base_SH_SH_SH_bbb,"axG",@progbits,_ZN9rocsparseL30bsrgemm_fill_block_per_row_2x2ILj256ELj16ELj64ELj137Eli21rocsparse_complex_numIfEEEv20rocsparse_direction_T4_S4_PKS4_S6_NS_24const_host_device_scalarIT5_EEPKT3_S6_PKS8_SC_S6_SE_S9_SC_S6_SE_SC_PS4_PS8_21rocsparse_index_base_SH_SH_SH_bbb,comdat
.Lfunc_end210:
	.size	_ZN9rocsparseL30bsrgemm_fill_block_per_row_2x2ILj256ELj16ELj64ELj137Eli21rocsparse_complex_numIfEEEv20rocsparse_direction_T4_S4_PKS4_S6_NS_24const_host_device_scalarIT5_EEPKT3_S6_PKS8_SC_S6_SE_S9_SC_S6_SE_SC_PS4_PS8_21rocsparse_index_base_SH_SH_SH_bbb, .Lfunc_end210-_ZN9rocsparseL30bsrgemm_fill_block_per_row_2x2ILj256ELj16ELj64ELj137Eli21rocsparse_complex_numIfEEEv20rocsparse_direction_T4_S4_PKS4_S6_NS_24const_host_device_scalarIT5_EEPKT3_S6_PKS8_SC_S6_SE_S9_SC_S6_SE_SC_PS4_PS8_21rocsparse_index_base_SH_SH_SH_bbb
                                        ; -- End function
	.section	.AMDGPU.csdata,"",@progbits
; Kernel info:
; codeLenInByte = 6308
; NumSgprs: 54
; NumVgprs: 34
; ScratchSize: 0
; MemoryBound: 0
; FloatMode: 240
; IeeeMode: 1
; LDSByteSize: 0 bytes/workgroup (compile time only)
; SGPRBlocks: 6
; VGPRBlocks: 4
; NumSGPRsForWavesPerEU: 54
; NumVGPRsForWavesPerEU: 34
; Occupancy: 16
; WaveLimiterHint : 1
; COMPUTE_PGM_RSRC2:SCRATCH_EN: 0
; COMPUTE_PGM_RSRC2:USER_SGPR: 15
; COMPUTE_PGM_RSRC2:TRAP_HANDLER: 0
; COMPUTE_PGM_RSRC2:TGID_X_EN: 1
; COMPUTE_PGM_RSRC2:TGID_Y_EN: 0
; COMPUTE_PGM_RSRC2:TGID_Z_EN: 0
; COMPUTE_PGM_RSRC2:TIDIG_COMP_CNT: 0
	.section	.text._ZN9rocsparseL30bsrgemm_fill_block_per_row_2x2ILj256ELj16ELj128ELj137Eli21rocsparse_complex_numIfEEEv20rocsparse_direction_T4_S4_PKS4_S6_NS_24const_host_device_scalarIT5_EEPKT3_S6_PKS8_SC_S6_SE_S9_SC_S6_SE_SC_PS4_PS8_21rocsparse_index_base_SH_SH_SH_bbb,"axG",@progbits,_ZN9rocsparseL30bsrgemm_fill_block_per_row_2x2ILj256ELj16ELj128ELj137Eli21rocsparse_complex_numIfEEEv20rocsparse_direction_T4_S4_PKS4_S6_NS_24const_host_device_scalarIT5_EEPKT3_S6_PKS8_SC_S6_SE_S9_SC_S6_SE_SC_PS4_PS8_21rocsparse_index_base_SH_SH_SH_bbb,comdat
	.globl	_ZN9rocsparseL30bsrgemm_fill_block_per_row_2x2ILj256ELj16ELj128ELj137Eli21rocsparse_complex_numIfEEEv20rocsparse_direction_T4_S4_PKS4_S6_NS_24const_host_device_scalarIT5_EEPKT3_S6_PKS8_SC_S6_SE_S9_SC_S6_SE_SC_PS4_PS8_21rocsparse_index_base_SH_SH_SH_bbb ; -- Begin function _ZN9rocsparseL30bsrgemm_fill_block_per_row_2x2ILj256ELj16ELj128ELj137Eli21rocsparse_complex_numIfEEEv20rocsparse_direction_T4_S4_PKS4_S6_NS_24const_host_device_scalarIT5_EEPKT3_S6_PKS8_SC_S6_SE_S9_SC_S6_SE_SC_PS4_PS8_21rocsparse_index_base_SH_SH_SH_bbb
	.p2align	8
	.type	_ZN9rocsparseL30bsrgemm_fill_block_per_row_2x2ILj256ELj16ELj128ELj137Eli21rocsparse_complex_numIfEEEv20rocsparse_direction_T4_S4_PKS4_S6_NS_24const_host_device_scalarIT5_EEPKT3_S6_PKS8_SC_S6_SE_S9_SC_S6_SE_SC_PS4_PS8_21rocsparse_index_base_SH_SH_SH_bbb,@function
_ZN9rocsparseL30bsrgemm_fill_block_per_row_2x2ILj256ELj16ELj128ELj137Eli21rocsparse_complex_numIfEEEv20rocsparse_direction_T4_S4_PKS4_S6_NS_24const_host_device_scalarIT5_EEPKT3_S6_PKS8_SC_S6_SE_S9_SC_S6_SE_SC_PS4_PS8_21rocsparse_index_base_SH_SH_SH_bbb: ; @_ZN9rocsparseL30bsrgemm_fill_block_per_row_2x2ILj256ELj16ELj128ELj137Eli21rocsparse_complex_numIfEEEv20rocsparse_direction_T4_S4_PKS4_S6_NS_24const_host_device_scalarIT5_EEPKT3_S6_PKS8_SC_S6_SE_S9_SC_S6_SE_SC_PS4_PS8_21rocsparse_index_base_SH_SH_SH_bbb
; %bb.0:
	s_mov_b32 s40, s15
	s_clause 0x6
	s_load_b32 s33, s[0:1], 0xa0
	s_load_b256 s[4:11], s[0:1], 0x68
	s_load_b256 s[12:19], s[0:1], 0x48
	s_load_b128 s[36:39], s[0:1], 0x10
	s_load_b256 s[20:27], s[0:1], 0x28
	s_load_b64 s[34:35], s[0:1], 0x88
	s_load_b128 s[28:31], s[0:1], 0x90
	s_mov_b32 s3, 0
	s_mov_b32 s43, 0
	s_waitcnt lgkmcnt(0)
	s_bitcmp1_b32 s33, 0
	s_cselect_b32 s41, -1, 0
	s_bitcmp1_b32 s33, 16
	s_cselect_b32 s2, -1, 0
	s_delay_alu instid0(SALU_CYCLE_1) | instskip(SKIP_2) | instid1(VALU_DEP_1)
	s_xor_b32 s42, s2, -1
	s_bitcmp0_b32 s33, 0
	v_cndmask_b32_e64 v1, 0, 1, s42
	v_cmp_ne_u32_e32 vcc_lo, 1, v1
	s_cbranch_scc1 .LBB211_5
; %bb.1:
	s_load_b64 s[2:3], s[0:1], 0x20
	s_and_b32 vcc_lo, exec_lo, vcc_lo
	s_waitcnt lgkmcnt(0)
	s_mov_b32 s43, s2
	s_cbranch_vccnz .LBB211_3
; %bb.2:
	s_load_b32 s43, s[2:3], 0x0
.LBB211_3:
	s_and_not1_b32 vcc_lo, exec_lo, s42
	s_cbranch_vccnz .LBB211_5
; %bb.4:
	s_load_b32 s3, s[2:3], 0x4
.LBB211_5:
	s_bitcmp1_b32 s33, 8
	s_mov_b32 s42, 0
	s_cselect_b32 s44, -1, 0
	s_bfe_u32 s2, s33, 0x10008
	s_mov_b32 s33, 0
	s_cmp_eq_u32 s2, 0
	s_cbranch_scc1 .LBB211_11
; %bb.6:
	v_cmp_ne_u32_e32 vcc_lo, 1, v1
	s_mov_b32 s33, s16
	s_cbranch_vccnz .LBB211_8
; %bb.7:
	s_load_b32 s33, s[16:17], 0x0
.LBB211_8:
	v_cmp_ne_u32_e32 vcc_lo, 1, v1
	s_cbranch_vccnz .LBB211_10
; %bb.9:
	s_load_b32 s17, s[16:17], 0x4
.LBB211_10:
	s_waitcnt lgkmcnt(0)
	s_mov_b32 s42, s17
.LBB211_11:
	s_load_b32 s17, s[0:1], 0x8
	v_cmp_gt_u32_e64 s2, 0x80, v0
	v_lshl_add_u32 v16, v0, 2, 0
	s_delay_alu instid0(VALU_DEP_2)
	s_and_saveexec_b32 s16, s2
	s_cbranch_execz .LBB211_13
; %bb.12:
	s_waitcnt lgkmcnt(0)
	v_mov_b32_e32 v1, s17
	ds_store_b32 v16, v1
.LBB211_13:
	s_or_b32 exec_lo, exec_lo, s16
	s_delay_alu instid0(SALU_CYCLE_1)
	s_mov_b32 s16, exec_lo
	v_cmpx_gt_u32_e32 0x200, v0
	s_cbranch_execz .LBB211_16
; %bb.14:
	v_dual_mov_b32 v3, 0 :: v_dual_lshlrev_b32 v2, 3, v0
	v_or_b32_e32 v1, 0xffffff00, v0
	s_mov_b32 s45, 0
	s_delay_alu instid0(VALU_DEP_2)
	v_add3_u32 v2, v2, 0, 0x200
.LBB211_15:                             ; =>This Inner Loop Header: Depth=1
	s_delay_alu instid0(VALU_DEP_2) | instskip(NEXT) | instid1(VALU_DEP_1)
	v_add_co_u32 v1, s46, 0x100, v1
	s_xor_b32 s46, s46, -1
	ds_store_2addr_b32 v2, v3, v3 offset1:1
	v_add_nc_u32_e32 v2, 0x800, v2
	s_and_b32 s46, exec_lo, s46
	s_delay_alu instid0(SALU_CYCLE_1) | instskip(NEXT) | instid1(SALU_CYCLE_1)
	s_or_b32 s45, s46, s45
	s_and_not1_b32 exec_lo, exec_lo, s45
	s_cbranch_execnz .LBB211_15
.LBB211_16:
	s_or_b32 exec_lo, exec_lo, s16
	s_cmp_lg_u64 s[38:39], 0
	s_waitcnt lgkmcnt(0)
	s_barrier
	buffer_gl0_inv
	s_cbranch_scc0 .LBB211_18
; %bb.17:
	s_load_b32 s16, s[36:37], 0x0
	s_mov_b32 s37, 0
	s_waitcnt lgkmcnt(0)
	s_add_i32 s36, s16, s40
	s_delay_alu instid0(SALU_CYCLE_1) | instskip(NEXT) | instid1(SALU_CYCLE_1)
	s_lshl_b64 s[36:37], s[36:37], 2
	s_add_u32 s36, s38, s36
	s_addc_u32 s37, s39, s37
	s_load_b32 s40, s[36:37], 0x0
.LBB211_18:
	s_load_b32 s16, s[0:1], 0x0
	s_and_not1_b32 vcc_lo, exec_lo, s41
	s_waitcnt lgkmcnt(0)
	s_ashr_i32 s41, s40, 31
	s_cbranch_vccnz .LBB211_74
; %bb.19:
	s_lshl_b64 s[0:1], s[40:41], 3
	v_lshrrev_b32_e32 v1, 4, v0
	s_add_u32 s0, s20, s0
	s_addc_u32 s1, s21, s1
	s_mov_b32 s21, 0
	s_load_b128 s[36:39], s[0:1], 0x0
	v_sub_co_u32 v1, s0, v1, s28
	s_delay_alu instid0(VALU_DEP_1) | instskip(SKIP_2) | instid1(VALU_DEP_2)
	v_sub_co_ci_u32_e64 v2, null, 0, 0, s0
	s_mov_b32 s20, exec_lo
	s_waitcnt lgkmcnt(0)
	v_add_co_u32 v1, vcc_lo, s36, v1
	s_delay_alu instid0(VALU_DEP_2)
	v_add_co_ci_u32_e32 v2, vcc_lo, s37, v2, vcc_lo
	s_sub_u32 s0, s38, s28
	s_subb_u32 s1, s39, 0
	s_delay_alu instid0(VALU_DEP_1) | instid1(SALU_CYCLE_1)
	v_cmpx_gt_i64_e64 s[0:1], v[1:2]
	s_cbranch_execz .LBB211_73
; %bb.20:
	v_and_b32_e32 v3, 15, v0
	s_cmp_eq_u32 s16, 0
	s_cselect_b32 s37, 2, 1
	s_cselect_b32 s38, 1, 2
	s_delay_alu instid0(VALU_DEP_1) | instskip(NEXT) | instid1(VALU_DEP_1)
	v_sub_co_u32 v17, s36, v3, s29
	v_sub_co_ci_u32_e64 v18, null, 0, 0, s36
	s_mov_b32 s36, s29
	s_branch .LBB211_22
.LBB211_21:                             ;   in Loop: Header=BB211_22 Depth=1
	s_or_b32 exec_lo, exec_lo, s39
	v_add_co_u32 v1, vcc_lo, v1, 16
	v_add_co_ci_u32_e32 v2, vcc_lo, 0, v2, vcc_lo
	s_delay_alu instid0(VALU_DEP_1) | instskip(SKIP_1) | instid1(SALU_CYCLE_1)
	v_cmp_le_i64_e32 vcc_lo, s[0:1], v[1:2]
	s_or_b32 s21, vcc_lo, s21
	s_and_not1_b32 exec_lo, exec_lo, s21
	s_cbranch_execz .LBB211_73
.LBB211_22:                             ; =>This Loop Header: Depth=1
                                        ;     Child Loop BB211_25 Depth 2
                                        ;       Child Loop BB211_27 Depth 3
                                        ;       Child Loop BB211_39 Depth 3
                                        ;       Child Loop BB211_51 Depth 3
                                        ;       Child Loop BB211_63 Depth 3
	v_lshlrev_b64 v[7:8], 2, v[1:2]
	s_mov_b32 s39, exec_lo
	s_delay_alu instid0(VALU_DEP_1) | instskip(NEXT) | instid1(VALU_DEP_2)
	v_add_co_u32 v3, vcc_lo, s22, v7
	v_add_co_ci_u32_e32 v4, vcc_lo, s23, v8, vcc_lo
	global_load_b32 v3, v[3:4], off
	s_waitcnt vmcnt(0)
	v_subrev_nc_u32_e32 v3, s28, v3
	s_delay_alu instid0(VALU_DEP_1) | instskip(NEXT) | instid1(VALU_DEP_1)
	v_ashrrev_i32_e32 v4, 31, v3
	v_lshlrev_b64 v[3:4], 3, v[3:4]
	s_delay_alu instid0(VALU_DEP_1) | instskip(NEXT) | instid1(VALU_DEP_2)
	v_add_co_u32 v3, vcc_lo, s26, v3
	v_add_co_ci_u32_e32 v4, vcc_lo, s27, v4, vcc_lo
	global_load_b128 v[9:12], v[3:4], off
	s_waitcnt vmcnt(0)
	v_sub_co_u32 v3, vcc_lo, v11, s36
	v_subrev_co_ci_u32_e32 v4, vcc_lo, 0, v12, vcc_lo
	v_add_co_u32 v5, vcc_lo, v9, v17
	v_add_co_ci_u32_e32 v6, vcc_lo, v10, v18, vcc_lo
	s_delay_alu instid0(VALU_DEP_1)
	v_cmpx_lt_i64_e64 v[5:6], v[3:4]
	s_cbranch_execz .LBB211_21
; %bb.23:                               ;   in Loop: Header=BB211_22 Depth=1
	v_or_b32_e32 v12, 0, v8
	v_or_b32_e32 v11, s37, v7
	v_lshlrev_b64 v[9:10], 5, v[1:2]
	v_or_b32_e32 v8, 0, v8
	v_or_b32_e32 v7, s38, v7
	s_mov_b32 s45, 0
	v_lshlrev_b64 v[11:12], 3, v[11:12]
	s_delay_alu instid0(VALU_DEP_4) | instskip(NEXT) | instid1(VALU_DEP_3)
	v_add_co_u32 v9, vcc_lo, s24, v9
	v_lshlrev_b64 v[7:8], 3, v[7:8]
	v_add_co_ci_u32_e32 v10, vcc_lo, s25, v10, vcc_lo
	s_delay_alu instid0(VALU_DEP_4) | instskip(SKIP_1) | instid1(VALU_DEP_4)
	v_add_co_u32 v11, vcc_lo, s24, v11
	v_add_co_ci_u32_e32 v12, vcc_lo, s25, v12, vcc_lo
	v_add_co_u32 v7, vcc_lo, s24, v7
	v_add_co_ci_u32_e32 v8, vcc_lo, s25, v8, vcc_lo
	s_clause 0x3
	global_load_b64 v[13:14], v[9:10], off
	global_load_b64 v[11:12], v[11:12], off
	;; [unrolled: 1-line block ×3, first 2 shown]
	global_load_b64 v[9:10], v[9:10], off offset:24
	s_waitcnt vmcnt(3)
	v_mul_f32_e64 v19, v14, -s3
	v_mul_f32_e32 v20, s43, v14
	s_waitcnt vmcnt(2)
	v_mul_f32_e64 v21, v12, -s3
	s_waitcnt vmcnt(0)
	v_dual_mul_f32 v22, s43, v12 :: v_dual_mul_f32 v23, s43, v10
	v_fmac_f32_e32 v19, s43, v13
	v_fmac_f32_e32 v20, s3, v13
	v_mul_f32_e64 v24, v10, -s3
	v_mul_f32_e64 v26, v8, -s3
	v_fmac_f32_e32 v21, s43, v11
	v_dual_mul_f32 v25, s43, v8 :: v_dual_fmac_f32 v22, s3, v11
	s_delay_alu instid0(VALU_DEP_3) | instskip(NEXT) | instid1(VALU_DEP_2)
	v_dual_fmac_f32 v23, s3, v9 :: v_dual_fmac_f32 v26, s43, v7
	v_dual_fmac_f32 v24, s43, v9 :: v_dual_fmac_f32 v25, s3, v7
	s_branch .LBB211_25
.LBB211_24:                             ;   in Loop: Header=BB211_25 Depth=2
	s_or_b32 exec_lo, exec_lo, s46
	v_add_co_u32 v5, vcc_lo, v5, 16
	v_add_co_ci_u32_e32 v6, vcc_lo, 0, v6, vcc_lo
	s_delay_alu instid0(VALU_DEP_1) | instskip(SKIP_1) | instid1(SALU_CYCLE_1)
	v_cmp_ge_i64_e32 vcc_lo, v[5:6], v[3:4]
	s_or_b32 s45, vcc_lo, s45
	s_and_not1_b32 exec_lo, exec_lo, s45
	s_cbranch_execz .LBB211_21
.LBB211_25:                             ;   Parent Loop BB211_22 Depth=1
                                        ; =>  This Loop Header: Depth=2
                                        ;       Child Loop BB211_27 Depth 3
                                        ;       Child Loop BB211_39 Depth 3
	;; [unrolled: 1-line block ×4, first 2 shown]
	v_lshlrev_b64 v[7:8], 2, v[5:6]
	v_lshlrev_b64 v[27:28], 5, v[5:6]
	s_mov_b32 s46, 0
	s_delay_alu instid0(VALU_DEP_2) | instskip(NEXT) | instid1(VALU_DEP_3)
	v_or_b32_e32 v10, 0, v8
	v_or_b32_e32 v9, s37, v7
	s_delay_alu instid0(VALU_DEP_1) | instskip(NEXT) | instid1(VALU_DEP_1)
	v_lshlrev_b64 v[9:10], 3, v[9:10]
	v_add_co_u32 v9, vcc_lo, s14, v9
	s_delay_alu instid0(VALU_DEP_2)
	v_add_co_ci_u32_e32 v10, vcc_lo, s15, v10, vcc_lo
	v_add_co_u32 v11, vcc_lo, s12, v7
	v_add_co_ci_u32_e32 v12, vcc_lo, s13, v8, vcc_lo
	global_load_b64 v[13:14], v[9:10], off
	global_load_b32 v15, v[11:12], off
	v_add_co_u32 v9, vcc_lo, s14, v27
	v_add_co_ci_u32_e32 v10, vcc_lo, s15, v28, vcc_lo
	v_or_b32_e32 v8, 0, v8
	v_or_b32_e32 v7, s38, v7
	global_load_b64 v[11:12], v[9:10], off
	v_lshlrev_b64 v[7:8], 3, v[7:8]
	s_delay_alu instid0(VALU_DEP_1) | instskip(NEXT) | instid1(VALU_DEP_2)
	v_add_co_u32 v7, vcc_lo, s14, v7
	v_add_co_ci_u32_e32 v8, vcc_lo, s15, v8, vcc_lo
	s_clause 0x1
	global_load_b64 v[7:8], v[7:8], off
	global_load_b64 v[9:10], v[9:10], off offset:24
	s_waitcnt vmcnt(4)
	v_mul_f32_e64 v30, v14, -v25
	s_waitcnt vmcnt(3)
	v_subrev_nc_u32_e32 v27, s29, v15
	s_delay_alu instid0(VALU_DEP_2) | instskip(SKIP_1) | instid1(VALU_DEP_3)
	v_fmac_f32_e32 v30, v26, v13
	v_mul_f32_e32 v29, v26, v14
	v_lshl_add_u32 v15, v27, 3, v27
	s_waitcnt vmcnt(2)
	s_delay_alu instid0(VALU_DEP_2) | instskip(NEXT) | instid1(VALU_DEP_2)
	v_dual_fmac_f32 v30, v19, v11 :: v_dual_fmac_f32 v29, v25, v13
	v_and_b32_e32 v28, 0x7f, v15
	s_delay_alu instid0(VALU_DEP_2) | instskip(NEXT) | instid1(VALU_DEP_3)
	v_fma_f32 v30, -v20, v12, v30
	v_fmac_f32_e32 v29, v20, v11
	s_delay_alu instid0(VALU_DEP_3) | instskip(NEXT) | instid1(VALU_DEP_2)
	v_mov_b32_e32 v31, v28
	v_fmac_f32_e32 v29, v19, v12
	s_branch .LBB211_27
.LBB211_26:                             ;   in Loop: Header=BB211_27 Depth=3
	s_or_b32 exec_lo, exec_lo, s47
	s_xor_b32 s47, s48, -1
	s_delay_alu instid0(SALU_CYCLE_1) | instskip(NEXT) | instid1(SALU_CYCLE_1)
	s_and_b32 s47, exec_lo, s47
	s_or_b32 s46, s47, s46
	s_delay_alu instid0(SALU_CYCLE_1)
	s_and_not1_b32 exec_lo, exec_lo, s46
	s_cbranch_execz .LBB211_37
.LBB211_27:                             ;   Parent Loop BB211_22 Depth=1
                                        ;     Parent Loop BB211_25 Depth=2
                                        ; =>    This Inner Loop Header: Depth=3
	s_delay_alu instid0(VALU_DEP_2)
	v_lshl_add_u32 v15, v31, 2, 0
	s_mov_b32 s47, exec_lo
                                        ; implicit-def: $sgpr48
	ds_load_b32 v32, v15
	s_waitcnt lgkmcnt(0)
	v_cmpx_ne_u32_e64 v32, v27
	s_xor_b32 s47, exec_lo, s47
	s_cbranch_execz .LBB211_35
; %bb.28:                               ;   in Loop: Header=BB211_27 Depth=3
	s_mov_b32 s49, exec_lo
                                        ; implicit-def: $sgpr48
	v_cmpx_ne_u32_e64 s17, v32
	s_xor_b32 s49, exec_lo, s49
; %bb.29:                               ;   in Loop: Header=BB211_27 Depth=3
	v_add_nc_u32_e32 v15, 1, v31
	s_mov_b32 s48, -1
	s_delay_alu instid0(VALU_DEP_1)
	v_and_b32_e32 v31, 0x7f, v15
                                        ; implicit-def: $vgpr15
; %bb.30:                               ;   in Loop: Header=BB211_27 Depth=3
	s_and_not1_saveexec_b32 s49, s49
	s_cbranch_execz .LBB211_34
; %bb.31:                               ;   in Loop: Header=BB211_27 Depth=3
	v_mov_b32_e32 v32, s17
	s_mov_b32 s51, -1
	s_mov_b32 s50, exec_lo
	ds_cmpstore_rtn_b32 v32, v15, v27, v32
	s_waitcnt lgkmcnt(0)
	v_cmpx_eq_u32_e64 s17, v32
	s_cbranch_execz .LBB211_33
; %bb.32:                               ;   in Loop: Header=BB211_27 Depth=3
	v_mad_u64_u32 v[32:33], null, v31, 28, v[15:16]
	s_xor_b32 s51, exec_lo, -1
	ds_add_f32 v32, v30 offset:512
	ds_add_f32 v32, v29 offset:516
.LBB211_33:                             ;   in Loop: Header=BB211_27 Depth=3
	s_or_b32 exec_lo, exec_lo, s50
	s_delay_alu instid0(SALU_CYCLE_1) | instskip(SKIP_1) | instid1(SALU_CYCLE_1)
	s_and_not1_b32 s48, s48, exec_lo
	s_and_b32 s50, s51, exec_lo
	s_or_b32 s48, s48, s50
.LBB211_34:                             ;   in Loop: Header=BB211_27 Depth=3
	s_or_b32 exec_lo, exec_lo, s49
	s_delay_alu instid0(SALU_CYCLE_1)
	s_and_b32 s48, s48, exec_lo
                                        ; implicit-def: $vgpr15
.LBB211_35:                             ;   in Loop: Header=BB211_27 Depth=3
	s_and_not1_saveexec_b32 s47, s47
	s_cbranch_execz .LBB211_26
; %bb.36:                               ;   in Loop: Header=BB211_27 Depth=3
	v_mad_u64_u32 v[32:33], null, v31, 28, v[15:16]
	s_and_not1_b32 s48, s48, exec_lo
	ds_add_f32 v32, v30 offset:512
	ds_add_f32 v32, v29 offset:516
	s_branch .LBB211_26
.LBB211_37:                             ;   in Loop: Header=BB211_25 Depth=2
	s_or_b32 exec_lo, exec_lo, s46
	s_waitcnt vmcnt(0)
	v_mul_f32_e64 v15, v10, -v25
	v_mul_f32_e32 v29, v26, v10
	v_mov_b32_e32 v31, v28
	s_mov_b32 s46, 0
	s_delay_alu instid0(VALU_DEP_3) | instskip(NEXT) | instid1(VALU_DEP_3)
	v_fmac_f32_e32 v15, v26, v9
	v_fmac_f32_e32 v29, v25, v9
	s_delay_alu instid0(VALU_DEP_2) | instskip(NEXT) | instid1(VALU_DEP_2)
	v_fmac_f32_e32 v15, v19, v7
	v_fmac_f32_e32 v29, v20, v7
	s_delay_alu instid0(VALU_DEP_2) | instskip(NEXT) | instid1(VALU_DEP_2)
	v_fma_f32 v30, -v20, v8, v15
	v_fmac_f32_e32 v29, v19, v8
	s_branch .LBB211_39
.LBB211_38:                             ;   in Loop: Header=BB211_39 Depth=3
	s_or_b32 exec_lo, exec_lo, s47
	s_xor_b32 s47, s48, -1
	s_delay_alu instid0(SALU_CYCLE_1) | instskip(NEXT) | instid1(SALU_CYCLE_1)
	s_and_b32 s47, exec_lo, s47
	s_or_b32 s46, s47, s46
	s_delay_alu instid0(SALU_CYCLE_1)
	s_and_not1_b32 exec_lo, exec_lo, s46
	s_cbranch_execz .LBB211_49
.LBB211_39:                             ;   Parent Loop BB211_22 Depth=1
                                        ;     Parent Loop BB211_25 Depth=2
                                        ; =>    This Inner Loop Header: Depth=3
	v_lshl_add_u32 v15, v31, 2, 0
	s_mov_b32 s47, exec_lo
                                        ; implicit-def: $sgpr48
	ds_load_b32 v32, v15
	s_waitcnt lgkmcnt(0)
	v_cmpx_ne_u32_e64 v32, v27
	s_xor_b32 s47, exec_lo, s47
	s_cbranch_execz .LBB211_47
; %bb.40:                               ;   in Loop: Header=BB211_39 Depth=3
	s_mov_b32 s49, exec_lo
                                        ; implicit-def: $sgpr48
	v_cmpx_ne_u32_e64 s17, v32
	s_xor_b32 s49, exec_lo, s49
; %bb.41:                               ;   in Loop: Header=BB211_39 Depth=3
	v_add_nc_u32_e32 v15, 1, v31
	s_mov_b32 s48, -1
	s_delay_alu instid0(VALU_DEP_1)
	v_and_b32_e32 v31, 0x7f, v15
                                        ; implicit-def: $vgpr15
; %bb.42:                               ;   in Loop: Header=BB211_39 Depth=3
	s_and_not1_saveexec_b32 s49, s49
	s_cbranch_execz .LBB211_46
; %bb.43:                               ;   in Loop: Header=BB211_39 Depth=3
	v_mov_b32_e32 v32, s17
	s_mov_b32 s51, -1
	s_mov_b32 s50, exec_lo
	ds_cmpstore_rtn_b32 v32, v15, v27, v32
	s_waitcnt lgkmcnt(0)
	v_cmpx_eq_u32_e64 s17, v32
	s_cbranch_execz .LBB211_45
; %bb.44:                               ;   in Loop: Header=BB211_39 Depth=3
	v_mad_u64_u32 v[32:33], null, v31, 28, v[15:16]
	s_xor_b32 s51, exec_lo, -1
	ds_add_f32 v32, v30 offset:520
	ds_add_f32 v32, v29 offset:524
.LBB211_45:                             ;   in Loop: Header=BB211_39 Depth=3
	s_or_b32 exec_lo, exec_lo, s50
	s_delay_alu instid0(SALU_CYCLE_1) | instskip(SKIP_1) | instid1(SALU_CYCLE_1)
	s_and_not1_b32 s48, s48, exec_lo
	s_and_b32 s50, s51, exec_lo
	s_or_b32 s48, s48, s50
.LBB211_46:                             ;   in Loop: Header=BB211_39 Depth=3
	s_or_b32 exec_lo, exec_lo, s49
	s_delay_alu instid0(SALU_CYCLE_1)
	s_and_b32 s48, s48, exec_lo
                                        ; implicit-def: $vgpr15
.LBB211_47:                             ;   in Loop: Header=BB211_39 Depth=3
	s_and_not1_saveexec_b32 s47, s47
	s_cbranch_execz .LBB211_38
; %bb.48:                               ;   in Loop: Header=BB211_39 Depth=3
	v_mad_u64_u32 v[32:33], null, v31, 28, v[15:16]
	s_and_not1_b32 s48, s48, exec_lo
	ds_add_f32 v32, v30 offset:520
	ds_add_f32 v32, v29 offset:524
	s_branch .LBB211_38
.LBB211_49:                             ;   in Loop: Header=BB211_25 Depth=2
	s_or_b32 exec_lo, exec_lo, s46
	v_mul_f32_e64 v15, v14, -v23
	s_mov_b32 s46, 0
	s_delay_alu instid0(VALU_DEP_1) | instskip(NEXT) | instid1(VALU_DEP_1)
	v_fmac_f32_e32 v15, v24, v13
	v_dual_mul_f32 v14, v24, v14 :: v_dual_fmac_f32 v15, v21, v11
	s_delay_alu instid0(VALU_DEP_1) | instskip(NEXT) | instid1(VALU_DEP_2)
	v_fmac_f32_e32 v14, v23, v13
	v_fma_f32 v13, -v22, v12, v15
	s_delay_alu instid0(VALU_DEP_2) | instskip(NEXT) | instid1(VALU_DEP_1)
	v_fmac_f32_e32 v14, v22, v11
	v_fmac_f32_e32 v14, v21, v12
	v_mov_b32_e32 v12, v28
	s_branch .LBB211_51
.LBB211_50:                             ;   in Loop: Header=BB211_51 Depth=3
	s_or_b32 exec_lo, exec_lo, s47
	s_xor_b32 s47, s48, -1
	s_delay_alu instid0(SALU_CYCLE_1) | instskip(NEXT) | instid1(SALU_CYCLE_1)
	s_and_b32 s47, exec_lo, s47
	s_or_b32 s46, s47, s46
	s_delay_alu instid0(SALU_CYCLE_1)
	s_and_not1_b32 exec_lo, exec_lo, s46
	s_cbranch_execz .LBB211_61
.LBB211_51:                             ;   Parent Loop BB211_22 Depth=1
                                        ;     Parent Loop BB211_25 Depth=2
                                        ; =>    This Inner Loop Header: Depth=3
	s_delay_alu instid0(VALU_DEP_1)
	v_lshl_add_u32 v11, v12, 2, 0
	s_mov_b32 s47, exec_lo
                                        ; implicit-def: $sgpr48
	ds_load_b32 v15, v11
	s_waitcnt lgkmcnt(0)
	v_cmpx_ne_u32_e64 v15, v27
	s_xor_b32 s47, exec_lo, s47
	s_cbranch_execz .LBB211_59
; %bb.52:                               ;   in Loop: Header=BB211_51 Depth=3
	s_mov_b32 s49, exec_lo
                                        ; implicit-def: $sgpr48
	v_cmpx_ne_u32_e64 s17, v15
	s_xor_b32 s49, exec_lo, s49
; %bb.53:                               ;   in Loop: Header=BB211_51 Depth=3
	v_add_nc_u32_e32 v11, 1, v12
	s_mov_b32 s48, -1
	s_delay_alu instid0(VALU_DEP_1)
	v_and_b32_e32 v12, 0x7f, v11
                                        ; implicit-def: $vgpr11
; %bb.54:                               ;   in Loop: Header=BB211_51 Depth=3
	s_and_not1_saveexec_b32 s49, s49
	s_cbranch_execz .LBB211_58
; %bb.55:                               ;   in Loop: Header=BB211_51 Depth=3
	v_mov_b32_e32 v15, s17
	s_mov_b32 s51, -1
	s_mov_b32 s50, exec_lo
	ds_cmpstore_rtn_b32 v15, v11, v27, v15
	s_waitcnt lgkmcnt(0)
	v_cmpx_eq_u32_e64 s17, v15
	s_cbranch_execz .LBB211_57
; %bb.56:                               ;   in Loop: Header=BB211_51 Depth=3
	v_mad_u64_u32 v[29:30], null, v12, 28, v[11:12]
	s_xor_b32 s51, exec_lo, -1
	ds_add_f32 v29, v13 offset:528
	ds_add_f32 v29, v14 offset:532
.LBB211_57:                             ;   in Loop: Header=BB211_51 Depth=3
	s_or_b32 exec_lo, exec_lo, s50
	s_delay_alu instid0(SALU_CYCLE_1) | instskip(SKIP_1) | instid1(SALU_CYCLE_1)
	s_and_not1_b32 s48, s48, exec_lo
	s_and_b32 s50, s51, exec_lo
	s_or_b32 s48, s48, s50
.LBB211_58:                             ;   in Loop: Header=BB211_51 Depth=3
	s_or_b32 exec_lo, exec_lo, s49
	s_delay_alu instid0(SALU_CYCLE_1)
	s_and_b32 s48, s48, exec_lo
                                        ; implicit-def: $vgpr11
.LBB211_59:                             ;   in Loop: Header=BB211_51 Depth=3
	s_and_not1_saveexec_b32 s47, s47
	s_cbranch_execz .LBB211_50
; %bb.60:                               ;   in Loop: Header=BB211_51 Depth=3
	v_mad_u64_u32 v[29:30], null, v12, 28, v[11:12]
	s_and_not1_b32 s48, s48, exec_lo
	ds_add_f32 v29, v13 offset:528
	ds_add_f32 v29, v14 offset:532
	s_branch .LBB211_50
.LBB211_61:                             ;   in Loop: Header=BB211_25 Depth=2
	s_or_b32 exec_lo, exec_lo, s46
	v_mul_f32_e64 v11, v10, -v23
	s_mov_b32 s46, 0
	s_delay_alu instid0(VALU_DEP_1) | instskip(NEXT) | instid1(VALU_DEP_1)
	v_fmac_f32_e32 v11, v24, v9
	v_dual_mul_f32 v10, v24, v10 :: v_dual_fmac_f32 v11, v21, v7
	s_delay_alu instid0(VALU_DEP_1) | instskip(NEXT) | instid1(VALU_DEP_2)
	v_fmac_f32_e32 v10, v23, v9
	v_fma_f32 v9, -v22, v8, v11
	s_delay_alu instid0(VALU_DEP_2) | instskip(NEXT) | instid1(VALU_DEP_1)
	v_fmac_f32_e32 v10, v22, v7
	v_fmac_f32_e32 v10, v21, v8
	s_branch .LBB211_63
.LBB211_62:                             ;   in Loop: Header=BB211_63 Depth=3
	s_or_b32 exec_lo, exec_lo, s47
	s_xor_b32 s47, s48, -1
	s_delay_alu instid0(SALU_CYCLE_1) | instskip(NEXT) | instid1(SALU_CYCLE_1)
	s_and_b32 s47, exec_lo, s47
	s_or_b32 s46, s47, s46
	s_delay_alu instid0(SALU_CYCLE_1)
	s_and_not1_b32 exec_lo, exec_lo, s46
	s_cbranch_execz .LBB211_24
.LBB211_63:                             ;   Parent Loop BB211_22 Depth=1
                                        ;     Parent Loop BB211_25 Depth=2
                                        ; =>    This Inner Loop Header: Depth=3
	v_lshl_add_u32 v7, v28, 2, 0
	s_mov_b32 s47, exec_lo
                                        ; implicit-def: $sgpr48
	ds_load_b32 v8, v7
	s_waitcnt lgkmcnt(0)
	v_cmpx_ne_u32_e64 v8, v27
	s_xor_b32 s47, exec_lo, s47
	s_cbranch_execz .LBB211_71
; %bb.64:                               ;   in Loop: Header=BB211_63 Depth=3
	s_mov_b32 s49, exec_lo
                                        ; implicit-def: $sgpr48
	v_cmpx_ne_u32_e64 s17, v8
	s_xor_b32 s49, exec_lo, s49
; %bb.65:                               ;   in Loop: Header=BB211_63 Depth=3
	v_add_nc_u32_e32 v7, 1, v28
	s_mov_b32 s48, -1
	s_delay_alu instid0(VALU_DEP_1)
	v_and_b32_e32 v28, 0x7f, v7
                                        ; implicit-def: $vgpr7
; %bb.66:                               ;   in Loop: Header=BB211_63 Depth=3
	s_and_not1_saveexec_b32 s49, s49
	s_cbranch_execz .LBB211_70
; %bb.67:                               ;   in Loop: Header=BB211_63 Depth=3
	v_mov_b32_e32 v8, s17
	s_mov_b32 s51, -1
	s_mov_b32 s50, exec_lo
	ds_cmpstore_rtn_b32 v8, v7, v27, v8
	s_waitcnt lgkmcnt(0)
	v_cmpx_eq_u32_e64 s17, v8
	s_cbranch_execz .LBB211_69
; %bb.68:                               ;   in Loop: Header=BB211_63 Depth=3
	v_mad_u64_u32 v[11:12], null, v28, 28, v[7:8]
	s_xor_b32 s51, exec_lo, -1
	ds_add_f32 v11, v9 offset:536
	ds_add_f32 v11, v10 offset:540
.LBB211_69:                             ;   in Loop: Header=BB211_63 Depth=3
	s_or_b32 exec_lo, exec_lo, s50
	s_delay_alu instid0(SALU_CYCLE_1) | instskip(SKIP_1) | instid1(SALU_CYCLE_1)
	s_and_not1_b32 s48, s48, exec_lo
	s_and_b32 s50, s51, exec_lo
	s_or_b32 s48, s48, s50
.LBB211_70:                             ;   in Loop: Header=BB211_63 Depth=3
	s_or_b32 exec_lo, exec_lo, s49
	s_delay_alu instid0(SALU_CYCLE_1)
	s_and_b32 s48, s48, exec_lo
                                        ; implicit-def: $vgpr7
.LBB211_71:                             ;   in Loop: Header=BB211_63 Depth=3
	s_and_not1_saveexec_b32 s47, s47
	s_cbranch_execz .LBB211_62
; %bb.72:                               ;   in Loop: Header=BB211_63 Depth=3
	v_mad_u64_u32 v[11:12], null, v28, 28, v[7:8]
	s_and_not1_b32 s48, s48, exec_lo
	ds_add_f32 v11, v9 offset:536
	ds_add_f32 v11, v10 offset:540
	s_branch .LBB211_62
.LBB211_73:
	s_or_b32 exec_lo, exec_lo, s20
.LBB211_74:
	s_delay_alu instid0(SALU_CYCLE_1)
	s_and_not1_b32 vcc_lo, exec_lo, s44
	s_waitcnt lgkmcnt(0)
	s_barrier
	buffer_gl0_inv
	s_cbranch_vccnz .LBB211_127
; %bb.75:
	s_lshl_b64 s[0:1], s[40:41], 3
	s_mov_b32 s3, exec_lo
	s_add_u32 s0, s18, s0
	s_addc_u32 s1, s19, s1
	s_load_b128 s[12:15], s[0:1], 0x0
	v_sub_co_u32 v1, s0, v0, s31
	s_delay_alu instid0(VALU_DEP_1) | instskip(SKIP_1) | instid1(VALU_DEP_2)
	v_sub_co_ci_u32_e64 v2, null, 0, 0, s0
	s_waitcnt lgkmcnt(0)
	v_add_co_u32 v1, vcc_lo, s12, v1
	s_delay_alu instid0(VALU_DEP_2) | instskip(SKIP_3) | instid1(VALU_DEP_1)
	v_add_co_ci_u32_e32 v2, vcc_lo, s13, v2, vcc_lo
	s_sub_u32 s0, s14, s31
	s_subb_u32 s1, s15, 0
	s_mov_b32 s12, 0
	v_cmpx_gt_i64_e64 s[0:1], v[1:2]
	s_cbranch_execz .LBB211_126
; %bb.76:
	s_cmp_eq_u32 s16, 0
	s_cselect_b32 s13, 1, 2
	s_cselect_b32 s14, 2, 1
	s_branch .LBB211_78
.LBB211_77:                             ;   in Loop: Header=BB211_78 Depth=1
	s_or_b32 exec_lo, exec_lo, s15
	v_add_co_u32 v1, vcc_lo, 0x100, v1
	v_add_co_ci_u32_e32 v2, vcc_lo, 0, v2, vcc_lo
	s_delay_alu instid0(VALU_DEP_1) | instskip(SKIP_1) | instid1(SALU_CYCLE_1)
	v_cmp_le_i64_e32 vcc_lo, s[0:1], v[1:2]
	s_or_b32 s12, vcc_lo, s12
	s_and_not1_b32 exec_lo, exec_lo, s12
	s_cbranch_execz .LBB211_126
.LBB211_78:                             ; =>This Loop Header: Depth=1
                                        ;     Child Loop BB211_80 Depth 2
                                        ;     Child Loop BB211_92 Depth 2
	;; [unrolled: 1-line block ×4, first 2 shown]
	v_lshlrev_b64 v[3:4], 2, v[1:2]
	v_lshlrev_b64 v[5:6], 5, v[1:2]
	s_mov_b32 s15, 0
	s_delay_alu instid0(VALU_DEP_2) | instskip(NEXT) | instid1(VALU_DEP_3)
	v_add_co_u32 v9, vcc_lo, s4, v3
	v_add_co_ci_u32_e32 v10, vcc_lo, s5, v4, vcc_lo
	v_or_b32_e32 v8, 0, v4
	v_or_b32_e32 v7, s13, v3
	v_add_co_u32 v5, vcc_lo, s6, v5
	global_load_b32 v11, v[9:10], off
	v_or_b32_e32 v4, 0, v4
	v_or_b32_e32 v3, s14, v3
	v_add_co_ci_u32_e32 v6, vcc_lo, s7, v6, vcc_lo
	v_lshlrev_b64 v[7:8], 3, v[7:8]
	s_delay_alu instid0(VALU_DEP_3)
	v_lshlrev_b64 v[3:4], 3, v[3:4]
	global_load_b64 v[14:15], v[5:6], off
	v_add_co_u32 v7, vcc_lo, s6, v7
	v_add_co_ci_u32_e32 v8, vcc_lo, s7, v8, vcc_lo
	v_add_co_u32 v9, vcc_lo, s6, v3
	v_add_co_ci_u32_e32 v10, vcc_lo, s7, v4, vcc_lo
	s_clause 0x2
	global_load_b64 v[3:4], v[5:6], off offset:24
	global_load_b64 v[7:8], v[7:8], off
	global_load_b64 v[5:6], v[9:10], off
	s_waitcnt vmcnt(4)
	v_subrev_nc_u32_e32 v10, s31, v11
	s_delay_alu instid0(VALU_DEP_1) | instskip(SKIP_3) | instid1(VALU_DEP_2)
	v_lshl_add_u32 v9, v10, 3, v10
	s_waitcnt vmcnt(3)
	v_mul_f32_e64 v12, v15, -s42
	v_mul_f32_e32 v13, s33, v15
	v_dual_fmac_f32 v12, s33, v14 :: v_dual_and_b32 v11, 0x7f, v9
	s_delay_alu instid0(VALU_DEP_1)
	v_dual_fmac_f32 v13, s42, v14 :: v_dual_mov_b32 v14, v11
	s_branch .LBB211_80
.LBB211_79:                             ;   in Loop: Header=BB211_80 Depth=2
	s_or_b32 exec_lo, exec_lo, s18
	s_xor_b32 s18, s19, -1
	s_delay_alu instid0(SALU_CYCLE_1) | instskip(NEXT) | instid1(SALU_CYCLE_1)
	s_and_b32 s18, exec_lo, s18
	s_or_b32 s15, s18, s15
	s_delay_alu instid0(SALU_CYCLE_1)
	s_and_not1_b32 exec_lo, exec_lo, s15
	s_cbranch_execz .LBB211_90
.LBB211_80:                             ;   Parent Loop BB211_78 Depth=1
                                        ; =>  This Inner Loop Header: Depth=2
	s_delay_alu instid0(VALU_DEP_1)
	v_lshl_add_u32 v9, v14, 2, 0
	s_mov_b32 s18, exec_lo
                                        ; implicit-def: $sgpr19
	ds_load_b32 v15, v9
	s_waitcnt lgkmcnt(0)
	v_cmpx_ne_u32_e64 v15, v10
	s_xor_b32 s18, exec_lo, s18
	s_cbranch_execz .LBB211_88
; %bb.81:                               ;   in Loop: Header=BB211_80 Depth=2
	s_mov_b32 s20, exec_lo
                                        ; implicit-def: $sgpr19
	v_cmpx_ne_u32_e64 s17, v15
	s_xor_b32 s20, exec_lo, s20
; %bb.82:                               ;   in Loop: Header=BB211_80 Depth=2
	v_add_nc_u32_e32 v9, 1, v14
	s_mov_b32 s19, -1
	s_delay_alu instid0(VALU_DEP_1)
	v_and_b32_e32 v14, 0x7f, v9
                                        ; implicit-def: $vgpr9
; %bb.83:                               ;   in Loop: Header=BB211_80 Depth=2
	s_and_not1_saveexec_b32 s20, s20
	s_cbranch_execz .LBB211_87
; %bb.84:                               ;   in Loop: Header=BB211_80 Depth=2
	v_mov_b32_e32 v15, s17
	s_mov_b32 s22, -1
	s_mov_b32 s21, exec_lo
	ds_cmpstore_rtn_b32 v15, v9, v10, v15
	s_waitcnt lgkmcnt(0)
	v_cmpx_eq_u32_e64 s17, v15
	s_cbranch_execz .LBB211_86
; %bb.85:                               ;   in Loop: Header=BB211_80 Depth=2
	v_mad_u64_u32 v[17:18], null, v14, 28, v[9:10]
	s_xor_b32 s22, exec_lo, -1
	ds_add_f32 v17, v12 offset:512
	ds_add_f32 v17, v13 offset:516
.LBB211_86:                             ;   in Loop: Header=BB211_80 Depth=2
	s_or_b32 exec_lo, exec_lo, s21
	s_delay_alu instid0(SALU_CYCLE_1) | instskip(SKIP_1) | instid1(SALU_CYCLE_1)
	s_and_not1_b32 s19, s19, exec_lo
	s_and_b32 s21, s22, exec_lo
	s_or_b32 s19, s19, s21
.LBB211_87:                             ;   in Loop: Header=BB211_80 Depth=2
	s_or_b32 exec_lo, exec_lo, s20
	s_delay_alu instid0(SALU_CYCLE_1)
	s_and_b32 s19, s19, exec_lo
                                        ; implicit-def: $vgpr9
.LBB211_88:                             ;   in Loop: Header=BB211_80 Depth=2
	s_and_not1_saveexec_b32 s18, s18
	s_cbranch_execz .LBB211_79
; %bb.89:                               ;   in Loop: Header=BB211_80 Depth=2
	v_mad_u64_u32 v[17:18], null, v14, 28, v[9:10]
	s_and_not1_b32 s19, s19, exec_lo
	ds_add_f32 v17, v12 offset:512
	ds_add_f32 v17, v13 offset:516
	s_branch .LBB211_79
.LBB211_90:                             ;   in Loop: Header=BB211_78 Depth=1
	s_or_b32 exec_lo, exec_lo, s15
	s_waitcnt vmcnt(1)
	v_mul_f32_e64 v9, v8, -s42
	v_mul_f32_e32 v8, s33, v8
	v_mov_b32_e32 v12, v11
	s_mov_b32 s15, 0
	s_delay_alu instid0(VALU_DEP_3) | instskip(NEXT) | instid1(VALU_DEP_3)
	v_fmac_f32_e32 v9, s33, v7
	v_fmac_f32_e32 v8, s42, v7
	s_branch .LBB211_92
.LBB211_91:                             ;   in Loop: Header=BB211_92 Depth=2
	s_or_b32 exec_lo, exec_lo, s18
	s_xor_b32 s18, s19, -1
	s_delay_alu instid0(SALU_CYCLE_1) | instskip(NEXT) | instid1(SALU_CYCLE_1)
	s_and_b32 s18, exec_lo, s18
	s_or_b32 s15, s18, s15
	s_delay_alu instid0(SALU_CYCLE_1)
	s_and_not1_b32 exec_lo, exec_lo, s15
	s_cbranch_execz .LBB211_102
.LBB211_92:                             ;   Parent Loop BB211_78 Depth=1
                                        ; =>  This Inner Loop Header: Depth=2
	v_lshl_add_u32 v7, v12, 2, 0
	s_mov_b32 s18, exec_lo
                                        ; implicit-def: $sgpr19
	ds_load_b32 v13, v7
	s_waitcnt lgkmcnt(0)
	v_cmpx_ne_u32_e64 v13, v10
	s_xor_b32 s18, exec_lo, s18
	s_cbranch_execz .LBB211_100
; %bb.93:                               ;   in Loop: Header=BB211_92 Depth=2
	s_mov_b32 s20, exec_lo
                                        ; implicit-def: $sgpr19
	v_cmpx_ne_u32_e64 s17, v13
	s_xor_b32 s20, exec_lo, s20
; %bb.94:                               ;   in Loop: Header=BB211_92 Depth=2
	v_add_nc_u32_e32 v7, 1, v12
	s_mov_b32 s19, -1
	s_delay_alu instid0(VALU_DEP_1)
	v_and_b32_e32 v12, 0x7f, v7
                                        ; implicit-def: $vgpr7
; %bb.95:                               ;   in Loop: Header=BB211_92 Depth=2
	s_and_not1_saveexec_b32 s20, s20
	s_cbranch_execz .LBB211_99
; %bb.96:                               ;   in Loop: Header=BB211_92 Depth=2
	v_mov_b32_e32 v13, s17
	s_mov_b32 s22, -1
	s_mov_b32 s21, exec_lo
	ds_cmpstore_rtn_b32 v13, v7, v10, v13
	s_waitcnt lgkmcnt(0)
	v_cmpx_eq_u32_e64 s17, v13
	s_cbranch_execz .LBB211_98
; %bb.97:                               ;   in Loop: Header=BB211_92 Depth=2
	v_mad_u64_u32 v[13:14], null, v12, 28, v[7:8]
	s_xor_b32 s22, exec_lo, -1
	ds_add_f32 v13, v9 offset:520
	ds_add_f32 v13, v8 offset:524
.LBB211_98:                             ;   in Loop: Header=BB211_92 Depth=2
	s_or_b32 exec_lo, exec_lo, s21
	s_delay_alu instid0(SALU_CYCLE_1) | instskip(SKIP_1) | instid1(SALU_CYCLE_1)
	s_and_not1_b32 s19, s19, exec_lo
	s_and_b32 s21, s22, exec_lo
	s_or_b32 s19, s19, s21
.LBB211_99:                             ;   in Loop: Header=BB211_92 Depth=2
	s_or_b32 exec_lo, exec_lo, s20
	s_delay_alu instid0(SALU_CYCLE_1)
	s_and_b32 s19, s19, exec_lo
                                        ; implicit-def: $vgpr7
.LBB211_100:                            ;   in Loop: Header=BB211_92 Depth=2
	s_and_not1_saveexec_b32 s18, s18
	s_cbranch_execz .LBB211_91
; %bb.101:                              ;   in Loop: Header=BB211_92 Depth=2
	v_mad_u64_u32 v[13:14], null, v12, 28, v[7:8]
	s_and_not1_b32 s19, s19, exec_lo
	ds_add_f32 v13, v9 offset:520
	ds_add_f32 v13, v8 offset:524
	s_branch .LBB211_91
.LBB211_102:                            ;   in Loop: Header=BB211_78 Depth=1
	s_or_b32 exec_lo, exec_lo, s15
	s_waitcnt vmcnt(0)
	v_mul_f32_e64 v7, v6, -s42
	v_mul_f32_e32 v6, s33, v6
	v_mov_b32_e32 v8, v11
	s_mov_b32 s15, 0
	s_delay_alu instid0(VALU_DEP_3) | instskip(NEXT) | instid1(VALU_DEP_3)
	v_fmac_f32_e32 v7, s33, v5
	v_fmac_f32_e32 v6, s42, v5
	s_branch .LBB211_104
.LBB211_103:                            ;   in Loop: Header=BB211_104 Depth=2
	s_or_b32 exec_lo, exec_lo, s18
	s_xor_b32 s18, s19, -1
	s_delay_alu instid0(SALU_CYCLE_1) | instskip(NEXT) | instid1(SALU_CYCLE_1)
	s_and_b32 s18, exec_lo, s18
	s_or_b32 s15, s18, s15
	s_delay_alu instid0(SALU_CYCLE_1)
	s_and_not1_b32 exec_lo, exec_lo, s15
	s_cbranch_execz .LBB211_114
.LBB211_104:                            ;   Parent Loop BB211_78 Depth=1
                                        ; =>  This Inner Loop Header: Depth=2
	v_lshl_add_u32 v5, v8, 2, 0
	s_mov_b32 s18, exec_lo
                                        ; implicit-def: $sgpr19
	ds_load_b32 v9, v5
	s_waitcnt lgkmcnt(0)
	v_cmpx_ne_u32_e64 v9, v10
	s_xor_b32 s18, exec_lo, s18
	s_cbranch_execz .LBB211_112
; %bb.105:                              ;   in Loop: Header=BB211_104 Depth=2
	s_mov_b32 s20, exec_lo
                                        ; implicit-def: $sgpr19
	v_cmpx_ne_u32_e64 s17, v9
	s_xor_b32 s20, exec_lo, s20
; %bb.106:                              ;   in Loop: Header=BB211_104 Depth=2
	v_add_nc_u32_e32 v5, 1, v8
	s_mov_b32 s19, -1
	s_delay_alu instid0(VALU_DEP_1)
	v_and_b32_e32 v8, 0x7f, v5
                                        ; implicit-def: $vgpr5
; %bb.107:                              ;   in Loop: Header=BB211_104 Depth=2
	s_and_not1_saveexec_b32 s20, s20
	s_cbranch_execz .LBB211_111
; %bb.108:                              ;   in Loop: Header=BB211_104 Depth=2
	v_mov_b32_e32 v9, s17
	s_mov_b32 s22, -1
	s_mov_b32 s21, exec_lo
	ds_cmpstore_rtn_b32 v9, v5, v10, v9
	s_waitcnt lgkmcnt(0)
	v_cmpx_eq_u32_e64 s17, v9
	s_cbranch_execz .LBB211_110
; %bb.109:                              ;   in Loop: Header=BB211_104 Depth=2
	v_mad_u64_u32 v[12:13], null, v8, 28, v[5:6]
	s_xor_b32 s22, exec_lo, -1
	ds_add_f32 v12, v7 offset:528
	ds_add_f32 v12, v6 offset:532
.LBB211_110:                            ;   in Loop: Header=BB211_104 Depth=2
	s_or_b32 exec_lo, exec_lo, s21
	s_delay_alu instid0(SALU_CYCLE_1) | instskip(SKIP_1) | instid1(SALU_CYCLE_1)
	s_and_not1_b32 s19, s19, exec_lo
	s_and_b32 s21, s22, exec_lo
	s_or_b32 s19, s19, s21
.LBB211_111:                            ;   in Loop: Header=BB211_104 Depth=2
	s_or_b32 exec_lo, exec_lo, s20
	s_delay_alu instid0(SALU_CYCLE_1)
	s_and_b32 s19, s19, exec_lo
                                        ; implicit-def: $vgpr5
.LBB211_112:                            ;   in Loop: Header=BB211_104 Depth=2
	s_and_not1_saveexec_b32 s18, s18
	s_cbranch_execz .LBB211_103
; %bb.113:                              ;   in Loop: Header=BB211_104 Depth=2
	v_mad_u64_u32 v[12:13], null, v8, 28, v[5:6]
	s_and_not1_b32 s19, s19, exec_lo
	ds_add_f32 v12, v7 offset:528
	ds_add_f32 v12, v6 offset:532
	s_branch .LBB211_103
.LBB211_114:                            ;   in Loop: Header=BB211_78 Depth=1
	s_or_b32 exec_lo, exec_lo, s15
	v_mul_f32_e64 v5, v4, -s42
	v_mul_f32_e32 v4, s33, v4
	s_mov_b32 s15, 0
	s_delay_alu instid0(VALU_DEP_2) | instskip(NEXT) | instid1(VALU_DEP_2)
	v_fmac_f32_e32 v5, s33, v3
	v_fmac_f32_e32 v4, s42, v3
	s_branch .LBB211_116
.LBB211_115:                            ;   in Loop: Header=BB211_116 Depth=2
	s_or_b32 exec_lo, exec_lo, s18
	s_xor_b32 s18, s19, -1
	s_delay_alu instid0(SALU_CYCLE_1) | instskip(NEXT) | instid1(SALU_CYCLE_1)
	s_and_b32 s18, exec_lo, s18
	s_or_b32 s15, s18, s15
	s_delay_alu instid0(SALU_CYCLE_1)
	s_and_not1_b32 exec_lo, exec_lo, s15
	s_cbranch_execz .LBB211_77
.LBB211_116:                            ;   Parent Loop BB211_78 Depth=1
                                        ; =>  This Inner Loop Header: Depth=2
	v_lshl_add_u32 v3, v11, 2, 0
	s_mov_b32 s18, exec_lo
                                        ; implicit-def: $sgpr19
	ds_load_b32 v6, v3
	s_waitcnt lgkmcnt(0)
	v_cmpx_ne_u32_e64 v6, v10
	s_xor_b32 s18, exec_lo, s18
	s_cbranch_execz .LBB211_124
; %bb.117:                              ;   in Loop: Header=BB211_116 Depth=2
	s_mov_b32 s20, exec_lo
                                        ; implicit-def: $sgpr19
	v_cmpx_ne_u32_e64 s17, v6
	s_xor_b32 s20, exec_lo, s20
; %bb.118:                              ;   in Loop: Header=BB211_116 Depth=2
	v_add_nc_u32_e32 v3, 1, v11
	s_mov_b32 s19, -1
	s_delay_alu instid0(VALU_DEP_1)
	v_and_b32_e32 v11, 0x7f, v3
                                        ; implicit-def: $vgpr3
; %bb.119:                              ;   in Loop: Header=BB211_116 Depth=2
	s_and_not1_saveexec_b32 s20, s20
	s_cbranch_execz .LBB211_123
; %bb.120:                              ;   in Loop: Header=BB211_116 Depth=2
	v_mov_b32_e32 v6, s17
	s_mov_b32 s22, -1
	s_mov_b32 s21, exec_lo
	ds_cmpstore_rtn_b32 v6, v3, v10, v6
	s_waitcnt lgkmcnt(0)
	v_cmpx_eq_u32_e64 s17, v6
	s_cbranch_execz .LBB211_122
; %bb.121:                              ;   in Loop: Header=BB211_116 Depth=2
	v_mad_u64_u32 v[6:7], null, v11, 28, v[3:4]
	s_xor_b32 s22, exec_lo, -1
	ds_add_f32 v6, v5 offset:536
	ds_add_f32 v6, v4 offset:540
.LBB211_122:                            ;   in Loop: Header=BB211_116 Depth=2
	s_or_b32 exec_lo, exec_lo, s21
	s_delay_alu instid0(SALU_CYCLE_1) | instskip(SKIP_1) | instid1(SALU_CYCLE_1)
	s_and_not1_b32 s19, s19, exec_lo
	s_and_b32 s21, s22, exec_lo
	s_or_b32 s19, s19, s21
.LBB211_123:                            ;   in Loop: Header=BB211_116 Depth=2
	s_or_b32 exec_lo, exec_lo, s20
	s_delay_alu instid0(SALU_CYCLE_1)
	s_and_b32 s19, s19, exec_lo
                                        ; implicit-def: $vgpr3
.LBB211_124:                            ;   in Loop: Header=BB211_116 Depth=2
	s_and_not1_saveexec_b32 s18, s18
	s_cbranch_execz .LBB211_115
; %bb.125:                              ;   in Loop: Header=BB211_116 Depth=2
	v_mad_u64_u32 v[6:7], null, v11, 28, v[3:4]
	s_and_not1_b32 s19, s19, exec_lo
	ds_add_f32 v6, v5 offset:536
	ds_add_f32 v6, v4 offset:540
	s_branch .LBB211_115
.LBB211_126:
	s_or_b32 exec_lo, exec_lo, s3
.LBB211_127:
	s_waitcnt lgkmcnt(0)
	s_barrier
	buffer_gl0_inv
	s_and_saveexec_b32 s0, s2
	s_cbranch_execz .LBB211_132
; %bb.128:
	ds_load_b32 v3, v16
	s_mov_b32 s1, 0
	s_waitcnt lgkmcnt(0)
	v_cmp_gt_i32_e32 vcc_lo, s17, v3
	s_and_b32 exec_lo, exec_lo, vcc_lo
	s_cbranch_execz .LBB211_132
; %bb.129:
	s_lshl_b64 s[2:3], s[40:41], 3
	s_delay_alu instid0(SALU_CYCLE_1)
	s_add_u32 s2, s8, s2
	s_addc_u32 s3, s9, s3
	s_load_b64 s[2:3], s[2:3], 0x0
	s_waitcnt lgkmcnt(0)
	s_sub_u32 s2, s2, s30
	s_subb_u32 s3, s3, 0
	s_delay_alu instid0(SALU_CYCLE_1)
	v_dual_mov_b32 v1, s2 :: v_dual_mov_b32 v2, s3
.LBB211_130:                            ; =>This Inner Loop Header: Depth=1
	s_add_i32 s0, s1, 0
	s_add_i32 s1, s1, 64
	v_mov_b32_e32 v18, s0
	s_cmpk_lg_i32 s1, 0x200
	ds_load_2addr_b32 v[4:5], v18 offset1:1
	ds_load_2addr_b32 v[6:7], v18 offset0:2 offset1:3
	ds_load_2addr_b32 v[8:9], v18 offset0:4 offset1:5
	;; [unrolled: 1-line block ×7, first 2 shown]
	s_waitcnt lgkmcnt(7)
	v_cmp_gt_i32_e32 vcc_lo, v3, v4
	v_cndmask_b32_e64 v4, 0, 1, vcc_lo
	v_cmp_gt_i32_e32 vcc_lo, v3, v5
	v_cndmask_b32_e64 v5, 0, 1, vcc_lo
	s_waitcnt lgkmcnt(6)
	v_cmp_gt_i32_e32 vcc_lo, v3, v6
	v_cndmask_b32_e64 v6, 0, 1, vcc_lo
	v_cmp_gt_i32_e32 vcc_lo, v3, v7
	v_cndmask_b32_e64 v7, 0, 1, vcc_lo
	;; [unrolled: 5-line block ×4, first 2 shown]
	s_waitcnt lgkmcnt(3)
	v_cmp_gt_i32_e32 vcc_lo, v3, v12
	v_cndmask_b32_e64 v12, 0, 1, vcc_lo
	v_add_co_u32 v1, vcc_lo, v1, v4
	v_add_co_ci_u32_e32 v2, vcc_lo, 0, v2, vcc_lo
	v_cmp_gt_i32_e32 vcc_lo, v3, v13
	s_delay_alu instid0(VALU_DEP_3) | instskip(NEXT) | instid1(VALU_DEP_1)
	v_add_co_u32 v1, s0, v1, v5
	v_add_co_ci_u32_e64 v2, s0, 0, v2, s0
	v_cndmask_b32_e64 v4, 0, 1, vcc_lo
	s_delay_alu instid0(VALU_DEP_3) | instskip(NEXT) | instid1(VALU_DEP_3)
	v_add_co_u32 v1, vcc_lo, v1, v6
	v_add_co_ci_u32_e32 v2, vcc_lo, 0, v2, vcc_lo
	s_waitcnt lgkmcnt(2)
	v_cmp_gt_i32_e32 vcc_lo, v3, v14
	s_delay_alu instid0(VALU_DEP_3) | instskip(NEXT) | instid1(VALU_DEP_1)
	v_add_co_u32 v1, s0, v1, v7
	v_add_co_ci_u32_e64 v2, s0, 0, v2, s0
	v_cndmask_b32_e64 v5, 0, 1, vcc_lo
	s_delay_alu instid0(VALU_DEP_3) | instskip(NEXT) | instid1(VALU_DEP_3)
	v_add_co_u32 v1, vcc_lo, v1, v8
	v_add_co_ci_u32_e32 v2, vcc_lo, 0, v2, vcc_lo
	v_cmp_gt_i32_e32 vcc_lo, v3, v15
	s_delay_alu instid0(VALU_DEP_3) | instskip(NEXT) | instid1(VALU_DEP_1)
	v_add_co_u32 v1, s0, v1, v9
	v_add_co_ci_u32_e64 v2, s0, 0, v2, s0
	v_cndmask_b32_e64 v6, 0, 1, vcc_lo
	s_delay_alu instid0(VALU_DEP_3) | instskip(NEXT) | instid1(VALU_DEP_3)
	v_add_co_u32 v1, vcc_lo, v1, v10
	v_add_co_ci_u32_e32 v2, vcc_lo, 0, v2, vcc_lo
	s_waitcnt lgkmcnt(1)
	v_cmp_gt_i32_e32 vcc_lo, v3, v16
	s_delay_alu instid0(VALU_DEP_3) | instskip(NEXT) | instid1(VALU_DEP_1)
	v_add_co_u32 v1, s0, v1, v11
	v_add_co_ci_u32_e64 v2, s0, 0, v2, s0
	v_cndmask_b32_e64 v7, 0, 1, vcc_lo
	s_delay_alu instid0(VALU_DEP_3) | instskip(NEXT) | instid1(VALU_DEP_3)
	;; [unrolled: 17-line block ×3, first 2 shown]
	v_add_co_u32 v1, vcc_lo, v1, v7
	v_add_co_ci_u32_e32 v2, vcc_lo, 0, v2, vcc_lo
	v_cmp_gt_i32_e32 vcc_lo, v3, v19
	s_delay_alu instid0(VALU_DEP_3) | instskip(NEXT) | instid1(VALU_DEP_1)
	v_add_co_u32 v1, s0, v1, v4
	v_add_co_ci_u32_e64 v2, s0, 0, v2, s0
	v_cndmask_b32_e64 v4, 0, 1, vcc_lo
	s_delay_alu instid0(VALU_DEP_3) | instskip(NEXT) | instid1(VALU_DEP_3)
	v_add_co_u32 v1, vcc_lo, v1, v5
	v_add_co_ci_u32_e32 v2, vcc_lo, 0, v2, vcc_lo
	s_delay_alu instid0(VALU_DEP_2) | instskip(NEXT) | instid1(VALU_DEP_2)
	v_add_co_u32 v1, vcc_lo, v1, v4
	v_add_co_ci_u32_e32 v2, vcc_lo, 0, v2, vcc_lo
	s_cbranch_scc1 .LBB211_130
; %bb.131:
	v_lshlrev_b32_e32 v4, 2, v0
	s_cmp_eq_u32 s16, 0
	v_lshlrev_b32_e32 v0, 5, v0
	s_cselect_b32 s0, 2, 1
	s_cselect_b32 s1, 1, 2
	v_or_b32_e32 v5, s0, v4
	v_or_b32_e32 v4, s1, v4
	v_add_nc_u32_e32 v6, 0, v0
	v_add3_u32 v0, 0, 0x200, v0
	v_lshlrev_b64 v[12:13], 2, v[1:2]
	v_lshl_add_u32 v7, v5, 3, 0
	v_lshl_add_u32 v10, v4, 3, 0
	v_add_nc_u32_e32 v14, s30, v3
	ds_load_2addr_b32 v[4:5], v6 offset0:128 offset1:129
	ds_load_2addr_b32 v[8:9], v7 offset0:128 offset1:129
	;; [unrolled: 1-line block ×4, first 2 shown]
	v_lshlrev_b64 v[0:1], 5, v[1:2]
	v_add_co_u32 v2, vcc_lo, s10, v12
	v_add_co_ci_u32_e32 v3, vcc_lo, s11, v13, vcc_lo
	s_delay_alu instid0(VALU_DEP_3) | instskip(NEXT) | instid1(VALU_DEP_4)
	v_add_co_u32 v0, vcc_lo, s34, v0
	v_add_co_ci_u32_e32 v1, vcc_lo, s35, v1, vcc_lo
	global_store_b32 v[2:3], v14, off
	s_waitcnt lgkmcnt(1)
	global_store_b128 v[0:1], v[4:7], off
	s_waitcnt lgkmcnt(0)
	global_store_b128 v[0:1], v[8:11], off offset:16
.LBB211_132:
	s_nop 0
	s_sendmsg sendmsg(MSG_DEALLOC_VGPRS)
	s_endpgm
	.section	.rodata,"a",@progbits
	.p2align	6, 0x0
	.amdhsa_kernel _ZN9rocsparseL30bsrgemm_fill_block_per_row_2x2ILj256ELj16ELj128ELj137Eli21rocsparse_complex_numIfEEEv20rocsparse_direction_T4_S4_PKS4_S6_NS_24const_host_device_scalarIT5_EEPKT3_S6_PKS8_SC_S6_SE_S9_SC_S6_SE_SC_PS4_PS8_21rocsparse_index_base_SH_SH_SH_bbb
		.amdhsa_group_segment_fixed_size 0
		.amdhsa_private_segment_fixed_size 0
		.amdhsa_kernarg_size 164
		.amdhsa_user_sgpr_count 15
		.amdhsa_user_sgpr_dispatch_ptr 0
		.amdhsa_user_sgpr_queue_ptr 0
		.amdhsa_user_sgpr_kernarg_segment_ptr 1
		.amdhsa_user_sgpr_dispatch_id 0
		.amdhsa_user_sgpr_private_segment_size 0
		.amdhsa_wavefront_size32 1
		.amdhsa_uses_dynamic_stack 0
		.amdhsa_enable_private_segment 0
		.amdhsa_system_sgpr_workgroup_id_x 1
		.amdhsa_system_sgpr_workgroup_id_y 0
		.amdhsa_system_sgpr_workgroup_id_z 0
		.amdhsa_system_sgpr_workgroup_info 0
		.amdhsa_system_vgpr_workitem_id 0
		.amdhsa_next_free_vgpr 34
		.amdhsa_next_free_sgpr 52
		.amdhsa_reserve_vcc 1
		.amdhsa_float_round_mode_32 0
		.amdhsa_float_round_mode_16_64 0
		.amdhsa_float_denorm_mode_32 3
		.amdhsa_float_denorm_mode_16_64 3
		.amdhsa_dx10_clamp 1
		.amdhsa_ieee_mode 1
		.amdhsa_fp16_overflow 0
		.amdhsa_workgroup_processor_mode 1
		.amdhsa_memory_ordered 1
		.amdhsa_forward_progress 0
		.amdhsa_shared_vgpr_count 0
		.amdhsa_exception_fp_ieee_invalid_op 0
		.amdhsa_exception_fp_denorm_src 0
		.amdhsa_exception_fp_ieee_div_zero 0
		.amdhsa_exception_fp_ieee_overflow 0
		.amdhsa_exception_fp_ieee_underflow 0
		.amdhsa_exception_fp_ieee_inexact 0
		.amdhsa_exception_int_div_zero 0
	.end_amdhsa_kernel
	.section	.text._ZN9rocsparseL30bsrgemm_fill_block_per_row_2x2ILj256ELj16ELj128ELj137Eli21rocsparse_complex_numIfEEEv20rocsparse_direction_T4_S4_PKS4_S6_NS_24const_host_device_scalarIT5_EEPKT3_S6_PKS8_SC_S6_SE_S9_SC_S6_SE_SC_PS4_PS8_21rocsparse_index_base_SH_SH_SH_bbb,"axG",@progbits,_ZN9rocsparseL30bsrgemm_fill_block_per_row_2x2ILj256ELj16ELj128ELj137Eli21rocsparse_complex_numIfEEEv20rocsparse_direction_T4_S4_PKS4_S6_NS_24const_host_device_scalarIT5_EEPKT3_S6_PKS8_SC_S6_SE_S9_SC_S6_SE_SC_PS4_PS8_21rocsparse_index_base_SH_SH_SH_bbb,comdat
.Lfunc_end211:
	.size	_ZN9rocsparseL30bsrgemm_fill_block_per_row_2x2ILj256ELj16ELj128ELj137Eli21rocsparse_complex_numIfEEEv20rocsparse_direction_T4_S4_PKS4_S6_NS_24const_host_device_scalarIT5_EEPKT3_S6_PKS8_SC_S6_SE_S9_SC_S6_SE_SC_PS4_PS8_21rocsparse_index_base_SH_SH_SH_bbb, .Lfunc_end211-_ZN9rocsparseL30bsrgemm_fill_block_per_row_2x2ILj256ELj16ELj128ELj137Eli21rocsparse_complex_numIfEEEv20rocsparse_direction_T4_S4_PKS4_S6_NS_24const_host_device_scalarIT5_EEPKT3_S6_PKS8_SC_S6_SE_S9_SC_S6_SE_SC_PS4_PS8_21rocsparse_index_base_SH_SH_SH_bbb
                                        ; -- End function
	.section	.AMDGPU.csdata,"",@progbits
; Kernel info:
; codeLenInByte = 4956
; NumSgprs: 54
; NumVgprs: 34
; ScratchSize: 0
; MemoryBound: 0
; FloatMode: 240
; IeeeMode: 1
; LDSByteSize: 0 bytes/workgroup (compile time only)
; SGPRBlocks: 6
; VGPRBlocks: 4
; NumSGPRsForWavesPerEU: 54
; NumVGPRsForWavesPerEU: 34
; Occupancy: 16
; WaveLimiterHint : 1
; COMPUTE_PGM_RSRC2:SCRATCH_EN: 0
; COMPUTE_PGM_RSRC2:USER_SGPR: 15
; COMPUTE_PGM_RSRC2:TRAP_HANDLER: 0
; COMPUTE_PGM_RSRC2:TGID_X_EN: 1
; COMPUTE_PGM_RSRC2:TGID_Y_EN: 0
; COMPUTE_PGM_RSRC2:TGID_Z_EN: 0
; COMPUTE_PGM_RSRC2:TIDIG_COMP_CNT: 0
	.section	.text._ZN9rocsparseL30bsrgemm_fill_block_per_row_2x2ILj256ELj16ELj256ELj137Eli21rocsparse_complex_numIfEEEv20rocsparse_direction_T4_S4_PKS4_S6_NS_24const_host_device_scalarIT5_EEPKT3_S6_PKS8_SC_S6_SE_S9_SC_S6_SE_SC_PS4_PS8_21rocsparse_index_base_SH_SH_SH_bbb,"axG",@progbits,_ZN9rocsparseL30bsrgemm_fill_block_per_row_2x2ILj256ELj16ELj256ELj137Eli21rocsparse_complex_numIfEEEv20rocsparse_direction_T4_S4_PKS4_S6_NS_24const_host_device_scalarIT5_EEPKT3_S6_PKS8_SC_S6_SE_S9_SC_S6_SE_SC_PS4_PS8_21rocsparse_index_base_SH_SH_SH_bbb,comdat
	.globl	_ZN9rocsparseL30bsrgemm_fill_block_per_row_2x2ILj256ELj16ELj256ELj137Eli21rocsparse_complex_numIfEEEv20rocsparse_direction_T4_S4_PKS4_S6_NS_24const_host_device_scalarIT5_EEPKT3_S6_PKS8_SC_S6_SE_S9_SC_S6_SE_SC_PS4_PS8_21rocsparse_index_base_SH_SH_SH_bbb ; -- Begin function _ZN9rocsparseL30bsrgemm_fill_block_per_row_2x2ILj256ELj16ELj256ELj137Eli21rocsparse_complex_numIfEEEv20rocsparse_direction_T4_S4_PKS4_S6_NS_24const_host_device_scalarIT5_EEPKT3_S6_PKS8_SC_S6_SE_S9_SC_S6_SE_SC_PS4_PS8_21rocsparse_index_base_SH_SH_SH_bbb
	.p2align	8
	.type	_ZN9rocsparseL30bsrgemm_fill_block_per_row_2x2ILj256ELj16ELj256ELj137Eli21rocsparse_complex_numIfEEEv20rocsparse_direction_T4_S4_PKS4_S6_NS_24const_host_device_scalarIT5_EEPKT3_S6_PKS8_SC_S6_SE_S9_SC_S6_SE_SC_PS4_PS8_21rocsparse_index_base_SH_SH_SH_bbb,@function
_ZN9rocsparseL30bsrgemm_fill_block_per_row_2x2ILj256ELj16ELj256ELj137Eli21rocsparse_complex_numIfEEEv20rocsparse_direction_T4_S4_PKS4_S6_NS_24const_host_device_scalarIT5_EEPKT3_S6_PKS8_SC_S6_SE_S9_SC_S6_SE_SC_PS4_PS8_21rocsparse_index_base_SH_SH_SH_bbb: ; @_ZN9rocsparseL30bsrgemm_fill_block_per_row_2x2ILj256ELj16ELj256ELj137Eli21rocsparse_complex_numIfEEEv20rocsparse_direction_T4_S4_PKS4_S6_NS_24const_host_device_scalarIT5_EEPKT3_S6_PKS8_SC_S6_SE_S9_SC_S6_SE_SC_PS4_PS8_21rocsparse_index_base_SH_SH_SH_bbb
; %bb.0:
	s_mov_b32 s40, s15
	s_clause 0x6
	s_load_b32 s33, s[0:1], 0xa0
	s_load_b256 s[4:11], s[0:1], 0x68
	s_load_b256 s[12:19], s[0:1], 0x48
	s_load_b128 s[36:39], s[0:1], 0x10
	s_load_b256 s[20:27], s[0:1], 0x28
	s_load_b64 s[34:35], s[0:1], 0x88
	s_load_b128 s[28:31], s[0:1], 0x90
	s_mov_b32 s3, 0
	s_mov_b32 s43, 0
	s_waitcnt lgkmcnt(0)
	s_bitcmp1_b32 s33, 0
	s_cselect_b32 s41, -1, 0
	s_bitcmp1_b32 s33, 16
	s_cselect_b32 s2, -1, 0
	s_delay_alu instid0(SALU_CYCLE_1) | instskip(SKIP_2) | instid1(VALU_DEP_1)
	s_xor_b32 s42, s2, -1
	s_bitcmp0_b32 s33, 0
	v_cndmask_b32_e64 v1, 0, 1, s42
	v_cmp_ne_u32_e32 vcc_lo, 1, v1
	s_cbranch_scc1 .LBB212_5
; %bb.1:
	s_load_b64 s[2:3], s[0:1], 0x20
	s_and_b32 vcc_lo, exec_lo, vcc_lo
	s_waitcnt lgkmcnt(0)
	s_mov_b32 s43, s2
	s_cbranch_vccnz .LBB212_3
; %bb.2:
	s_load_b32 s43, s[2:3], 0x0
.LBB212_3:
	s_and_not1_b32 vcc_lo, exec_lo, s42
	s_cbranch_vccnz .LBB212_5
; %bb.4:
	s_load_b32 s3, s[2:3], 0x4
.LBB212_5:
	s_bitcmp1_b32 s33, 8
	s_mov_b32 s42, 0
	s_cselect_b32 s44, -1, 0
	s_bfe_u32 s2, s33, 0x10008
	s_mov_b32 s33, 0
	s_cmp_eq_u32 s2, 0
	s_cbranch_scc1 .LBB212_11
; %bb.6:
	v_cmp_ne_u32_e32 vcc_lo, 1, v1
	s_mov_b32 s33, s16
	s_cbranch_vccnz .LBB212_8
; %bb.7:
	s_load_b32 s33, s[16:17], 0x0
.LBB212_8:
	v_cmp_ne_u32_e32 vcc_lo, 1, v1
	s_cbranch_vccnz .LBB212_10
; %bb.9:
	s_load_b32 s17, s[16:17], 0x4
.LBB212_10:
	s_waitcnt lgkmcnt(0)
	s_mov_b32 s42, s17
.LBB212_11:
	s_load_b32 s17, s[0:1], 0x8
	v_cmp_gt_u32_e64 s2, 0x100, v0
	v_lshl_add_u32 v16, v0, 2, 0
	s_delay_alu instid0(VALU_DEP_2)
	s_and_saveexec_b32 s16, s2
	s_cbranch_execz .LBB212_13
; %bb.12:
	s_waitcnt lgkmcnt(0)
	v_mov_b32_e32 v1, s17
	ds_store_b32 v16, v1
.LBB212_13:
	s_or_b32 exec_lo, exec_lo, s16
	v_dual_mov_b32 v3, 0 :: v_dual_lshlrev_b32 v2, 3, v0
	v_or_b32_e32 v1, 0xffffff00, v0
	s_mov_b32 s16, 0
	s_delay_alu instid0(VALU_DEP_2)
	v_add3_u32 v2, v2, 0, 0x400
.LBB212_14:                             ; =>This Inner Loop Header: Depth=1
	s_delay_alu instid0(VALU_DEP_2) | instskip(SKIP_4) | instid1(SALU_CYCLE_1)
	v_add_nc_u32_e32 v1, 0x100, v1
	ds_store_2addr_b32 v2, v3, v3 offset1:1
	v_add_nc_u32_e32 v2, 0x800, v2
	v_cmp_lt_u32_e32 vcc_lo, 0x2ff, v1
	s_or_b32 s16, vcc_lo, s16
	s_and_not1_b32 exec_lo, exec_lo, s16
	s_cbranch_execnz .LBB212_14
; %bb.15:
	s_or_b32 exec_lo, exec_lo, s16
	s_cmp_lg_u64 s[38:39], 0
	s_waitcnt lgkmcnt(0)
	s_barrier
	buffer_gl0_inv
	s_cbranch_scc0 .LBB212_17
; %bb.16:
	s_load_b32 s16, s[36:37], 0x0
	s_mov_b32 s37, 0
	s_waitcnt lgkmcnt(0)
	s_add_i32 s36, s16, s40
	s_delay_alu instid0(SALU_CYCLE_1) | instskip(NEXT) | instid1(SALU_CYCLE_1)
	s_lshl_b64 s[36:37], s[36:37], 2
	s_add_u32 s36, s38, s36
	s_addc_u32 s37, s39, s37
	s_load_b32 s40, s[36:37], 0x0
.LBB212_17:
	s_load_b32 s16, s[0:1], 0x0
	s_and_not1_b32 vcc_lo, exec_lo, s41
	s_waitcnt lgkmcnt(0)
	s_ashr_i32 s41, s40, 31
	s_cbranch_vccnz .LBB212_73
; %bb.18:
	s_lshl_b64 s[0:1], s[40:41], 3
	v_lshrrev_b32_e32 v1, 4, v0
	s_add_u32 s0, s20, s0
	s_addc_u32 s1, s21, s1
	s_mov_b32 s21, 0
	s_load_b128 s[36:39], s[0:1], 0x0
	v_sub_co_u32 v1, s0, v1, s28
	s_delay_alu instid0(VALU_DEP_1) | instskip(SKIP_2) | instid1(VALU_DEP_2)
	v_sub_co_ci_u32_e64 v2, null, 0, 0, s0
	s_mov_b32 s20, exec_lo
	s_waitcnt lgkmcnt(0)
	v_add_co_u32 v1, vcc_lo, s36, v1
	s_delay_alu instid0(VALU_DEP_2)
	v_add_co_ci_u32_e32 v2, vcc_lo, s37, v2, vcc_lo
	s_sub_u32 s0, s38, s28
	s_subb_u32 s1, s39, 0
	s_delay_alu instid0(VALU_DEP_1) | instid1(SALU_CYCLE_1)
	v_cmpx_gt_i64_e64 s[0:1], v[1:2]
	s_cbranch_execz .LBB212_72
; %bb.19:
	v_and_b32_e32 v3, 15, v0
	s_cmp_eq_u32 s16, 0
	s_cselect_b32 s37, 2, 1
	s_cselect_b32 s38, 1, 2
	s_delay_alu instid0(VALU_DEP_1) | instskip(NEXT) | instid1(VALU_DEP_1)
	v_sub_co_u32 v17, s36, v3, s29
	v_sub_co_ci_u32_e64 v18, null, 0, 0, s36
	s_mov_b32 s36, s29
	s_branch .LBB212_21
.LBB212_20:                             ;   in Loop: Header=BB212_21 Depth=1
	s_or_b32 exec_lo, exec_lo, s39
	v_add_co_u32 v1, vcc_lo, v1, 16
	v_add_co_ci_u32_e32 v2, vcc_lo, 0, v2, vcc_lo
	s_delay_alu instid0(VALU_DEP_1) | instskip(SKIP_1) | instid1(SALU_CYCLE_1)
	v_cmp_le_i64_e32 vcc_lo, s[0:1], v[1:2]
	s_or_b32 s21, vcc_lo, s21
	s_and_not1_b32 exec_lo, exec_lo, s21
	s_cbranch_execz .LBB212_72
.LBB212_21:                             ; =>This Loop Header: Depth=1
                                        ;     Child Loop BB212_24 Depth 2
                                        ;       Child Loop BB212_26 Depth 3
                                        ;       Child Loop BB212_38 Depth 3
	;; [unrolled: 1-line block ×4, first 2 shown]
	v_lshlrev_b64 v[7:8], 2, v[1:2]
	s_mov_b32 s39, exec_lo
	s_delay_alu instid0(VALU_DEP_1) | instskip(NEXT) | instid1(VALU_DEP_2)
	v_add_co_u32 v3, vcc_lo, s22, v7
	v_add_co_ci_u32_e32 v4, vcc_lo, s23, v8, vcc_lo
	global_load_b32 v3, v[3:4], off
	s_waitcnt vmcnt(0)
	v_subrev_nc_u32_e32 v3, s28, v3
	s_delay_alu instid0(VALU_DEP_1) | instskip(NEXT) | instid1(VALU_DEP_1)
	v_ashrrev_i32_e32 v4, 31, v3
	v_lshlrev_b64 v[3:4], 3, v[3:4]
	s_delay_alu instid0(VALU_DEP_1) | instskip(NEXT) | instid1(VALU_DEP_2)
	v_add_co_u32 v3, vcc_lo, s26, v3
	v_add_co_ci_u32_e32 v4, vcc_lo, s27, v4, vcc_lo
	global_load_b128 v[9:12], v[3:4], off
	s_waitcnt vmcnt(0)
	v_sub_co_u32 v3, vcc_lo, v11, s36
	v_subrev_co_ci_u32_e32 v4, vcc_lo, 0, v12, vcc_lo
	v_add_co_u32 v5, vcc_lo, v9, v17
	v_add_co_ci_u32_e32 v6, vcc_lo, v10, v18, vcc_lo
	s_delay_alu instid0(VALU_DEP_1)
	v_cmpx_lt_i64_e64 v[5:6], v[3:4]
	s_cbranch_execz .LBB212_20
; %bb.22:                               ;   in Loop: Header=BB212_21 Depth=1
	v_or_b32_e32 v12, 0, v8
	v_or_b32_e32 v11, s37, v7
	v_lshlrev_b64 v[9:10], 5, v[1:2]
	v_or_b32_e32 v8, 0, v8
	v_or_b32_e32 v7, s38, v7
	s_mov_b32 s45, 0
	v_lshlrev_b64 v[11:12], 3, v[11:12]
	s_delay_alu instid0(VALU_DEP_4) | instskip(NEXT) | instid1(VALU_DEP_3)
	v_add_co_u32 v9, vcc_lo, s24, v9
	v_lshlrev_b64 v[7:8], 3, v[7:8]
	v_add_co_ci_u32_e32 v10, vcc_lo, s25, v10, vcc_lo
	s_delay_alu instid0(VALU_DEP_4) | instskip(SKIP_1) | instid1(VALU_DEP_4)
	v_add_co_u32 v11, vcc_lo, s24, v11
	v_add_co_ci_u32_e32 v12, vcc_lo, s25, v12, vcc_lo
	v_add_co_u32 v7, vcc_lo, s24, v7
	v_add_co_ci_u32_e32 v8, vcc_lo, s25, v8, vcc_lo
	s_clause 0x3
	global_load_b64 v[13:14], v[9:10], off
	global_load_b64 v[11:12], v[11:12], off
	;; [unrolled: 1-line block ×3, first 2 shown]
	global_load_b64 v[9:10], v[9:10], off offset:24
	s_waitcnt vmcnt(3)
	v_mul_f32_e64 v19, v14, -s3
	v_mul_f32_e32 v20, s43, v14
	s_waitcnt vmcnt(2)
	v_mul_f32_e64 v21, v12, -s3
	s_waitcnt vmcnt(0)
	v_dual_mul_f32 v22, s43, v12 :: v_dual_mul_f32 v23, s43, v10
	v_fmac_f32_e32 v19, s43, v13
	v_fmac_f32_e32 v20, s3, v13
	v_mul_f32_e64 v24, v10, -s3
	v_mul_f32_e64 v26, v8, -s3
	v_fmac_f32_e32 v21, s43, v11
	v_dual_mul_f32 v25, s43, v8 :: v_dual_fmac_f32 v22, s3, v11
	s_delay_alu instid0(VALU_DEP_3) | instskip(NEXT) | instid1(VALU_DEP_2)
	v_dual_fmac_f32 v23, s3, v9 :: v_dual_fmac_f32 v26, s43, v7
	v_dual_fmac_f32 v24, s43, v9 :: v_dual_fmac_f32 v25, s3, v7
	s_branch .LBB212_24
.LBB212_23:                             ;   in Loop: Header=BB212_24 Depth=2
	s_or_b32 exec_lo, exec_lo, s46
	v_add_co_u32 v5, vcc_lo, v5, 16
	v_add_co_ci_u32_e32 v6, vcc_lo, 0, v6, vcc_lo
	s_delay_alu instid0(VALU_DEP_1) | instskip(SKIP_1) | instid1(SALU_CYCLE_1)
	v_cmp_ge_i64_e32 vcc_lo, v[5:6], v[3:4]
	s_or_b32 s45, vcc_lo, s45
	s_and_not1_b32 exec_lo, exec_lo, s45
	s_cbranch_execz .LBB212_20
.LBB212_24:                             ;   Parent Loop BB212_21 Depth=1
                                        ; =>  This Loop Header: Depth=2
                                        ;       Child Loop BB212_26 Depth 3
                                        ;       Child Loop BB212_38 Depth 3
	;; [unrolled: 1-line block ×4, first 2 shown]
	v_lshlrev_b64 v[7:8], 2, v[5:6]
	v_lshlrev_b64 v[27:28], 5, v[5:6]
	s_mov_b32 s46, 0
	s_delay_alu instid0(VALU_DEP_2) | instskip(NEXT) | instid1(VALU_DEP_3)
	v_or_b32_e32 v10, 0, v8
	v_or_b32_e32 v9, s37, v7
	v_add_co_u32 v11, vcc_lo, s12, v7
	v_add_co_ci_u32_e32 v12, vcc_lo, s13, v8, vcc_lo
	s_delay_alu instid0(VALU_DEP_3) | instskip(SKIP_2) | instid1(VALU_DEP_3)
	v_lshlrev_b64 v[9:10], 3, v[9:10]
	v_or_b32_e32 v8, 0, v8
	v_or_b32_e32 v7, s38, v7
	v_add_co_u32 v9, vcc_lo, s14, v9
	s_delay_alu instid0(VALU_DEP_4) | instskip(NEXT) | instid1(VALU_DEP_3)
	v_add_co_ci_u32_e32 v10, vcc_lo, s15, v10, vcc_lo
	v_lshlrev_b64 v[7:8], 3, v[7:8]
	global_load_b32 v15, v[11:12], off
	global_load_b64 v[13:14], v[9:10], off
	v_add_co_u32 v9, vcc_lo, s14, v27
	v_add_co_ci_u32_e32 v10, vcc_lo, s15, v28, vcc_lo
	v_add_co_u32 v7, vcc_lo, s14, v7
	v_add_co_ci_u32_e32 v8, vcc_lo, s15, v8, vcc_lo
	s_clause 0x2
	global_load_b64 v[11:12], v[9:10], off
	global_load_b64 v[7:8], v[7:8], off
	global_load_b64 v[9:10], v[9:10], off offset:24
	s_waitcnt vmcnt(4)
	v_subrev_nc_u32_e32 v27, s29, v15
	s_waitcnt vmcnt(3)
	v_mul_f32_e64 v15, v14, -v25
	s_delay_alu instid0(VALU_DEP_2) | instskip(SKIP_1) | instid1(VALU_DEP_3)
	v_mul_lo_u32 v28, 0x89, v27
	v_mul_f32_e32 v29, v26, v14
	v_fmac_f32_e32 v15, v26, v13
	s_waitcnt vmcnt(2)
	s_delay_alu instid0(VALU_DEP_1) | instskip(NEXT) | instid1(VALU_DEP_3)
	v_dual_fmac_f32 v15, v19, v11 :: v_dual_and_b32 v28, 0xff, v28
	v_fmac_f32_e32 v29, v25, v13
	s_delay_alu instid0(VALU_DEP_2) | instskip(NEXT) | instid1(VALU_DEP_3)
	v_fma_f32 v30, -v20, v12, v15
	v_mov_b32_e32 v31, v28
	s_delay_alu instid0(VALU_DEP_3) | instskip(NEXT) | instid1(VALU_DEP_1)
	v_fmac_f32_e32 v29, v20, v11
	v_fmac_f32_e32 v29, v19, v12
	s_branch .LBB212_26
.LBB212_25:                             ;   in Loop: Header=BB212_26 Depth=3
	s_or_b32 exec_lo, exec_lo, s47
	s_xor_b32 s47, s48, -1
	s_delay_alu instid0(SALU_CYCLE_1) | instskip(NEXT) | instid1(SALU_CYCLE_1)
	s_and_b32 s47, exec_lo, s47
	s_or_b32 s46, s47, s46
	s_delay_alu instid0(SALU_CYCLE_1)
	s_and_not1_b32 exec_lo, exec_lo, s46
	s_cbranch_execz .LBB212_36
.LBB212_26:                             ;   Parent Loop BB212_21 Depth=1
                                        ;     Parent Loop BB212_24 Depth=2
                                        ; =>    This Inner Loop Header: Depth=3
	s_delay_alu instid0(VALU_DEP_3)
	v_lshl_add_u32 v15, v31, 2, 0
	s_mov_b32 s47, exec_lo
                                        ; implicit-def: $sgpr48
	ds_load_b32 v32, v15
	s_waitcnt lgkmcnt(0)
	v_cmpx_ne_u32_e64 v32, v27
	s_xor_b32 s47, exec_lo, s47
	s_cbranch_execz .LBB212_34
; %bb.27:                               ;   in Loop: Header=BB212_26 Depth=3
	s_mov_b32 s49, exec_lo
                                        ; implicit-def: $sgpr48
	v_cmpx_ne_u32_e64 s17, v32
	s_xor_b32 s49, exec_lo, s49
; %bb.28:                               ;   in Loop: Header=BB212_26 Depth=3
	v_add_nc_u32_e32 v15, 1, v31
	s_mov_b32 s48, -1
	s_delay_alu instid0(VALU_DEP_1)
	v_and_b32_e32 v31, 0xff, v15
                                        ; implicit-def: $vgpr15
; %bb.29:                               ;   in Loop: Header=BB212_26 Depth=3
	s_and_not1_saveexec_b32 s49, s49
	s_cbranch_execz .LBB212_33
; %bb.30:                               ;   in Loop: Header=BB212_26 Depth=3
	v_mov_b32_e32 v32, s17
	s_mov_b32 s51, -1
	s_mov_b32 s50, exec_lo
	ds_cmpstore_rtn_b32 v32, v15, v27, v32
	s_waitcnt lgkmcnt(0)
	v_cmpx_eq_u32_e64 s17, v32
	s_cbranch_execz .LBB212_32
; %bb.31:                               ;   in Loop: Header=BB212_26 Depth=3
	v_mad_u64_u32 v[32:33], null, v31, 28, v[15:16]
	s_xor_b32 s51, exec_lo, -1
	ds_add_f32 v32, v30 offset:1024
	ds_add_f32 v32, v29 offset:1028
.LBB212_32:                             ;   in Loop: Header=BB212_26 Depth=3
	s_or_b32 exec_lo, exec_lo, s50
	s_delay_alu instid0(SALU_CYCLE_1) | instskip(SKIP_1) | instid1(SALU_CYCLE_1)
	s_and_not1_b32 s48, s48, exec_lo
	s_and_b32 s50, s51, exec_lo
	s_or_b32 s48, s48, s50
.LBB212_33:                             ;   in Loop: Header=BB212_26 Depth=3
	s_or_b32 exec_lo, exec_lo, s49
	s_delay_alu instid0(SALU_CYCLE_1)
	s_and_b32 s48, s48, exec_lo
                                        ; implicit-def: $vgpr15
.LBB212_34:                             ;   in Loop: Header=BB212_26 Depth=3
	s_and_not1_saveexec_b32 s47, s47
	s_cbranch_execz .LBB212_25
; %bb.35:                               ;   in Loop: Header=BB212_26 Depth=3
	v_mad_u64_u32 v[32:33], null, v31, 28, v[15:16]
	s_and_not1_b32 s48, s48, exec_lo
	ds_add_f32 v32, v30 offset:1024
	ds_add_f32 v32, v29 offset:1028
	s_branch .LBB212_25
.LBB212_36:                             ;   in Loop: Header=BB212_24 Depth=2
	s_or_b32 exec_lo, exec_lo, s46
	s_waitcnt vmcnt(0)
	v_mul_f32_e64 v15, v10, -v25
	v_mul_f32_e32 v29, v26, v10
	v_mov_b32_e32 v31, v28
	s_mov_b32 s46, 0
	s_delay_alu instid0(VALU_DEP_3) | instskip(NEXT) | instid1(VALU_DEP_3)
	v_fmac_f32_e32 v15, v26, v9
	v_fmac_f32_e32 v29, v25, v9
	s_delay_alu instid0(VALU_DEP_2) | instskip(NEXT) | instid1(VALU_DEP_2)
	v_fmac_f32_e32 v15, v19, v7
	v_fmac_f32_e32 v29, v20, v7
	s_delay_alu instid0(VALU_DEP_2) | instskip(NEXT) | instid1(VALU_DEP_2)
	v_fma_f32 v30, -v20, v8, v15
	v_fmac_f32_e32 v29, v19, v8
	s_branch .LBB212_38
.LBB212_37:                             ;   in Loop: Header=BB212_38 Depth=3
	s_or_b32 exec_lo, exec_lo, s47
	s_xor_b32 s47, s48, -1
	s_delay_alu instid0(SALU_CYCLE_1) | instskip(NEXT) | instid1(SALU_CYCLE_1)
	s_and_b32 s47, exec_lo, s47
	s_or_b32 s46, s47, s46
	s_delay_alu instid0(SALU_CYCLE_1)
	s_and_not1_b32 exec_lo, exec_lo, s46
	s_cbranch_execz .LBB212_48
.LBB212_38:                             ;   Parent Loop BB212_21 Depth=1
                                        ;     Parent Loop BB212_24 Depth=2
                                        ; =>    This Inner Loop Header: Depth=3
	v_lshl_add_u32 v15, v31, 2, 0
	s_mov_b32 s47, exec_lo
                                        ; implicit-def: $sgpr48
	ds_load_b32 v32, v15
	s_waitcnt lgkmcnt(0)
	v_cmpx_ne_u32_e64 v32, v27
	s_xor_b32 s47, exec_lo, s47
	s_cbranch_execz .LBB212_46
; %bb.39:                               ;   in Loop: Header=BB212_38 Depth=3
	s_mov_b32 s49, exec_lo
                                        ; implicit-def: $sgpr48
	v_cmpx_ne_u32_e64 s17, v32
	s_xor_b32 s49, exec_lo, s49
; %bb.40:                               ;   in Loop: Header=BB212_38 Depth=3
	v_add_nc_u32_e32 v15, 1, v31
	s_mov_b32 s48, -1
	s_delay_alu instid0(VALU_DEP_1)
	v_and_b32_e32 v31, 0xff, v15
                                        ; implicit-def: $vgpr15
; %bb.41:                               ;   in Loop: Header=BB212_38 Depth=3
	s_and_not1_saveexec_b32 s49, s49
	s_cbranch_execz .LBB212_45
; %bb.42:                               ;   in Loop: Header=BB212_38 Depth=3
	v_mov_b32_e32 v32, s17
	s_mov_b32 s51, -1
	s_mov_b32 s50, exec_lo
	ds_cmpstore_rtn_b32 v32, v15, v27, v32
	s_waitcnt lgkmcnt(0)
	v_cmpx_eq_u32_e64 s17, v32
	s_cbranch_execz .LBB212_44
; %bb.43:                               ;   in Loop: Header=BB212_38 Depth=3
	v_mad_u64_u32 v[32:33], null, v31, 28, v[15:16]
	s_xor_b32 s51, exec_lo, -1
	ds_add_f32 v32, v30 offset:1032
	ds_add_f32 v32, v29 offset:1036
.LBB212_44:                             ;   in Loop: Header=BB212_38 Depth=3
	s_or_b32 exec_lo, exec_lo, s50
	s_delay_alu instid0(SALU_CYCLE_1) | instskip(SKIP_1) | instid1(SALU_CYCLE_1)
	s_and_not1_b32 s48, s48, exec_lo
	s_and_b32 s50, s51, exec_lo
	s_or_b32 s48, s48, s50
.LBB212_45:                             ;   in Loop: Header=BB212_38 Depth=3
	s_or_b32 exec_lo, exec_lo, s49
	s_delay_alu instid0(SALU_CYCLE_1)
	s_and_b32 s48, s48, exec_lo
                                        ; implicit-def: $vgpr15
.LBB212_46:                             ;   in Loop: Header=BB212_38 Depth=3
	s_and_not1_saveexec_b32 s47, s47
	s_cbranch_execz .LBB212_37
; %bb.47:                               ;   in Loop: Header=BB212_38 Depth=3
	v_mad_u64_u32 v[32:33], null, v31, 28, v[15:16]
	s_and_not1_b32 s48, s48, exec_lo
	ds_add_f32 v32, v30 offset:1032
	ds_add_f32 v32, v29 offset:1036
	s_branch .LBB212_37
.LBB212_48:                             ;   in Loop: Header=BB212_24 Depth=2
	s_or_b32 exec_lo, exec_lo, s46
	v_mul_f32_e64 v15, v14, -v23
	s_mov_b32 s46, 0
	s_delay_alu instid0(VALU_DEP_1) | instskip(NEXT) | instid1(VALU_DEP_1)
	v_fmac_f32_e32 v15, v24, v13
	v_dual_mul_f32 v14, v24, v14 :: v_dual_fmac_f32 v15, v21, v11
	s_delay_alu instid0(VALU_DEP_1) | instskip(NEXT) | instid1(VALU_DEP_2)
	v_fmac_f32_e32 v14, v23, v13
	v_fma_f32 v13, -v22, v12, v15
	s_delay_alu instid0(VALU_DEP_2) | instskip(NEXT) | instid1(VALU_DEP_1)
	v_fmac_f32_e32 v14, v22, v11
	v_fmac_f32_e32 v14, v21, v12
	v_mov_b32_e32 v12, v28
	s_branch .LBB212_50
.LBB212_49:                             ;   in Loop: Header=BB212_50 Depth=3
	s_or_b32 exec_lo, exec_lo, s47
	s_xor_b32 s47, s48, -1
	s_delay_alu instid0(SALU_CYCLE_1) | instskip(NEXT) | instid1(SALU_CYCLE_1)
	s_and_b32 s47, exec_lo, s47
	s_or_b32 s46, s47, s46
	s_delay_alu instid0(SALU_CYCLE_1)
	s_and_not1_b32 exec_lo, exec_lo, s46
	s_cbranch_execz .LBB212_60
.LBB212_50:                             ;   Parent Loop BB212_21 Depth=1
                                        ;     Parent Loop BB212_24 Depth=2
                                        ; =>    This Inner Loop Header: Depth=3
	s_delay_alu instid0(VALU_DEP_1)
	v_lshl_add_u32 v11, v12, 2, 0
	s_mov_b32 s47, exec_lo
                                        ; implicit-def: $sgpr48
	ds_load_b32 v15, v11
	s_waitcnt lgkmcnt(0)
	v_cmpx_ne_u32_e64 v15, v27
	s_xor_b32 s47, exec_lo, s47
	s_cbranch_execz .LBB212_58
; %bb.51:                               ;   in Loop: Header=BB212_50 Depth=3
	s_mov_b32 s49, exec_lo
                                        ; implicit-def: $sgpr48
	v_cmpx_ne_u32_e64 s17, v15
	s_xor_b32 s49, exec_lo, s49
; %bb.52:                               ;   in Loop: Header=BB212_50 Depth=3
	v_add_nc_u32_e32 v11, 1, v12
	s_mov_b32 s48, -1
	s_delay_alu instid0(VALU_DEP_1)
	v_and_b32_e32 v12, 0xff, v11
                                        ; implicit-def: $vgpr11
; %bb.53:                               ;   in Loop: Header=BB212_50 Depth=3
	s_and_not1_saveexec_b32 s49, s49
	s_cbranch_execz .LBB212_57
; %bb.54:                               ;   in Loop: Header=BB212_50 Depth=3
	v_mov_b32_e32 v15, s17
	s_mov_b32 s51, -1
	s_mov_b32 s50, exec_lo
	ds_cmpstore_rtn_b32 v15, v11, v27, v15
	s_waitcnt lgkmcnt(0)
	v_cmpx_eq_u32_e64 s17, v15
	s_cbranch_execz .LBB212_56
; %bb.55:                               ;   in Loop: Header=BB212_50 Depth=3
	v_mad_u64_u32 v[29:30], null, v12, 28, v[11:12]
	s_xor_b32 s51, exec_lo, -1
	ds_add_f32 v29, v13 offset:1040
	ds_add_f32 v29, v14 offset:1044
.LBB212_56:                             ;   in Loop: Header=BB212_50 Depth=3
	s_or_b32 exec_lo, exec_lo, s50
	s_delay_alu instid0(SALU_CYCLE_1) | instskip(SKIP_1) | instid1(SALU_CYCLE_1)
	s_and_not1_b32 s48, s48, exec_lo
	s_and_b32 s50, s51, exec_lo
	s_or_b32 s48, s48, s50
.LBB212_57:                             ;   in Loop: Header=BB212_50 Depth=3
	s_or_b32 exec_lo, exec_lo, s49
	s_delay_alu instid0(SALU_CYCLE_1)
	s_and_b32 s48, s48, exec_lo
                                        ; implicit-def: $vgpr11
.LBB212_58:                             ;   in Loop: Header=BB212_50 Depth=3
	s_and_not1_saveexec_b32 s47, s47
	s_cbranch_execz .LBB212_49
; %bb.59:                               ;   in Loop: Header=BB212_50 Depth=3
	v_mad_u64_u32 v[29:30], null, v12, 28, v[11:12]
	s_and_not1_b32 s48, s48, exec_lo
	ds_add_f32 v29, v13 offset:1040
	ds_add_f32 v29, v14 offset:1044
	s_branch .LBB212_49
.LBB212_60:                             ;   in Loop: Header=BB212_24 Depth=2
	s_or_b32 exec_lo, exec_lo, s46
	v_mul_f32_e64 v11, v10, -v23
	s_mov_b32 s46, 0
	s_delay_alu instid0(VALU_DEP_1) | instskip(NEXT) | instid1(VALU_DEP_1)
	v_fmac_f32_e32 v11, v24, v9
	v_dual_mul_f32 v10, v24, v10 :: v_dual_fmac_f32 v11, v21, v7
	s_delay_alu instid0(VALU_DEP_1) | instskip(NEXT) | instid1(VALU_DEP_2)
	v_fmac_f32_e32 v10, v23, v9
	v_fma_f32 v9, -v22, v8, v11
	s_delay_alu instid0(VALU_DEP_2) | instskip(NEXT) | instid1(VALU_DEP_1)
	v_fmac_f32_e32 v10, v22, v7
	v_fmac_f32_e32 v10, v21, v8
	s_branch .LBB212_62
.LBB212_61:                             ;   in Loop: Header=BB212_62 Depth=3
	s_or_b32 exec_lo, exec_lo, s47
	s_xor_b32 s47, s48, -1
	s_delay_alu instid0(SALU_CYCLE_1) | instskip(NEXT) | instid1(SALU_CYCLE_1)
	s_and_b32 s47, exec_lo, s47
	s_or_b32 s46, s47, s46
	s_delay_alu instid0(SALU_CYCLE_1)
	s_and_not1_b32 exec_lo, exec_lo, s46
	s_cbranch_execz .LBB212_23
.LBB212_62:                             ;   Parent Loop BB212_21 Depth=1
                                        ;     Parent Loop BB212_24 Depth=2
                                        ; =>    This Inner Loop Header: Depth=3
	v_lshl_add_u32 v7, v28, 2, 0
	s_mov_b32 s47, exec_lo
                                        ; implicit-def: $sgpr48
	ds_load_b32 v8, v7
	s_waitcnt lgkmcnt(0)
	v_cmpx_ne_u32_e64 v8, v27
	s_xor_b32 s47, exec_lo, s47
	s_cbranch_execz .LBB212_70
; %bb.63:                               ;   in Loop: Header=BB212_62 Depth=3
	s_mov_b32 s49, exec_lo
                                        ; implicit-def: $sgpr48
	v_cmpx_ne_u32_e64 s17, v8
	s_xor_b32 s49, exec_lo, s49
; %bb.64:                               ;   in Loop: Header=BB212_62 Depth=3
	v_add_nc_u32_e32 v7, 1, v28
	s_mov_b32 s48, -1
	s_delay_alu instid0(VALU_DEP_1)
	v_and_b32_e32 v28, 0xff, v7
                                        ; implicit-def: $vgpr7
; %bb.65:                               ;   in Loop: Header=BB212_62 Depth=3
	s_and_not1_saveexec_b32 s49, s49
	s_cbranch_execz .LBB212_69
; %bb.66:                               ;   in Loop: Header=BB212_62 Depth=3
	v_mov_b32_e32 v8, s17
	s_mov_b32 s51, -1
	s_mov_b32 s50, exec_lo
	ds_cmpstore_rtn_b32 v8, v7, v27, v8
	s_waitcnt lgkmcnt(0)
	v_cmpx_eq_u32_e64 s17, v8
	s_cbranch_execz .LBB212_68
; %bb.67:                               ;   in Loop: Header=BB212_62 Depth=3
	v_mad_u64_u32 v[11:12], null, v28, 28, v[7:8]
	s_xor_b32 s51, exec_lo, -1
	ds_add_f32 v11, v9 offset:1048
	ds_add_f32 v11, v10 offset:1052
.LBB212_68:                             ;   in Loop: Header=BB212_62 Depth=3
	s_or_b32 exec_lo, exec_lo, s50
	s_delay_alu instid0(SALU_CYCLE_1) | instskip(SKIP_1) | instid1(SALU_CYCLE_1)
	s_and_not1_b32 s48, s48, exec_lo
	s_and_b32 s50, s51, exec_lo
	s_or_b32 s48, s48, s50
.LBB212_69:                             ;   in Loop: Header=BB212_62 Depth=3
	s_or_b32 exec_lo, exec_lo, s49
	s_delay_alu instid0(SALU_CYCLE_1)
	s_and_b32 s48, s48, exec_lo
                                        ; implicit-def: $vgpr7
.LBB212_70:                             ;   in Loop: Header=BB212_62 Depth=3
	s_and_not1_saveexec_b32 s47, s47
	s_cbranch_execz .LBB212_61
; %bb.71:                               ;   in Loop: Header=BB212_62 Depth=3
	v_mad_u64_u32 v[11:12], null, v28, 28, v[7:8]
	s_and_not1_b32 s48, s48, exec_lo
	ds_add_f32 v11, v9 offset:1048
	ds_add_f32 v11, v10 offset:1052
	s_branch .LBB212_61
.LBB212_72:
	s_or_b32 exec_lo, exec_lo, s20
.LBB212_73:
	s_delay_alu instid0(SALU_CYCLE_1)
	s_and_not1_b32 vcc_lo, exec_lo, s44
	s_waitcnt lgkmcnt(0)
	s_barrier
	buffer_gl0_inv
	s_cbranch_vccnz .LBB212_126
; %bb.74:
	s_lshl_b64 s[0:1], s[40:41], 3
	s_mov_b32 s3, exec_lo
	s_add_u32 s0, s18, s0
	s_addc_u32 s1, s19, s1
	s_load_b128 s[12:15], s[0:1], 0x0
	v_sub_co_u32 v1, s0, v0, s31
	s_delay_alu instid0(VALU_DEP_1) | instskip(SKIP_1) | instid1(VALU_DEP_2)
	v_sub_co_ci_u32_e64 v2, null, 0, 0, s0
	s_waitcnt lgkmcnt(0)
	v_add_co_u32 v1, vcc_lo, s12, v1
	s_delay_alu instid0(VALU_DEP_2) | instskip(SKIP_3) | instid1(VALU_DEP_1)
	v_add_co_ci_u32_e32 v2, vcc_lo, s13, v2, vcc_lo
	s_sub_u32 s0, s14, s31
	s_subb_u32 s1, s15, 0
	s_mov_b32 s12, 0
	v_cmpx_gt_i64_e64 s[0:1], v[1:2]
	s_cbranch_execz .LBB212_125
; %bb.75:
	s_cmp_eq_u32 s16, 0
	s_cselect_b32 s13, 1, 2
	s_cselect_b32 s14, 2, 1
	s_branch .LBB212_77
.LBB212_76:                             ;   in Loop: Header=BB212_77 Depth=1
	s_or_b32 exec_lo, exec_lo, s15
	v_add_co_u32 v1, vcc_lo, 0x100, v1
	v_add_co_ci_u32_e32 v2, vcc_lo, 0, v2, vcc_lo
	s_delay_alu instid0(VALU_DEP_1) | instskip(SKIP_1) | instid1(SALU_CYCLE_1)
	v_cmp_le_i64_e32 vcc_lo, s[0:1], v[1:2]
	s_or_b32 s12, vcc_lo, s12
	s_and_not1_b32 exec_lo, exec_lo, s12
	s_cbranch_execz .LBB212_125
.LBB212_77:                             ; =>This Loop Header: Depth=1
                                        ;     Child Loop BB212_79 Depth 2
                                        ;     Child Loop BB212_91 Depth 2
	;; [unrolled: 1-line block ×4, first 2 shown]
	v_lshlrev_b64 v[3:4], 2, v[1:2]
	v_lshlrev_b64 v[7:8], 5, v[1:2]
	s_mov_b32 s15, 0
	s_delay_alu instid0(VALU_DEP_2) | instskip(NEXT) | instid1(VALU_DEP_3)
	v_add_co_u32 v5, vcc_lo, s4, v3
	v_add_co_ci_u32_e32 v6, vcc_lo, s5, v4, vcc_lo
	v_or_b32_e32 v10, 0, v4
	v_or_b32_e32 v9, s13, v3
	;; [unrolled: 1-line block ×3, first 2 shown]
	global_load_b32 v11, v[5:6], off
	v_add_co_u32 v5, vcc_lo, s6, v7
	v_or_b32_e32 v3, s14, v3
	v_add_co_ci_u32_e32 v6, vcc_lo, s7, v8, vcc_lo
	v_lshlrev_b64 v[7:8], 3, v[9:10]
	s_delay_alu instid0(VALU_DEP_3)
	v_lshlrev_b64 v[3:4], 3, v[3:4]
	global_load_b64 v[14:15], v[5:6], off
	v_add_co_u32 v7, vcc_lo, s6, v7
	v_add_co_ci_u32_e32 v8, vcc_lo, s7, v8, vcc_lo
	v_add_co_u32 v9, vcc_lo, s6, v3
	v_add_co_ci_u32_e32 v10, vcc_lo, s7, v4, vcc_lo
	s_clause 0x2
	global_load_b64 v[3:4], v[5:6], off offset:24
	global_load_b64 v[7:8], v[7:8], off
	global_load_b64 v[5:6], v[9:10], off
	s_waitcnt vmcnt(4)
	v_subrev_nc_u32_e32 v10, s31, v11
	s_delay_alu instid0(VALU_DEP_1) | instskip(SKIP_3) | instid1(VALU_DEP_2)
	v_mul_lo_u32 v9, 0x89, v10
	s_waitcnt vmcnt(3)
	v_mul_f32_e64 v12, v15, -s42
	v_mul_f32_e32 v13, s33, v15
	v_dual_fmac_f32 v12, s33, v14 :: v_dual_and_b32 v11, 0xff, v9
	s_delay_alu instid0(VALU_DEP_1)
	v_dual_fmac_f32 v13, s42, v14 :: v_dual_mov_b32 v14, v11
	s_branch .LBB212_79
.LBB212_78:                             ;   in Loop: Header=BB212_79 Depth=2
	s_or_b32 exec_lo, exec_lo, s18
	s_xor_b32 s18, s19, -1
	s_delay_alu instid0(SALU_CYCLE_1) | instskip(NEXT) | instid1(SALU_CYCLE_1)
	s_and_b32 s18, exec_lo, s18
	s_or_b32 s15, s18, s15
	s_delay_alu instid0(SALU_CYCLE_1)
	s_and_not1_b32 exec_lo, exec_lo, s15
	s_cbranch_execz .LBB212_89
.LBB212_79:                             ;   Parent Loop BB212_77 Depth=1
                                        ; =>  This Inner Loop Header: Depth=2
	s_delay_alu instid0(VALU_DEP_1)
	v_lshl_add_u32 v9, v14, 2, 0
	s_mov_b32 s18, exec_lo
                                        ; implicit-def: $sgpr19
	ds_load_b32 v15, v9
	s_waitcnt lgkmcnt(0)
	v_cmpx_ne_u32_e64 v15, v10
	s_xor_b32 s18, exec_lo, s18
	s_cbranch_execz .LBB212_87
; %bb.80:                               ;   in Loop: Header=BB212_79 Depth=2
	s_mov_b32 s20, exec_lo
                                        ; implicit-def: $sgpr19
	v_cmpx_ne_u32_e64 s17, v15
	s_xor_b32 s20, exec_lo, s20
; %bb.81:                               ;   in Loop: Header=BB212_79 Depth=2
	v_add_nc_u32_e32 v9, 1, v14
	s_mov_b32 s19, -1
	s_delay_alu instid0(VALU_DEP_1)
	v_and_b32_e32 v14, 0xff, v9
                                        ; implicit-def: $vgpr9
; %bb.82:                               ;   in Loop: Header=BB212_79 Depth=2
	s_and_not1_saveexec_b32 s20, s20
	s_cbranch_execz .LBB212_86
; %bb.83:                               ;   in Loop: Header=BB212_79 Depth=2
	v_mov_b32_e32 v15, s17
	s_mov_b32 s22, -1
	s_mov_b32 s21, exec_lo
	ds_cmpstore_rtn_b32 v15, v9, v10, v15
	s_waitcnt lgkmcnt(0)
	v_cmpx_eq_u32_e64 s17, v15
	s_cbranch_execz .LBB212_85
; %bb.84:                               ;   in Loop: Header=BB212_79 Depth=2
	v_mad_u64_u32 v[17:18], null, v14, 28, v[9:10]
	s_xor_b32 s22, exec_lo, -1
	ds_add_f32 v17, v12 offset:1024
	ds_add_f32 v17, v13 offset:1028
.LBB212_85:                             ;   in Loop: Header=BB212_79 Depth=2
	s_or_b32 exec_lo, exec_lo, s21
	s_delay_alu instid0(SALU_CYCLE_1) | instskip(SKIP_1) | instid1(SALU_CYCLE_1)
	s_and_not1_b32 s19, s19, exec_lo
	s_and_b32 s21, s22, exec_lo
	s_or_b32 s19, s19, s21
.LBB212_86:                             ;   in Loop: Header=BB212_79 Depth=2
	s_or_b32 exec_lo, exec_lo, s20
	s_delay_alu instid0(SALU_CYCLE_1)
	s_and_b32 s19, s19, exec_lo
                                        ; implicit-def: $vgpr9
.LBB212_87:                             ;   in Loop: Header=BB212_79 Depth=2
	s_and_not1_saveexec_b32 s18, s18
	s_cbranch_execz .LBB212_78
; %bb.88:                               ;   in Loop: Header=BB212_79 Depth=2
	v_mad_u64_u32 v[17:18], null, v14, 28, v[9:10]
	s_and_not1_b32 s19, s19, exec_lo
	ds_add_f32 v17, v12 offset:1024
	ds_add_f32 v17, v13 offset:1028
	s_branch .LBB212_78
.LBB212_89:                             ;   in Loop: Header=BB212_77 Depth=1
	s_or_b32 exec_lo, exec_lo, s15
	s_waitcnt vmcnt(1)
	v_mul_f32_e64 v9, v8, -s42
	v_mul_f32_e32 v8, s33, v8
	v_mov_b32_e32 v12, v11
	s_mov_b32 s15, 0
	s_delay_alu instid0(VALU_DEP_3) | instskip(NEXT) | instid1(VALU_DEP_3)
	v_fmac_f32_e32 v9, s33, v7
	v_fmac_f32_e32 v8, s42, v7
	s_branch .LBB212_91
.LBB212_90:                             ;   in Loop: Header=BB212_91 Depth=2
	s_or_b32 exec_lo, exec_lo, s18
	s_xor_b32 s18, s19, -1
	s_delay_alu instid0(SALU_CYCLE_1) | instskip(NEXT) | instid1(SALU_CYCLE_1)
	s_and_b32 s18, exec_lo, s18
	s_or_b32 s15, s18, s15
	s_delay_alu instid0(SALU_CYCLE_1)
	s_and_not1_b32 exec_lo, exec_lo, s15
	s_cbranch_execz .LBB212_101
.LBB212_91:                             ;   Parent Loop BB212_77 Depth=1
                                        ; =>  This Inner Loop Header: Depth=2
	v_lshl_add_u32 v7, v12, 2, 0
	s_mov_b32 s18, exec_lo
                                        ; implicit-def: $sgpr19
	ds_load_b32 v13, v7
	s_waitcnt lgkmcnt(0)
	v_cmpx_ne_u32_e64 v13, v10
	s_xor_b32 s18, exec_lo, s18
	s_cbranch_execz .LBB212_99
; %bb.92:                               ;   in Loop: Header=BB212_91 Depth=2
	s_mov_b32 s20, exec_lo
                                        ; implicit-def: $sgpr19
	v_cmpx_ne_u32_e64 s17, v13
	s_xor_b32 s20, exec_lo, s20
; %bb.93:                               ;   in Loop: Header=BB212_91 Depth=2
	v_add_nc_u32_e32 v7, 1, v12
	s_mov_b32 s19, -1
	s_delay_alu instid0(VALU_DEP_1)
	v_and_b32_e32 v12, 0xff, v7
                                        ; implicit-def: $vgpr7
; %bb.94:                               ;   in Loop: Header=BB212_91 Depth=2
	s_and_not1_saveexec_b32 s20, s20
	s_cbranch_execz .LBB212_98
; %bb.95:                               ;   in Loop: Header=BB212_91 Depth=2
	v_mov_b32_e32 v13, s17
	s_mov_b32 s22, -1
	s_mov_b32 s21, exec_lo
	ds_cmpstore_rtn_b32 v13, v7, v10, v13
	s_waitcnt lgkmcnt(0)
	v_cmpx_eq_u32_e64 s17, v13
	s_cbranch_execz .LBB212_97
; %bb.96:                               ;   in Loop: Header=BB212_91 Depth=2
	v_mad_u64_u32 v[13:14], null, v12, 28, v[7:8]
	s_xor_b32 s22, exec_lo, -1
	ds_add_f32 v13, v9 offset:1032
	ds_add_f32 v13, v8 offset:1036
.LBB212_97:                             ;   in Loop: Header=BB212_91 Depth=2
	s_or_b32 exec_lo, exec_lo, s21
	s_delay_alu instid0(SALU_CYCLE_1) | instskip(SKIP_1) | instid1(SALU_CYCLE_1)
	s_and_not1_b32 s19, s19, exec_lo
	s_and_b32 s21, s22, exec_lo
	s_or_b32 s19, s19, s21
.LBB212_98:                             ;   in Loop: Header=BB212_91 Depth=2
	s_or_b32 exec_lo, exec_lo, s20
	s_delay_alu instid0(SALU_CYCLE_1)
	s_and_b32 s19, s19, exec_lo
                                        ; implicit-def: $vgpr7
.LBB212_99:                             ;   in Loop: Header=BB212_91 Depth=2
	s_and_not1_saveexec_b32 s18, s18
	s_cbranch_execz .LBB212_90
; %bb.100:                              ;   in Loop: Header=BB212_91 Depth=2
	v_mad_u64_u32 v[13:14], null, v12, 28, v[7:8]
	s_and_not1_b32 s19, s19, exec_lo
	ds_add_f32 v13, v9 offset:1032
	ds_add_f32 v13, v8 offset:1036
	s_branch .LBB212_90
.LBB212_101:                            ;   in Loop: Header=BB212_77 Depth=1
	s_or_b32 exec_lo, exec_lo, s15
	s_waitcnt vmcnt(0)
	v_mul_f32_e64 v7, v6, -s42
	v_mul_f32_e32 v6, s33, v6
	v_mov_b32_e32 v8, v11
	s_mov_b32 s15, 0
	s_delay_alu instid0(VALU_DEP_3) | instskip(NEXT) | instid1(VALU_DEP_3)
	v_fmac_f32_e32 v7, s33, v5
	v_fmac_f32_e32 v6, s42, v5
	s_branch .LBB212_103
.LBB212_102:                            ;   in Loop: Header=BB212_103 Depth=2
	s_or_b32 exec_lo, exec_lo, s18
	s_xor_b32 s18, s19, -1
	s_delay_alu instid0(SALU_CYCLE_1) | instskip(NEXT) | instid1(SALU_CYCLE_1)
	s_and_b32 s18, exec_lo, s18
	s_or_b32 s15, s18, s15
	s_delay_alu instid0(SALU_CYCLE_1)
	s_and_not1_b32 exec_lo, exec_lo, s15
	s_cbranch_execz .LBB212_113
.LBB212_103:                            ;   Parent Loop BB212_77 Depth=1
                                        ; =>  This Inner Loop Header: Depth=2
	v_lshl_add_u32 v5, v8, 2, 0
	s_mov_b32 s18, exec_lo
                                        ; implicit-def: $sgpr19
	ds_load_b32 v9, v5
	s_waitcnt lgkmcnt(0)
	v_cmpx_ne_u32_e64 v9, v10
	s_xor_b32 s18, exec_lo, s18
	s_cbranch_execz .LBB212_111
; %bb.104:                              ;   in Loop: Header=BB212_103 Depth=2
	s_mov_b32 s20, exec_lo
                                        ; implicit-def: $sgpr19
	v_cmpx_ne_u32_e64 s17, v9
	s_xor_b32 s20, exec_lo, s20
; %bb.105:                              ;   in Loop: Header=BB212_103 Depth=2
	v_add_nc_u32_e32 v5, 1, v8
	s_mov_b32 s19, -1
	s_delay_alu instid0(VALU_DEP_1)
	v_and_b32_e32 v8, 0xff, v5
                                        ; implicit-def: $vgpr5
; %bb.106:                              ;   in Loop: Header=BB212_103 Depth=2
	s_and_not1_saveexec_b32 s20, s20
	s_cbranch_execz .LBB212_110
; %bb.107:                              ;   in Loop: Header=BB212_103 Depth=2
	v_mov_b32_e32 v9, s17
	s_mov_b32 s22, -1
	s_mov_b32 s21, exec_lo
	ds_cmpstore_rtn_b32 v9, v5, v10, v9
	s_waitcnt lgkmcnt(0)
	v_cmpx_eq_u32_e64 s17, v9
	s_cbranch_execz .LBB212_109
; %bb.108:                              ;   in Loop: Header=BB212_103 Depth=2
	v_mad_u64_u32 v[12:13], null, v8, 28, v[5:6]
	s_xor_b32 s22, exec_lo, -1
	ds_add_f32 v12, v7 offset:1040
	ds_add_f32 v12, v6 offset:1044
.LBB212_109:                            ;   in Loop: Header=BB212_103 Depth=2
	s_or_b32 exec_lo, exec_lo, s21
	s_delay_alu instid0(SALU_CYCLE_1) | instskip(SKIP_1) | instid1(SALU_CYCLE_1)
	s_and_not1_b32 s19, s19, exec_lo
	s_and_b32 s21, s22, exec_lo
	s_or_b32 s19, s19, s21
.LBB212_110:                            ;   in Loop: Header=BB212_103 Depth=2
	s_or_b32 exec_lo, exec_lo, s20
	s_delay_alu instid0(SALU_CYCLE_1)
	s_and_b32 s19, s19, exec_lo
                                        ; implicit-def: $vgpr5
.LBB212_111:                            ;   in Loop: Header=BB212_103 Depth=2
	s_and_not1_saveexec_b32 s18, s18
	s_cbranch_execz .LBB212_102
; %bb.112:                              ;   in Loop: Header=BB212_103 Depth=2
	v_mad_u64_u32 v[12:13], null, v8, 28, v[5:6]
	s_and_not1_b32 s19, s19, exec_lo
	ds_add_f32 v12, v7 offset:1040
	ds_add_f32 v12, v6 offset:1044
	s_branch .LBB212_102
.LBB212_113:                            ;   in Loop: Header=BB212_77 Depth=1
	s_or_b32 exec_lo, exec_lo, s15
	v_mul_f32_e64 v5, v4, -s42
	v_mul_f32_e32 v4, s33, v4
	s_mov_b32 s15, 0
	s_delay_alu instid0(VALU_DEP_2) | instskip(NEXT) | instid1(VALU_DEP_2)
	v_fmac_f32_e32 v5, s33, v3
	v_fmac_f32_e32 v4, s42, v3
	s_branch .LBB212_115
.LBB212_114:                            ;   in Loop: Header=BB212_115 Depth=2
	s_or_b32 exec_lo, exec_lo, s18
	s_xor_b32 s18, s19, -1
	s_delay_alu instid0(SALU_CYCLE_1) | instskip(NEXT) | instid1(SALU_CYCLE_1)
	s_and_b32 s18, exec_lo, s18
	s_or_b32 s15, s18, s15
	s_delay_alu instid0(SALU_CYCLE_1)
	s_and_not1_b32 exec_lo, exec_lo, s15
	s_cbranch_execz .LBB212_76
.LBB212_115:                            ;   Parent Loop BB212_77 Depth=1
                                        ; =>  This Inner Loop Header: Depth=2
	v_lshl_add_u32 v3, v11, 2, 0
	s_mov_b32 s18, exec_lo
                                        ; implicit-def: $sgpr19
	ds_load_b32 v6, v3
	s_waitcnt lgkmcnt(0)
	v_cmpx_ne_u32_e64 v6, v10
	s_xor_b32 s18, exec_lo, s18
	s_cbranch_execz .LBB212_123
; %bb.116:                              ;   in Loop: Header=BB212_115 Depth=2
	s_mov_b32 s20, exec_lo
                                        ; implicit-def: $sgpr19
	v_cmpx_ne_u32_e64 s17, v6
	s_xor_b32 s20, exec_lo, s20
; %bb.117:                              ;   in Loop: Header=BB212_115 Depth=2
	v_add_nc_u32_e32 v3, 1, v11
	s_mov_b32 s19, -1
	s_delay_alu instid0(VALU_DEP_1)
	v_and_b32_e32 v11, 0xff, v3
                                        ; implicit-def: $vgpr3
; %bb.118:                              ;   in Loop: Header=BB212_115 Depth=2
	s_and_not1_saveexec_b32 s20, s20
	s_cbranch_execz .LBB212_122
; %bb.119:                              ;   in Loop: Header=BB212_115 Depth=2
	v_mov_b32_e32 v6, s17
	s_mov_b32 s22, -1
	s_mov_b32 s21, exec_lo
	ds_cmpstore_rtn_b32 v6, v3, v10, v6
	s_waitcnt lgkmcnt(0)
	v_cmpx_eq_u32_e64 s17, v6
	s_cbranch_execz .LBB212_121
; %bb.120:                              ;   in Loop: Header=BB212_115 Depth=2
	v_mad_u64_u32 v[6:7], null, v11, 28, v[3:4]
	s_xor_b32 s22, exec_lo, -1
	ds_add_f32 v6, v5 offset:1048
	ds_add_f32 v6, v4 offset:1052
.LBB212_121:                            ;   in Loop: Header=BB212_115 Depth=2
	s_or_b32 exec_lo, exec_lo, s21
	s_delay_alu instid0(SALU_CYCLE_1) | instskip(SKIP_1) | instid1(SALU_CYCLE_1)
	s_and_not1_b32 s19, s19, exec_lo
	s_and_b32 s21, s22, exec_lo
	s_or_b32 s19, s19, s21
.LBB212_122:                            ;   in Loop: Header=BB212_115 Depth=2
	s_or_b32 exec_lo, exec_lo, s20
	s_delay_alu instid0(SALU_CYCLE_1)
	s_and_b32 s19, s19, exec_lo
                                        ; implicit-def: $vgpr3
.LBB212_123:                            ;   in Loop: Header=BB212_115 Depth=2
	s_and_not1_saveexec_b32 s18, s18
	s_cbranch_execz .LBB212_114
; %bb.124:                              ;   in Loop: Header=BB212_115 Depth=2
	v_mad_u64_u32 v[6:7], null, v11, 28, v[3:4]
	s_and_not1_b32 s19, s19, exec_lo
	ds_add_f32 v6, v5 offset:1048
	ds_add_f32 v6, v4 offset:1052
	s_branch .LBB212_114
.LBB212_125:
	s_or_b32 exec_lo, exec_lo, s3
.LBB212_126:
	s_waitcnt lgkmcnt(0)
	s_barrier
	buffer_gl0_inv
	s_and_saveexec_b32 s0, s2
	s_cbranch_execz .LBB212_131
; %bb.127:
	ds_load_b32 v3, v16
	s_mov_b32 s1, 0
	s_waitcnt lgkmcnt(0)
	v_cmp_gt_i32_e32 vcc_lo, s17, v3
	s_and_b32 exec_lo, exec_lo, vcc_lo
	s_cbranch_execz .LBB212_131
; %bb.128:
	s_lshl_b64 s[2:3], s[40:41], 3
	s_delay_alu instid0(SALU_CYCLE_1)
	s_add_u32 s2, s8, s2
	s_addc_u32 s3, s9, s3
	s_load_b64 s[2:3], s[2:3], 0x0
	s_waitcnt lgkmcnt(0)
	s_sub_u32 s2, s2, s30
	s_subb_u32 s3, s3, 0
	s_delay_alu instid0(SALU_CYCLE_1)
	v_dual_mov_b32 v1, s2 :: v_dual_mov_b32 v2, s3
.LBB212_129:                            ; =>This Inner Loop Header: Depth=1
	s_add_i32 s0, s1, 0
	s_add_i32 s1, s1, 64
	v_mov_b32_e32 v18, s0
	s_cmpk_lg_i32 s1, 0x400
	ds_load_2addr_b32 v[4:5], v18 offset1:1
	ds_load_2addr_b32 v[6:7], v18 offset0:2 offset1:3
	ds_load_2addr_b32 v[8:9], v18 offset0:4 offset1:5
	;; [unrolled: 1-line block ×7, first 2 shown]
	s_waitcnt lgkmcnt(7)
	v_cmp_gt_i32_e32 vcc_lo, v3, v4
	v_cndmask_b32_e64 v4, 0, 1, vcc_lo
	v_cmp_gt_i32_e32 vcc_lo, v3, v5
	v_cndmask_b32_e64 v5, 0, 1, vcc_lo
	s_waitcnt lgkmcnt(6)
	v_cmp_gt_i32_e32 vcc_lo, v3, v6
	v_cndmask_b32_e64 v6, 0, 1, vcc_lo
	v_cmp_gt_i32_e32 vcc_lo, v3, v7
	v_cndmask_b32_e64 v7, 0, 1, vcc_lo
	;; [unrolled: 5-line block ×4, first 2 shown]
	s_waitcnt lgkmcnt(3)
	v_cmp_gt_i32_e32 vcc_lo, v3, v12
	v_cndmask_b32_e64 v12, 0, 1, vcc_lo
	v_add_co_u32 v1, vcc_lo, v1, v4
	v_add_co_ci_u32_e32 v2, vcc_lo, 0, v2, vcc_lo
	v_cmp_gt_i32_e32 vcc_lo, v3, v13
	s_delay_alu instid0(VALU_DEP_3) | instskip(NEXT) | instid1(VALU_DEP_1)
	v_add_co_u32 v1, s0, v1, v5
	v_add_co_ci_u32_e64 v2, s0, 0, v2, s0
	v_cndmask_b32_e64 v4, 0, 1, vcc_lo
	s_delay_alu instid0(VALU_DEP_3) | instskip(NEXT) | instid1(VALU_DEP_3)
	v_add_co_u32 v1, vcc_lo, v1, v6
	v_add_co_ci_u32_e32 v2, vcc_lo, 0, v2, vcc_lo
	s_waitcnt lgkmcnt(2)
	v_cmp_gt_i32_e32 vcc_lo, v3, v14
	s_delay_alu instid0(VALU_DEP_3) | instskip(NEXT) | instid1(VALU_DEP_1)
	v_add_co_u32 v1, s0, v1, v7
	v_add_co_ci_u32_e64 v2, s0, 0, v2, s0
	v_cndmask_b32_e64 v5, 0, 1, vcc_lo
	s_delay_alu instid0(VALU_DEP_3) | instskip(NEXT) | instid1(VALU_DEP_3)
	v_add_co_u32 v1, vcc_lo, v1, v8
	v_add_co_ci_u32_e32 v2, vcc_lo, 0, v2, vcc_lo
	v_cmp_gt_i32_e32 vcc_lo, v3, v15
	s_delay_alu instid0(VALU_DEP_3) | instskip(NEXT) | instid1(VALU_DEP_1)
	v_add_co_u32 v1, s0, v1, v9
	v_add_co_ci_u32_e64 v2, s0, 0, v2, s0
	v_cndmask_b32_e64 v6, 0, 1, vcc_lo
	s_delay_alu instid0(VALU_DEP_3) | instskip(NEXT) | instid1(VALU_DEP_3)
	v_add_co_u32 v1, vcc_lo, v1, v10
	v_add_co_ci_u32_e32 v2, vcc_lo, 0, v2, vcc_lo
	s_waitcnt lgkmcnt(1)
	v_cmp_gt_i32_e32 vcc_lo, v3, v16
	s_delay_alu instid0(VALU_DEP_3) | instskip(NEXT) | instid1(VALU_DEP_1)
	v_add_co_u32 v1, s0, v1, v11
	v_add_co_ci_u32_e64 v2, s0, 0, v2, s0
	v_cndmask_b32_e64 v7, 0, 1, vcc_lo
	s_delay_alu instid0(VALU_DEP_3) | instskip(NEXT) | instid1(VALU_DEP_3)
	;; [unrolled: 17-line block ×3, first 2 shown]
	v_add_co_u32 v1, vcc_lo, v1, v7
	v_add_co_ci_u32_e32 v2, vcc_lo, 0, v2, vcc_lo
	v_cmp_gt_i32_e32 vcc_lo, v3, v19
	s_delay_alu instid0(VALU_DEP_3) | instskip(NEXT) | instid1(VALU_DEP_1)
	v_add_co_u32 v1, s0, v1, v4
	v_add_co_ci_u32_e64 v2, s0, 0, v2, s0
	v_cndmask_b32_e64 v4, 0, 1, vcc_lo
	s_delay_alu instid0(VALU_DEP_3) | instskip(NEXT) | instid1(VALU_DEP_3)
	v_add_co_u32 v1, vcc_lo, v1, v5
	v_add_co_ci_u32_e32 v2, vcc_lo, 0, v2, vcc_lo
	s_delay_alu instid0(VALU_DEP_2) | instskip(NEXT) | instid1(VALU_DEP_2)
	v_add_co_u32 v1, vcc_lo, v1, v4
	v_add_co_ci_u32_e32 v2, vcc_lo, 0, v2, vcc_lo
	s_cbranch_scc1 .LBB212_129
; %bb.130:
	v_lshlrev_b32_e32 v4, 2, v0
	s_cmp_eq_u32 s16, 0
	v_lshlrev_b32_e32 v0, 5, v0
	s_cselect_b32 s0, 2, 1
	s_cselect_b32 s1, 1, 2
	v_or_b32_e32 v5, s0, v4
	v_or_b32_e32 v4, s1, v4
	v_add3_u32 v6, 0, v0, 0x400
	v_add3_u32 v0, 0, 0x400, v0
	v_lshlrev_b64 v[12:13], 2, v[1:2]
	v_lshlrev_b32_e32 v5, 3, v5
	v_lshlrev_b32_e32 v4, 3, v4
	v_add_nc_u32_e32 v14, s30, v3
	s_delay_alu instid0(VALU_DEP_3) | instskip(NEXT) | instid1(VALU_DEP_3)
	v_add3_u32 v7, 0, v5, 0x400
	v_add3_u32 v10, 0, v4, 0x400
	ds_load_2addr_b32 v[4:5], v6 offset1:1
	ds_load_2addr_b32 v[8:9], v7 offset1:1
	ds_load_2addr_b32 v[6:7], v10 offset1:1
	ds_load_2addr_b32 v[10:11], v0 offset0:6 offset1:7
	v_lshlrev_b64 v[0:1], 5, v[1:2]
	v_add_co_u32 v2, vcc_lo, s10, v12
	v_add_co_ci_u32_e32 v3, vcc_lo, s11, v13, vcc_lo
	s_delay_alu instid0(VALU_DEP_3) | instskip(NEXT) | instid1(VALU_DEP_4)
	v_add_co_u32 v0, vcc_lo, s34, v0
	v_add_co_ci_u32_e32 v1, vcc_lo, s35, v1, vcc_lo
	global_store_b32 v[2:3], v14, off
	s_waitcnt lgkmcnt(1)
	global_store_b128 v[0:1], v[4:7], off
	s_waitcnt lgkmcnt(0)
	global_store_b128 v[0:1], v[8:11], off offset:16
.LBB212_131:
	s_nop 0
	s_sendmsg sendmsg(MSG_DEALLOC_VGPRS)
	s_endpgm
	.section	.rodata,"a",@progbits
	.p2align	6, 0x0
	.amdhsa_kernel _ZN9rocsparseL30bsrgemm_fill_block_per_row_2x2ILj256ELj16ELj256ELj137Eli21rocsparse_complex_numIfEEEv20rocsparse_direction_T4_S4_PKS4_S6_NS_24const_host_device_scalarIT5_EEPKT3_S6_PKS8_SC_S6_SE_S9_SC_S6_SE_SC_PS4_PS8_21rocsparse_index_base_SH_SH_SH_bbb
		.amdhsa_group_segment_fixed_size 0
		.amdhsa_private_segment_fixed_size 0
		.amdhsa_kernarg_size 164
		.amdhsa_user_sgpr_count 15
		.amdhsa_user_sgpr_dispatch_ptr 0
		.amdhsa_user_sgpr_queue_ptr 0
		.amdhsa_user_sgpr_kernarg_segment_ptr 1
		.amdhsa_user_sgpr_dispatch_id 0
		.amdhsa_user_sgpr_private_segment_size 0
		.amdhsa_wavefront_size32 1
		.amdhsa_uses_dynamic_stack 0
		.amdhsa_enable_private_segment 0
		.amdhsa_system_sgpr_workgroup_id_x 1
		.amdhsa_system_sgpr_workgroup_id_y 0
		.amdhsa_system_sgpr_workgroup_id_z 0
		.amdhsa_system_sgpr_workgroup_info 0
		.amdhsa_system_vgpr_workitem_id 0
		.amdhsa_next_free_vgpr 34
		.amdhsa_next_free_sgpr 52
		.amdhsa_reserve_vcc 1
		.amdhsa_float_round_mode_32 0
		.amdhsa_float_round_mode_16_64 0
		.amdhsa_float_denorm_mode_32 3
		.amdhsa_float_denorm_mode_16_64 3
		.amdhsa_dx10_clamp 1
		.amdhsa_ieee_mode 1
		.amdhsa_fp16_overflow 0
		.amdhsa_workgroup_processor_mode 1
		.amdhsa_memory_ordered 1
		.amdhsa_forward_progress 0
		.amdhsa_shared_vgpr_count 0
		.amdhsa_exception_fp_ieee_invalid_op 0
		.amdhsa_exception_fp_denorm_src 0
		.amdhsa_exception_fp_ieee_div_zero 0
		.amdhsa_exception_fp_ieee_overflow 0
		.amdhsa_exception_fp_ieee_underflow 0
		.amdhsa_exception_fp_ieee_inexact 0
		.amdhsa_exception_int_div_zero 0
	.end_amdhsa_kernel
	.section	.text._ZN9rocsparseL30bsrgemm_fill_block_per_row_2x2ILj256ELj16ELj256ELj137Eli21rocsparse_complex_numIfEEEv20rocsparse_direction_T4_S4_PKS4_S6_NS_24const_host_device_scalarIT5_EEPKT3_S6_PKS8_SC_S6_SE_S9_SC_S6_SE_SC_PS4_PS8_21rocsparse_index_base_SH_SH_SH_bbb,"axG",@progbits,_ZN9rocsparseL30bsrgemm_fill_block_per_row_2x2ILj256ELj16ELj256ELj137Eli21rocsparse_complex_numIfEEEv20rocsparse_direction_T4_S4_PKS4_S6_NS_24const_host_device_scalarIT5_EEPKT3_S6_PKS8_SC_S6_SE_S9_SC_S6_SE_SC_PS4_PS8_21rocsparse_index_base_SH_SH_SH_bbb,comdat
.Lfunc_end212:
	.size	_ZN9rocsparseL30bsrgemm_fill_block_per_row_2x2ILj256ELj16ELj256ELj137Eli21rocsparse_complex_numIfEEEv20rocsparse_direction_T4_S4_PKS4_S6_NS_24const_host_device_scalarIT5_EEPKT3_S6_PKS8_SC_S6_SE_S9_SC_S6_SE_SC_PS4_PS8_21rocsparse_index_base_SH_SH_SH_bbb, .Lfunc_end212-_ZN9rocsparseL30bsrgemm_fill_block_per_row_2x2ILj256ELj16ELj256ELj137Eli21rocsparse_complex_numIfEEEv20rocsparse_direction_T4_S4_PKS4_S6_NS_24const_host_device_scalarIT5_EEPKT3_S6_PKS8_SC_S6_SE_S9_SC_S6_SE_SC_PS4_PS8_21rocsparse_index_base_SH_SH_SH_bbb
                                        ; -- End function
	.section	.AMDGPU.csdata,"",@progbits
; Kernel info:
; codeLenInByte = 4960
; NumSgprs: 54
; NumVgprs: 34
; ScratchSize: 0
; MemoryBound: 0
; FloatMode: 240
; IeeeMode: 1
; LDSByteSize: 0 bytes/workgroup (compile time only)
; SGPRBlocks: 6
; VGPRBlocks: 4
; NumSGPRsForWavesPerEU: 54
; NumVGPRsForWavesPerEU: 34
; Occupancy: 16
; WaveLimiterHint : 1
; COMPUTE_PGM_RSRC2:SCRATCH_EN: 0
; COMPUTE_PGM_RSRC2:USER_SGPR: 15
; COMPUTE_PGM_RSRC2:TRAP_HANDLER: 0
; COMPUTE_PGM_RSRC2:TGID_X_EN: 1
; COMPUTE_PGM_RSRC2:TGID_Y_EN: 0
; COMPUTE_PGM_RSRC2:TGID_Z_EN: 0
; COMPUTE_PGM_RSRC2:TIDIG_COMP_CNT: 0
	.section	.text._ZN9rocsparseL30bsrgemm_fill_block_per_row_2x2ILj256ELj16ELj512ELj137Eli21rocsparse_complex_numIfEEEv20rocsparse_direction_T4_S4_PKS4_S6_NS_24const_host_device_scalarIT5_EEPKT3_S6_PKS8_SC_S6_SE_S9_SC_S6_SE_SC_PS4_PS8_21rocsparse_index_base_SH_SH_SH_bbb,"axG",@progbits,_ZN9rocsparseL30bsrgemm_fill_block_per_row_2x2ILj256ELj16ELj512ELj137Eli21rocsparse_complex_numIfEEEv20rocsparse_direction_T4_S4_PKS4_S6_NS_24const_host_device_scalarIT5_EEPKT3_S6_PKS8_SC_S6_SE_S9_SC_S6_SE_SC_PS4_PS8_21rocsparse_index_base_SH_SH_SH_bbb,comdat
	.globl	_ZN9rocsparseL30bsrgemm_fill_block_per_row_2x2ILj256ELj16ELj512ELj137Eli21rocsparse_complex_numIfEEEv20rocsparse_direction_T4_S4_PKS4_S6_NS_24const_host_device_scalarIT5_EEPKT3_S6_PKS8_SC_S6_SE_S9_SC_S6_SE_SC_PS4_PS8_21rocsparse_index_base_SH_SH_SH_bbb ; -- Begin function _ZN9rocsparseL30bsrgemm_fill_block_per_row_2x2ILj256ELj16ELj512ELj137Eli21rocsparse_complex_numIfEEEv20rocsparse_direction_T4_S4_PKS4_S6_NS_24const_host_device_scalarIT5_EEPKT3_S6_PKS8_SC_S6_SE_S9_SC_S6_SE_SC_PS4_PS8_21rocsparse_index_base_SH_SH_SH_bbb
	.p2align	8
	.type	_ZN9rocsparseL30bsrgemm_fill_block_per_row_2x2ILj256ELj16ELj512ELj137Eli21rocsparse_complex_numIfEEEv20rocsparse_direction_T4_S4_PKS4_S6_NS_24const_host_device_scalarIT5_EEPKT3_S6_PKS8_SC_S6_SE_S9_SC_S6_SE_SC_PS4_PS8_21rocsparse_index_base_SH_SH_SH_bbb,@function
_ZN9rocsparseL30bsrgemm_fill_block_per_row_2x2ILj256ELj16ELj512ELj137Eli21rocsparse_complex_numIfEEEv20rocsparse_direction_T4_S4_PKS4_S6_NS_24const_host_device_scalarIT5_EEPKT3_S6_PKS8_SC_S6_SE_S9_SC_S6_SE_SC_PS4_PS8_21rocsparse_index_base_SH_SH_SH_bbb: ; @_ZN9rocsparseL30bsrgemm_fill_block_per_row_2x2ILj256ELj16ELj512ELj137Eli21rocsparse_complex_numIfEEEv20rocsparse_direction_T4_S4_PKS4_S6_NS_24const_host_device_scalarIT5_EEPKT3_S6_PKS8_SC_S6_SE_S9_SC_S6_SE_SC_PS4_PS8_21rocsparse_index_base_SH_SH_SH_bbb
; %bb.0:
	s_mov_b32 s40, s15
	s_clause 0x6
	s_load_b32 s33, s[0:1], 0xa0
	s_load_b256 s[4:11], s[0:1], 0x68
	s_load_b256 s[12:19], s[0:1], 0x48
	s_load_b128 s[36:39], s[0:1], 0x10
	s_load_b256 s[20:27], s[0:1], 0x28
	s_load_b64 s[34:35], s[0:1], 0x88
	s_load_b128 s[28:31], s[0:1], 0x90
	s_mov_b32 s3, 0
	s_mov_b32 s43, 0
	s_waitcnt lgkmcnt(0)
	s_bitcmp1_b32 s33, 0
	s_cselect_b32 s41, -1, 0
	s_bitcmp1_b32 s33, 16
	s_cselect_b32 s2, -1, 0
	s_delay_alu instid0(SALU_CYCLE_1) | instskip(SKIP_2) | instid1(VALU_DEP_1)
	s_xor_b32 s42, s2, -1
	s_bitcmp0_b32 s33, 0
	v_cndmask_b32_e64 v1, 0, 1, s42
	v_cmp_ne_u32_e32 vcc_lo, 1, v1
	s_cbranch_scc1 .LBB213_5
; %bb.1:
	s_load_b64 s[2:3], s[0:1], 0x20
	s_and_b32 vcc_lo, exec_lo, vcc_lo
	s_waitcnt lgkmcnt(0)
	s_mov_b32 s43, s2
	s_cbranch_vccnz .LBB213_3
; %bb.2:
	s_load_b32 s43, s[2:3], 0x0
.LBB213_3:
	s_and_not1_b32 vcc_lo, exec_lo, s42
	s_cbranch_vccnz .LBB213_5
; %bb.4:
	s_load_b32 s3, s[2:3], 0x4
.LBB213_5:
	s_bitcmp1_b32 s33, 8
	s_mov_b32 s42, 0
	s_cselect_b32 s44, -1, 0
	s_bfe_u32 s2, s33, 0x10008
	s_mov_b32 s33, 0
	s_cmp_eq_u32 s2, 0
	s_cbranch_scc1 .LBB213_11
; %bb.6:
	v_cmp_ne_u32_e32 vcc_lo, 1, v1
	s_mov_b32 s33, s16
	s_cbranch_vccnz .LBB213_8
; %bb.7:
	s_load_b32 s33, s[16:17], 0x0
.LBB213_8:
	v_cmp_ne_u32_e32 vcc_lo, 1, v1
	s_cbranch_vccnz .LBB213_10
; %bb.9:
	s_load_b32 s17, s[16:17], 0x4
.LBB213_10:
	s_waitcnt lgkmcnt(0)
	s_mov_b32 s42, s17
.LBB213_11:
	s_load_b32 s16, s[0:1], 0x8
	v_cmp_gt_u32_e64 s2, 0x200, v0
	v_or_b32_e32 v1, 0xffffff00, v0
	s_mov_b32 s17, exec_lo
	v_cmpx_lt_u32_e32 0x1ff, v0
	s_xor_b32 s17, exec_lo, s17
; %bb.12:
	v_or_b32_e32 v1, 0xffffff00, v0
; %bb.13:
	s_and_not1_saveexec_b32 s17, s17
	s_cbranch_execz .LBB213_17
; %bb.14:
	v_lshl_add_u32 v2, v0, 2, 0
	s_waitcnt lgkmcnt(0)
	v_dual_mov_b32 v3, s16 :: v_dual_mov_b32 v4, v1
	s_mov_b32 s45, 0
.LBB213_15:                             ; =>This Inner Loop Header: Depth=1
	s_delay_alu instid0(VALU_DEP_1) | instskip(NEXT) | instid1(VALU_DEP_1)
	v_add_co_u32 v4, s46, 0x100, v4
	s_xor_b32 s46, s46, -1
	ds_store_b32 v2, v3
	v_add_nc_u32_e32 v2, 0x400, v2
	s_and_b32 s46, exec_lo, s46
	s_delay_alu instid0(SALU_CYCLE_1) | instskip(NEXT) | instid1(SALU_CYCLE_1)
	s_or_b32 s45, s46, s45
	s_and_not1_b32 exec_lo, exec_lo, s45
	s_cbranch_execnz .LBB213_15
; %bb.16:
	s_or_b32 exec_lo, exec_lo, s45
.LBB213_17:
	s_delay_alu instid0(SALU_CYCLE_1) | instskip(SKIP_2) | instid1(VALU_DEP_1)
	s_or_b32 exec_lo, exec_lo, s17
	v_dual_mov_b32 v3, 0 :: v_dual_lshlrev_b32 v2, 3, v0
	s_mov_b32 s17, 0
	v_add3_u32 v2, v2, 0, 0x800
.LBB213_18:                             ; =>This Inner Loop Header: Depth=1
	v_add_nc_u32_e32 v1, 0x100, v1
	ds_store_2addr_b32 v2, v3, v3 offset1:1
	v_add_nc_u32_e32 v2, 0x800, v2
	v_cmp_lt_u32_e32 vcc_lo, 0x6ff, v1
	s_or_b32 s17, vcc_lo, s17
	s_delay_alu instid0(SALU_CYCLE_1)
	s_and_not1_b32 exec_lo, exec_lo, s17
	s_cbranch_execnz .LBB213_18
; %bb.19:
	s_or_b32 exec_lo, exec_lo, s17
	s_cmp_lg_u64 s[38:39], 0
	s_waitcnt lgkmcnt(0)
	s_barrier
	buffer_gl0_inv
	s_cbranch_scc0 .LBB213_21
; %bb.20:
	s_load_b32 s17, s[36:37], 0x0
	s_mov_b32 s37, 0
	s_waitcnt lgkmcnt(0)
	s_add_i32 s36, s17, s40
	s_delay_alu instid0(SALU_CYCLE_1) | instskip(NEXT) | instid1(SALU_CYCLE_1)
	s_lshl_b64 s[36:37], s[36:37], 2
	s_add_u32 s36, s38, s36
	s_addc_u32 s37, s39, s37
	s_load_b32 s40, s[36:37], 0x0
.LBB213_21:
	s_load_b32 s17, s[0:1], 0x0
	s_and_not1_b32 vcc_lo, exec_lo, s41
	s_waitcnt lgkmcnt(0)
	s_ashr_i32 s41, s40, 31
	s_cbranch_vccnz .LBB213_77
; %bb.22:
	s_lshl_b64 s[0:1], s[40:41], 3
	v_lshrrev_b32_e32 v1, 4, v0
	s_add_u32 s0, s20, s0
	s_addc_u32 s1, s21, s1
	s_mov_b32 s21, 0
	s_load_b128 s[36:39], s[0:1], 0x0
	v_sub_co_u32 v1, s0, v1, s28
	s_delay_alu instid0(VALU_DEP_1) | instskip(SKIP_2) | instid1(VALU_DEP_2)
	v_sub_co_ci_u32_e64 v2, null, 0, 0, s0
	s_mov_b32 s20, exec_lo
	s_waitcnt lgkmcnt(0)
	v_add_co_u32 v1, vcc_lo, s36, v1
	s_delay_alu instid0(VALU_DEP_2)
	v_add_co_ci_u32_e32 v2, vcc_lo, s37, v2, vcc_lo
	s_sub_u32 s0, s38, s28
	s_subb_u32 s1, s39, 0
	s_delay_alu instid0(VALU_DEP_1) | instid1(SALU_CYCLE_1)
	v_cmpx_gt_i64_e64 s[0:1], v[1:2]
	s_cbranch_execz .LBB213_76
; %bb.23:
	v_and_b32_e32 v3, 15, v0
	s_cmp_eq_u32 s17, 0
	s_cselect_b32 s37, 2, 1
	s_cselect_b32 s38, 1, 2
	s_delay_alu instid0(VALU_DEP_1) | instskip(NEXT) | instid1(VALU_DEP_1)
	v_sub_co_u32 v16, s36, v3, s29
	v_sub_co_ci_u32_e64 v17, null, 0, 0, s36
	s_mov_b32 s36, s29
	s_branch .LBB213_25
.LBB213_24:                             ;   in Loop: Header=BB213_25 Depth=1
	s_or_b32 exec_lo, exec_lo, s39
	v_add_co_u32 v1, vcc_lo, v1, 16
	v_add_co_ci_u32_e32 v2, vcc_lo, 0, v2, vcc_lo
	s_delay_alu instid0(VALU_DEP_1) | instskip(SKIP_1) | instid1(SALU_CYCLE_1)
	v_cmp_le_i64_e32 vcc_lo, s[0:1], v[1:2]
	s_or_b32 s21, vcc_lo, s21
	s_and_not1_b32 exec_lo, exec_lo, s21
	s_cbranch_execz .LBB213_76
.LBB213_25:                             ; =>This Loop Header: Depth=1
                                        ;     Child Loop BB213_28 Depth 2
                                        ;       Child Loop BB213_30 Depth 3
                                        ;       Child Loop BB213_42 Depth 3
	;; [unrolled: 1-line block ×4, first 2 shown]
	v_lshlrev_b64 v[7:8], 2, v[1:2]
	s_mov_b32 s39, exec_lo
	s_delay_alu instid0(VALU_DEP_1) | instskip(NEXT) | instid1(VALU_DEP_2)
	v_add_co_u32 v3, vcc_lo, s22, v7
	v_add_co_ci_u32_e32 v4, vcc_lo, s23, v8, vcc_lo
	global_load_b32 v3, v[3:4], off
	s_waitcnt vmcnt(0)
	v_subrev_nc_u32_e32 v3, s28, v3
	s_delay_alu instid0(VALU_DEP_1) | instskip(NEXT) | instid1(VALU_DEP_1)
	v_ashrrev_i32_e32 v4, 31, v3
	v_lshlrev_b64 v[3:4], 3, v[3:4]
	s_delay_alu instid0(VALU_DEP_1) | instskip(NEXT) | instid1(VALU_DEP_2)
	v_add_co_u32 v3, vcc_lo, s26, v3
	v_add_co_ci_u32_e32 v4, vcc_lo, s27, v4, vcc_lo
	global_load_b128 v[9:12], v[3:4], off
	s_waitcnt vmcnt(0)
	v_sub_co_u32 v3, vcc_lo, v11, s36
	v_subrev_co_ci_u32_e32 v4, vcc_lo, 0, v12, vcc_lo
	v_add_co_u32 v5, vcc_lo, v9, v16
	v_add_co_ci_u32_e32 v6, vcc_lo, v10, v17, vcc_lo
	s_delay_alu instid0(VALU_DEP_1)
	v_cmpx_lt_i64_e64 v[5:6], v[3:4]
	s_cbranch_execz .LBB213_24
; %bb.26:                               ;   in Loop: Header=BB213_25 Depth=1
	v_or_b32_e32 v12, 0, v8
	v_or_b32_e32 v11, s37, v7
	v_lshlrev_b64 v[9:10], 5, v[1:2]
	v_or_b32_e32 v8, 0, v8
	v_or_b32_e32 v7, s38, v7
	s_mov_b32 s45, 0
	v_lshlrev_b64 v[11:12], 3, v[11:12]
	s_delay_alu instid0(VALU_DEP_4) | instskip(NEXT) | instid1(VALU_DEP_3)
	v_add_co_u32 v9, vcc_lo, s24, v9
	v_lshlrev_b64 v[7:8], 3, v[7:8]
	v_add_co_ci_u32_e32 v10, vcc_lo, s25, v10, vcc_lo
	s_delay_alu instid0(VALU_DEP_4) | instskip(SKIP_1) | instid1(VALU_DEP_4)
	v_add_co_u32 v11, vcc_lo, s24, v11
	v_add_co_ci_u32_e32 v12, vcc_lo, s25, v12, vcc_lo
	v_add_co_u32 v7, vcc_lo, s24, v7
	v_add_co_ci_u32_e32 v8, vcc_lo, s25, v8, vcc_lo
	s_clause 0x3
	global_load_b64 v[13:14], v[9:10], off
	global_load_b64 v[11:12], v[11:12], off
	;; [unrolled: 1-line block ×3, first 2 shown]
	global_load_b64 v[9:10], v[9:10], off offset:24
	s_waitcnt vmcnt(3)
	v_mul_f32_e64 v18, v14, -s3
	v_mul_f32_e32 v19, s43, v14
	s_waitcnt vmcnt(2)
	v_mul_f32_e64 v20, v12, -s3
	s_waitcnt vmcnt(0)
	v_dual_mul_f32 v21, s43, v12 :: v_dual_mul_f32 v22, s43, v10
	v_fmac_f32_e32 v18, s43, v13
	v_fmac_f32_e32 v19, s3, v13
	v_mul_f32_e64 v23, v10, -s3
	v_mul_f32_e64 v25, v8, -s3
	v_fmac_f32_e32 v20, s43, v11
	v_dual_mul_f32 v24, s43, v8 :: v_dual_fmac_f32 v21, s3, v11
	s_delay_alu instid0(VALU_DEP_3) | instskip(NEXT) | instid1(VALU_DEP_2)
	v_dual_fmac_f32 v22, s3, v9 :: v_dual_fmac_f32 v25, s43, v7
	v_dual_fmac_f32 v23, s43, v9 :: v_dual_fmac_f32 v24, s3, v7
	s_branch .LBB213_28
.LBB213_27:                             ;   in Loop: Header=BB213_28 Depth=2
	s_or_b32 exec_lo, exec_lo, s46
	v_add_co_u32 v5, vcc_lo, v5, 16
	v_add_co_ci_u32_e32 v6, vcc_lo, 0, v6, vcc_lo
	s_delay_alu instid0(VALU_DEP_1) | instskip(SKIP_1) | instid1(SALU_CYCLE_1)
	v_cmp_ge_i64_e32 vcc_lo, v[5:6], v[3:4]
	s_or_b32 s45, vcc_lo, s45
	s_and_not1_b32 exec_lo, exec_lo, s45
	s_cbranch_execz .LBB213_24
.LBB213_28:                             ;   Parent Loop BB213_25 Depth=1
                                        ; =>  This Loop Header: Depth=2
                                        ;       Child Loop BB213_30 Depth 3
                                        ;       Child Loop BB213_42 Depth 3
	;; [unrolled: 1-line block ×4, first 2 shown]
	v_lshlrev_b64 v[7:8], 2, v[5:6]
	v_lshlrev_b64 v[26:27], 5, v[5:6]
	s_mov_b32 s46, 0
	s_delay_alu instid0(VALU_DEP_2) | instskip(NEXT) | instid1(VALU_DEP_3)
	v_or_b32_e32 v10, 0, v8
	v_or_b32_e32 v9, s37, v7
	v_add_co_u32 v11, vcc_lo, s12, v7
	v_add_co_ci_u32_e32 v12, vcc_lo, s13, v8, vcc_lo
	s_delay_alu instid0(VALU_DEP_3) | instskip(SKIP_2) | instid1(VALU_DEP_3)
	v_lshlrev_b64 v[9:10], 3, v[9:10]
	v_or_b32_e32 v8, 0, v8
	v_or_b32_e32 v7, s38, v7
	v_add_co_u32 v9, vcc_lo, s14, v9
	s_delay_alu instid0(VALU_DEP_4) | instskip(NEXT) | instid1(VALU_DEP_3)
	v_add_co_ci_u32_e32 v10, vcc_lo, s15, v10, vcc_lo
	v_lshlrev_b64 v[7:8], 3, v[7:8]
	global_load_b32 v15, v[11:12], off
	global_load_b64 v[13:14], v[9:10], off
	v_add_co_u32 v9, vcc_lo, s14, v26
	v_add_co_ci_u32_e32 v10, vcc_lo, s15, v27, vcc_lo
	v_add_co_u32 v7, vcc_lo, s14, v7
	v_add_co_ci_u32_e32 v8, vcc_lo, s15, v8, vcc_lo
	s_clause 0x2
	global_load_b64 v[11:12], v[9:10], off
	global_load_b64 v[7:8], v[7:8], off
	global_load_b64 v[9:10], v[9:10], off offset:24
	s_waitcnt vmcnt(4)
	v_subrev_nc_u32_e32 v26, s29, v15
	s_waitcnt vmcnt(3)
	v_mul_f32_e64 v15, v14, -v24
	s_delay_alu instid0(VALU_DEP_2) | instskip(NEXT) | instid1(VALU_DEP_2)
	v_mul_lo_u32 v27, 0x89, v26
	v_fmac_f32_e32 v15, v25, v13
	s_waitcnt vmcnt(2)
	s_delay_alu instid0(VALU_DEP_1) | instskip(NEXT) | instid1(VALU_DEP_1)
	v_dual_mul_f32 v28, v25, v14 :: v_dual_fmac_f32 v15, v18, v11
	v_dual_fmac_f32 v28, v24, v13 :: v_dual_and_b32 v27, 0x1ff, v27
	s_delay_alu instid0(VALU_DEP_2) | instskip(NEXT) | instid1(VALU_DEP_2)
	v_fma_f32 v29, -v19, v12, v15
	v_fmac_f32_e32 v28, v19, v11
	s_delay_alu instid0(VALU_DEP_3) | instskip(NEXT) | instid1(VALU_DEP_2)
	v_mov_b32_e32 v30, v27
	v_fmac_f32_e32 v28, v18, v12
	s_branch .LBB213_30
.LBB213_29:                             ;   in Loop: Header=BB213_30 Depth=3
	s_or_b32 exec_lo, exec_lo, s47
	s_xor_b32 s47, s48, -1
	s_delay_alu instid0(SALU_CYCLE_1) | instskip(NEXT) | instid1(SALU_CYCLE_1)
	s_and_b32 s47, exec_lo, s47
	s_or_b32 s46, s47, s46
	s_delay_alu instid0(SALU_CYCLE_1)
	s_and_not1_b32 exec_lo, exec_lo, s46
	s_cbranch_execz .LBB213_40
.LBB213_30:                             ;   Parent Loop BB213_25 Depth=1
                                        ;     Parent Loop BB213_28 Depth=2
                                        ; =>    This Inner Loop Header: Depth=3
	s_delay_alu instid0(VALU_DEP_2)
	v_lshl_add_u32 v15, v30, 2, 0
	s_mov_b32 s47, exec_lo
                                        ; implicit-def: $sgpr48
	ds_load_b32 v31, v15
	s_waitcnt lgkmcnt(0)
	v_cmpx_ne_u32_e64 v31, v26
	s_xor_b32 s47, exec_lo, s47
	s_cbranch_execz .LBB213_38
; %bb.31:                               ;   in Loop: Header=BB213_30 Depth=3
	s_mov_b32 s49, exec_lo
                                        ; implicit-def: $sgpr48
	v_cmpx_ne_u32_e64 s16, v31
	s_xor_b32 s49, exec_lo, s49
; %bb.32:                               ;   in Loop: Header=BB213_30 Depth=3
	v_add_nc_u32_e32 v15, 1, v30
	s_mov_b32 s48, -1
	s_delay_alu instid0(VALU_DEP_1)
	v_and_b32_e32 v30, 0x1ff, v15
                                        ; implicit-def: $vgpr15
; %bb.33:                               ;   in Loop: Header=BB213_30 Depth=3
	s_and_not1_saveexec_b32 s49, s49
	s_cbranch_execz .LBB213_37
; %bb.34:                               ;   in Loop: Header=BB213_30 Depth=3
	v_mov_b32_e32 v31, s16
	s_mov_b32 s51, -1
	s_mov_b32 s50, exec_lo
	ds_cmpstore_rtn_b32 v31, v15, v26, v31
	s_waitcnt lgkmcnt(0)
	v_cmpx_eq_u32_e64 s16, v31
	s_cbranch_execz .LBB213_36
; %bb.35:                               ;   in Loop: Header=BB213_30 Depth=3
	v_mad_u64_u32 v[31:32], null, v30, 28, v[15:16]
	s_xor_b32 s51, exec_lo, -1
	ds_add_f32 v31, v29 offset:2048
	ds_add_f32 v31, v28 offset:2052
.LBB213_36:                             ;   in Loop: Header=BB213_30 Depth=3
	s_or_b32 exec_lo, exec_lo, s50
	s_delay_alu instid0(SALU_CYCLE_1) | instskip(SKIP_1) | instid1(SALU_CYCLE_1)
	s_and_not1_b32 s48, s48, exec_lo
	s_and_b32 s50, s51, exec_lo
	s_or_b32 s48, s48, s50
.LBB213_37:                             ;   in Loop: Header=BB213_30 Depth=3
	s_or_b32 exec_lo, exec_lo, s49
	s_delay_alu instid0(SALU_CYCLE_1)
	s_and_b32 s48, s48, exec_lo
                                        ; implicit-def: $vgpr15
.LBB213_38:                             ;   in Loop: Header=BB213_30 Depth=3
	s_and_not1_saveexec_b32 s47, s47
	s_cbranch_execz .LBB213_29
; %bb.39:                               ;   in Loop: Header=BB213_30 Depth=3
	v_mad_u64_u32 v[31:32], null, v30, 28, v[15:16]
	s_and_not1_b32 s48, s48, exec_lo
	ds_add_f32 v31, v29 offset:2048
	ds_add_f32 v31, v28 offset:2052
	s_branch .LBB213_29
.LBB213_40:                             ;   in Loop: Header=BB213_28 Depth=2
	s_or_b32 exec_lo, exec_lo, s46
	s_waitcnt vmcnt(0)
	v_mul_f32_e64 v15, v10, -v24
	v_mov_b32_e32 v30, v27
	s_mov_b32 s46, 0
	s_delay_alu instid0(VALU_DEP_2) | instskip(NEXT) | instid1(VALU_DEP_1)
	v_fmac_f32_e32 v15, v25, v9
	v_dual_mul_f32 v28, v25, v10 :: v_dual_fmac_f32 v15, v18, v7
	s_delay_alu instid0(VALU_DEP_1) | instskip(NEXT) | instid1(VALU_DEP_2)
	v_fmac_f32_e32 v28, v24, v9
	v_fma_f32 v29, -v19, v8, v15
	s_delay_alu instid0(VALU_DEP_2) | instskip(NEXT) | instid1(VALU_DEP_1)
	v_fmac_f32_e32 v28, v19, v7
	v_fmac_f32_e32 v28, v18, v8
	s_branch .LBB213_42
.LBB213_41:                             ;   in Loop: Header=BB213_42 Depth=3
	s_or_b32 exec_lo, exec_lo, s47
	s_xor_b32 s47, s48, -1
	s_delay_alu instid0(SALU_CYCLE_1) | instskip(NEXT) | instid1(SALU_CYCLE_1)
	s_and_b32 s47, exec_lo, s47
	s_or_b32 s46, s47, s46
	s_delay_alu instid0(SALU_CYCLE_1)
	s_and_not1_b32 exec_lo, exec_lo, s46
	s_cbranch_execz .LBB213_52
.LBB213_42:                             ;   Parent Loop BB213_25 Depth=1
                                        ;     Parent Loop BB213_28 Depth=2
                                        ; =>    This Inner Loop Header: Depth=3
	v_lshl_add_u32 v15, v30, 2, 0
	s_mov_b32 s47, exec_lo
                                        ; implicit-def: $sgpr48
	ds_load_b32 v31, v15
	s_waitcnt lgkmcnt(0)
	v_cmpx_ne_u32_e64 v31, v26
	s_xor_b32 s47, exec_lo, s47
	s_cbranch_execz .LBB213_50
; %bb.43:                               ;   in Loop: Header=BB213_42 Depth=3
	s_mov_b32 s49, exec_lo
                                        ; implicit-def: $sgpr48
	v_cmpx_ne_u32_e64 s16, v31
	s_xor_b32 s49, exec_lo, s49
; %bb.44:                               ;   in Loop: Header=BB213_42 Depth=3
	v_add_nc_u32_e32 v15, 1, v30
	s_mov_b32 s48, -1
	s_delay_alu instid0(VALU_DEP_1)
	v_and_b32_e32 v30, 0x1ff, v15
                                        ; implicit-def: $vgpr15
; %bb.45:                               ;   in Loop: Header=BB213_42 Depth=3
	s_and_not1_saveexec_b32 s49, s49
	s_cbranch_execz .LBB213_49
; %bb.46:                               ;   in Loop: Header=BB213_42 Depth=3
	v_mov_b32_e32 v31, s16
	s_mov_b32 s51, -1
	s_mov_b32 s50, exec_lo
	ds_cmpstore_rtn_b32 v31, v15, v26, v31
	s_waitcnt lgkmcnt(0)
	v_cmpx_eq_u32_e64 s16, v31
	s_cbranch_execz .LBB213_48
; %bb.47:                               ;   in Loop: Header=BB213_42 Depth=3
	v_mad_u64_u32 v[31:32], null, v30, 28, v[15:16]
	s_xor_b32 s51, exec_lo, -1
	ds_add_f32 v31, v29 offset:2056
	ds_add_f32 v31, v28 offset:2060
.LBB213_48:                             ;   in Loop: Header=BB213_42 Depth=3
	s_or_b32 exec_lo, exec_lo, s50
	s_delay_alu instid0(SALU_CYCLE_1) | instskip(SKIP_1) | instid1(SALU_CYCLE_1)
	s_and_not1_b32 s48, s48, exec_lo
	s_and_b32 s50, s51, exec_lo
	s_or_b32 s48, s48, s50
.LBB213_49:                             ;   in Loop: Header=BB213_42 Depth=3
	s_or_b32 exec_lo, exec_lo, s49
	s_delay_alu instid0(SALU_CYCLE_1)
	s_and_b32 s48, s48, exec_lo
                                        ; implicit-def: $vgpr15
.LBB213_50:                             ;   in Loop: Header=BB213_42 Depth=3
	s_and_not1_saveexec_b32 s47, s47
	s_cbranch_execz .LBB213_41
; %bb.51:                               ;   in Loop: Header=BB213_42 Depth=3
	v_mad_u64_u32 v[31:32], null, v30, 28, v[15:16]
	s_and_not1_b32 s48, s48, exec_lo
	ds_add_f32 v31, v29 offset:2056
	ds_add_f32 v31, v28 offset:2060
	s_branch .LBB213_41
.LBB213_52:                             ;   in Loop: Header=BB213_28 Depth=2
	s_or_b32 exec_lo, exec_lo, s46
	v_mul_f32_e64 v15, v14, -v22
	s_mov_b32 s46, 0
	s_delay_alu instid0(VALU_DEP_1) | instskip(NEXT) | instid1(VALU_DEP_1)
	v_fmac_f32_e32 v15, v23, v13
	v_dual_mul_f32 v14, v23, v14 :: v_dual_fmac_f32 v15, v20, v11
	s_delay_alu instid0(VALU_DEP_1) | instskip(NEXT) | instid1(VALU_DEP_2)
	v_fmac_f32_e32 v14, v22, v13
	v_fma_f32 v13, -v21, v12, v15
	s_delay_alu instid0(VALU_DEP_2) | instskip(NEXT) | instid1(VALU_DEP_1)
	v_fmac_f32_e32 v14, v21, v11
	v_fmac_f32_e32 v14, v20, v12
	v_mov_b32_e32 v12, v27
	s_branch .LBB213_54
.LBB213_53:                             ;   in Loop: Header=BB213_54 Depth=3
	s_or_b32 exec_lo, exec_lo, s47
	s_xor_b32 s47, s48, -1
	s_delay_alu instid0(SALU_CYCLE_1) | instskip(NEXT) | instid1(SALU_CYCLE_1)
	s_and_b32 s47, exec_lo, s47
	s_or_b32 s46, s47, s46
	s_delay_alu instid0(SALU_CYCLE_1)
	s_and_not1_b32 exec_lo, exec_lo, s46
	s_cbranch_execz .LBB213_64
.LBB213_54:                             ;   Parent Loop BB213_25 Depth=1
                                        ;     Parent Loop BB213_28 Depth=2
                                        ; =>    This Inner Loop Header: Depth=3
	s_delay_alu instid0(VALU_DEP_1)
	v_lshl_add_u32 v11, v12, 2, 0
	s_mov_b32 s47, exec_lo
                                        ; implicit-def: $sgpr48
	ds_load_b32 v15, v11
	s_waitcnt lgkmcnt(0)
	v_cmpx_ne_u32_e64 v15, v26
	s_xor_b32 s47, exec_lo, s47
	s_cbranch_execz .LBB213_62
; %bb.55:                               ;   in Loop: Header=BB213_54 Depth=3
	s_mov_b32 s49, exec_lo
                                        ; implicit-def: $sgpr48
	v_cmpx_ne_u32_e64 s16, v15
	s_xor_b32 s49, exec_lo, s49
; %bb.56:                               ;   in Loop: Header=BB213_54 Depth=3
	v_add_nc_u32_e32 v11, 1, v12
	s_mov_b32 s48, -1
	s_delay_alu instid0(VALU_DEP_1)
	v_and_b32_e32 v12, 0x1ff, v11
                                        ; implicit-def: $vgpr11
; %bb.57:                               ;   in Loop: Header=BB213_54 Depth=3
	s_and_not1_saveexec_b32 s49, s49
	s_cbranch_execz .LBB213_61
; %bb.58:                               ;   in Loop: Header=BB213_54 Depth=3
	v_mov_b32_e32 v15, s16
	s_mov_b32 s51, -1
	s_mov_b32 s50, exec_lo
	ds_cmpstore_rtn_b32 v15, v11, v26, v15
	s_waitcnt lgkmcnt(0)
	v_cmpx_eq_u32_e64 s16, v15
	s_cbranch_execz .LBB213_60
; %bb.59:                               ;   in Loop: Header=BB213_54 Depth=3
	v_mad_u64_u32 v[28:29], null, v12, 28, v[11:12]
	s_xor_b32 s51, exec_lo, -1
	ds_add_f32 v28, v13 offset:2064
	ds_add_f32 v28, v14 offset:2068
.LBB213_60:                             ;   in Loop: Header=BB213_54 Depth=3
	s_or_b32 exec_lo, exec_lo, s50
	s_delay_alu instid0(SALU_CYCLE_1) | instskip(SKIP_1) | instid1(SALU_CYCLE_1)
	s_and_not1_b32 s48, s48, exec_lo
	s_and_b32 s50, s51, exec_lo
	s_or_b32 s48, s48, s50
.LBB213_61:                             ;   in Loop: Header=BB213_54 Depth=3
	s_or_b32 exec_lo, exec_lo, s49
	s_delay_alu instid0(SALU_CYCLE_1)
	s_and_b32 s48, s48, exec_lo
                                        ; implicit-def: $vgpr11
.LBB213_62:                             ;   in Loop: Header=BB213_54 Depth=3
	s_and_not1_saveexec_b32 s47, s47
	s_cbranch_execz .LBB213_53
; %bb.63:                               ;   in Loop: Header=BB213_54 Depth=3
	v_mad_u64_u32 v[28:29], null, v12, 28, v[11:12]
	s_and_not1_b32 s48, s48, exec_lo
	ds_add_f32 v28, v13 offset:2064
	ds_add_f32 v28, v14 offset:2068
	s_branch .LBB213_53
.LBB213_64:                             ;   in Loop: Header=BB213_28 Depth=2
	s_or_b32 exec_lo, exec_lo, s46
	v_mul_f32_e64 v11, v10, -v22
	s_mov_b32 s46, 0
	s_delay_alu instid0(VALU_DEP_1) | instskip(NEXT) | instid1(VALU_DEP_1)
	v_fmac_f32_e32 v11, v23, v9
	v_dual_mul_f32 v10, v23, v10 :: v_dual_fmac_f32 v11, v20, v7
	s_delay_alu instid0(VALU_DEP_1) | instskip(NEXT) | instid1(VALU_DEP_2)
	v_fmac_f32_e32 v10, v22, v9
	v_fma_f32 v9, -v21, v8, v11
	s_delay_alu instid0(VALU_DEP_2) | instskip(NEXT) | instid1(VALU_DEP_1)
	v_fmac_f32_e32 v10, v21, v7
	v_fmac_f32_e32 v10, v20, v8
	s_branch .LBB213_66
.LBB213_65:                             ;   in Loop: Header=BB213_66 Depth=3
	s_or_b32 exec_lo, exec_lo, s47
	s_xor_b32 s47, s48, -1
	s_delay_alu instid0(SALU_CYCLE_1) | instskip(NEXT) | instid1(SALU_CYCLE_1)
	s_and_b32 s47, exec_lo, s47
	s_or_b32 s46, s47, s46
	s_delay_alu instid0(SALU_CYCLE_1)
	s_and_not1_b32 exec_lo, exec_lo, s46
	s_cbranch_execz .LBB213_27
.LBB213_66:                             ;   Parent Loop BB213_25 Depth=1
                                        ;     Parent Loop BB213_28 Depth=2
                                        ; =>    This Inner Loop Header: Depth=3
	v_lshl_add_u32 v7, v27, 2, 0
	s_mov_b32 s47, exec_lo
                                        ; implicit-def: $sgpr48
	ds_load_b32 v8, v7
	s_waitcnt lgkmcnt(0)
	v_cmpx_ne_u32_e64 v8, v26
	s_xor_b32 s47, exec_lo, s47
	s_cbranch_execz .LBB213_74
; %bb.67:                               ;   in Loop: Header=BB213_66 Depth=3
	s_mov_b32 s49, exec_lo
                                        ; implicit-def: $sgpr48
	v_cmpx_ne_u32_e64 s16, v8
	s_xor_b32 s49, exec_lo, s49
; %bb.68:                               ;   in Loop: Header=BB213_66 Depth=3
	v_add_nc_u32_e32 v7, 1, v27
	s_mov_b32 s48, -1
	s_delay_alu instid0(VALU_DEP_1)
	v_and_b32_e32 v27, 0x1ff, v7
                                        ; implicit-def: $vgpr7
; %bb.69:                               ;   in Loop: Header=BB213_66 Depth=3
	s_and_not1_saveexec_b32 s49, s49
	s_cbranch_execz .LBB213_73
; %bb.70:                               ;   in Loop: Header=BB213_66 Depth=3
	v_mov_b32_e32 v8, s16
	s_mov_b32 s51, -1
	s_mov_b32 s50, exec_lo
	ds_cmpstore_rtn_b32 v8, v7, v26, v8
	s_waitcnt lgkmcnt(0)
	v_cmpx_eq_u32_e64 s16, v8
	s_cbranch_execz .LBB213_72
; %bb.71:                               ;   in Loop: Header=BB213_66 Depth=3
	v_mad_u64_u32 v[11:12], null, v27, 28, v[7:8]
	s_xor_b32 s51, exec_lo, -1
	ds_add_f32 v11, v9 offset:2072
	ds_add_f32 v11, v10 offset:2076
.LBB213_72:                             ;   in Loop: Header=BB213_66 Depth=3
	s_or_b32 exec_lo, exec_lo, s50
	s_delay_alu instid0(SALU_CYCLE_1) | instskip(SKIP_1) | instid1(SALU_CYCLE_1)
	s_and_not1_b32 s48, s48, exec_lo
	s_and_b32 s50, s51, exec_lo
	s_or_b32 s48, s48, s50
.LBB213_73:                             ;   in Loop: Header=BB213_66 Depth=3
	s_or_b32 exec_lo, exec_lo, s49
	s_delay_alu instid0(SALU_CYCLE_1)
	s_and_b32 s48, s48, exec_lo
                                        ; implicit-def: $vgpr7
.LBB213_74:                             ;   in Loop: Header=BB213_66 Depth=3
	s_and_not1_saveexec_b32 s47, s47
	s_cbranch_execz .LBB213_65
; %bb.75:                               ;   in Loop: Header=BB213_66 Depth=3
	v_mad_u64_u32 v[11:12], null, v27, 28, v[7:8]
	s_and_not1_b32 s48, s48, exec_lo
	ds_add_f32 v11, v9 offset:2072
	ds_add_f32 v11, v10 offset:2076
	s_branch .LBB213_65
.LBB213_76:
	s_or_b32 exec_lo, exec_lo, s20
.LBB213_77:
	s_delay_alu instid0(SALU_CYCLE_1)
	s_and_not1_b32 vcc_lo, exec_lo, s44
	s_waitcnt lgkmcnt(0)
	s_barrier
	buffer_gl0_inv
	s_cbranch_vccnz .LBB213_130
; %bb.78:
	s_lshl_b64 s[0:1], s[40:41], 3
	s_mov_b32 s3, exec_lo
	s_add_u32 s0, s18, s0
	s_addc_u32 s1, s19, s1
	s_load_b128 s[12:15], s[0:1], 0x0
	v_sub_co_u32 v1, s0, v0, s31
	s_delay_alu instid0(VALU_DEP_1) | instskip(SKIP_1) | instid1(VALU_DEP_2)
	v_sub_co_ci_u32_e64 v2, null, 0, 0, s0
	s_waitcnt lgkmcnt(0)
	v_add_co_u32 v1, vcc_lo, s12, v1
	s_delay_alu instid0(VALU_DEP_2) | instskip(SKIP_3) | instid1(VALU_DEP_1)
	v_add_co_ci_u32_e32 v2, vcc_lo, s13, v2, vcc_lo
	s_sub_u32 s0, s14, s31
	s_subb_u32 s1, s15, 0
	s_mov_b32 s12, 0
	v_cmpx_gt_i64_e64 s[0:1], v[1:2]
	s_cbranch_execz .LBB213_129
; %bb.79:
	s_cmp_eq_u32 s17, 0
	s_cselect_b32 s13, 1, 2
	s_cselect_b32 s14, 2, 1
	s_branch .LBB213_81
.LBB213_80:                             ;   in Loop: Header=BB213_81 Depth=1
	s_or_b32 exec_lo, exec_lo, s15
	v_add_co_u32 v1, vcc_lo, 0x100, v1
	v_add_co_ci_u32_e32 v2, vcc_lo, 0, v2, vcc_lo
	s_delay_alu instid0(VALU_DEP_1) | instskip(SKIP_1) | instid1(SALU_CYCLE_1)
	v_cmp_le_i64_e32 vcc_lo, s[0:1], v[1:2]
	s_or_b32 s12, vcc_lo, s12
	s_and_not1_b32 exec_lo, exec_lo, s12
	s_cbranch_execz .LBB213_129
.LBB213_81:                             ; =>This Loop Header: Depth=1
                                        ;     Child Loop BB213_83 Depth 2
                                        ;     Child Loop BB213_95 Depth 2
	;; [unrolled: 1-line block ×4, first 2 shown]
	v_lshlrev_b64 v[3:4], 2, v[1:2]
	v_lshlrev_b64 v[7:8], 5, v[1:2]
	s_mov_b32 s15, 0
	s_delay_alu instid0(VALU_DEP_2) | instskip(NEXT) | instid1(VALU_DEP_3)
	v_add_co_u32 v5, vcc_lo, s4, v3
	v_add_co_ci_u32_e32 v6, vcc_lo, s5, v4, vcc_lo
	v_or_b32_e32 v10, 0, v4
	v_or_b32_e32 v9, s13, v3
	;; [unrolled: 1-line block ×3, first 2 shown]
	global_load_b32 v11, v[5:6], off
	v_add_co_u32 v5, vcc_lo, s6, v7
	v_or_b32_e32 v3, s14, v3
	v_add_co_ci_u32_e32 v6, vcc_lo, s7, v8, vcc_lo
	v_lshlrev_b64 v[7:8], 3, v[9:10]
	s_delay_alu instid0(VALU_DEP_3)
	v_lshlrev_b64 v[3:4], 3, v[3:4]
	global_load_b64 v[14:15], v[5:6], off
	v_add_co_u32 v7, vcc_lo, s6, v7
	v_add_co_ci_u32_e32 v8, vcc_lo, s7, v8, vcc_lo
	v_add_co_u32 v9, vcc_lo, s6, v3
	v_add_co_ci_u32_e32 v10, vcc_lo, s7, v4, vcc_lo
	s_clause 0x2
	global_load_b64 v[3:4], v[5:6], off offset:24
	global_load_b64 v[7:8], v[7:8], off
	global_load_b64 v[5:6], v[9:10], off
	s_waitcnt vmcnt(4)
	v_subrev_nc_u32_e32 v10, s31, v11
	s_delay_alu instid0(VALU_DEP_1) | instskip(SKIP_3) | instid1(VALU_DEP_2)
	v_mul_lo_u32 v9, 0x89, v10
	s_waitcnt vmcnt(3)
	v_mul_f32_e64 v12, v15, -s42
	v_mul_f32_e32 v13, s33, v15
	v_dual_fmac_f32 v12, s33, v14 :: v_dual_and_b32 v11, 0x1ff, v9
	s_delay_alu instid0(VALU_DEP_1)
	v_dual_fmac_f32 v13, s42, v14 :: v_dual_mov_b32 v14, v11
	s_branch .LBB213_83
.LBB213_82:                             ;   in Loop: Header=BB213_83 Depth=2
	s_or_b32 exec_lo, exec_lo, s18
	s_xor_b32 s18, s19, -1
	s_delay_alu instid0(SALU_CYCLE_1) | instskip(NEXT) | instid1(SALU_CYCLE_1)
	s_and_b32 s18, exec_lo, s18
	s_or_b32 s15, s18, s15
	s_delay_alu instid0(SALU_CYCLE_1)
	s_and_not1_b32 exec_lo, exec_lo, s15
	s_cbranch_execz .LBB213_93
.LBB213_83:                             ;   Parent Loop BB213_81 Depth=1
                                        ; =>  This Inner Loop Header: Depth=2
	s_delay_alu instid0(VALU_DEP_1)
	v_lshl_add_u32 v9, v14, 2, 0
	s_mov_b32 s18, exec_lo
                                        ; implicit-def: $sgpr19
	ds_load_b32 v15, v9
	s_waitcnt lgkmcnt(0)
	v_cmpx_ne_u32_e64 v15, v10
	s_xor_b32 s18, exec_lo, s18
	s_cbranch_execz .LBB213_91
; %bb.84:                               ;   in Loop: Header=BB213_83 Depth=2
	s_mov_b32 s20, exec_lo
                                        ; implicit-def: $sgpr19
	v_cmpx_ne_u32_e64 s16, v15
	s_xor_b32 s20, exec_lo, s20
; %bb.85:                               ;   in Loop: Header=BB213_83 Depth=2
	v_add_nc_u32_e32 v9, 1, v14
	s_mov_b32 s19, -1
	s_delay_alu instid0(VALU_DEP_1)
	v_and_b32_e32 v14, 0x1ff, v9
                                        ; implicit-def: $vgpr9
; %bb.86:                               ;   in Loop: Header=BB213_83 Depth=2
	s_and_not1_saveexec_b32 s20, s20
	s_cbranch_execz .LBB213_90
; %bb.87:                               ;   in Loop: Header=BB213_83 Depth=2
	v_mov_b32_e32 v15, s16
	s_mov_b32 s22, -1
	s_mov_b32 s21, exec_lo
	ds_cmpstore_rtn_b32 v15, v9, v10, v15
	s_waitcnt lgkmcnt(0)
	v_cmpx_eq_u32_e64 s16, v15
	s_cbranch_execz .LBB213_89
; %bb.88:                               ;   in Loop: Header=BB213_83 Depth=2
	v_mad_u64_u32 v[15:16], null, v14, 28, v[9:10]
	s_xor_b32 s22, exec_lo, -1
	ds_add_f32 v15, v12 offset:2048
	ds_add_f32 v15, v13 offset:2052
.LBB213_89:                             ;   in Loop: Header=BB213_83 Depth=2
	s_or_b32 exec_lo, exec_lo, s21
	s_delay_alu instid0(SALU_CYCLE_1) | instskip(SKIP_1) | instid1(SALU_CYCLE_1)
	s_and_not1_b32 s19, s19, exec_lo
	s_and_b32 s21, s22, exec_lo
	s_or_b32 s19, s19, s21
.LBB213_90:                             ;   in Loop: Header=BB213_83 Depth=2
	s_or_b32 exec_lo, exec_lo, s20
	s_delay_alu instid0(SALU_CYCLE_1)
	s_and_b32 s19, s19, exec_lo
                                        ; implicit-def: $vgpr9
.LBB213_91:                             ;   in Loop: Header=BB213_83 Depth=2
	s_and_not1_saveexec_b32 s18, s18
	s_cbranch_execz .LBB213_82
; %bb.92:                               ;   in Loop: Header=BB213_83 Depth=2
	v_mad_u64_u32 v[15:16], null, v14, 28, v[9:10]
	s_and_not1_b32 s19, s19, exec_lo
	ds_add_f32 v15, v12 offset:2048
	ds_add_f32 v15, v13 offset:2052
	s_branch .LBB213_82
.LBB213_93:                             ;   in Loop: Header=BB213_81 Depth=1
	s_or_b32 exec_lo, exec_lo, s15
	s_waitcnt vmcnt(1)
	v_mul_f32_e64 v9, v8, -s42
	v_mul_f32_e32 v8, s33, v8
	v_mov_b32_e32 v12, v11
	s_mov_b32 s15, 0
	s_delay_alu instid0(VALU_DEP_3) | instskip(NEXT) | instid1(VALU_DEP_3)
	v_fmac_f32_e32 v9, s33, v7
	v_fmac_f32_e32 v8, s42, v7
	s_branch .LBB213_95
.LBB213_94:                             ;   in Loop: Header=BB213_95 Depth=2
	s_or_b32 exec_lo, exec_lo, s18
	s_xor_b32 s18, s19, -1
	s_delay_alu instid0(SALU_CYCLE_1) | instskip(NEXT) | instid1(SALU_CYCLE_1)
	s_and_b32 s18, exec_lo, s18
	s_or_b32 s15, s18, s15
	s_delay_alu instid0(SALU_CYCLE_1)
	s_and_not1_b32 exec_lo, exec_lo, s15
	s_cbranch_execz .LBB213_105
.LBB213_95:                             ;   Parent Loop BB213_81 Depth=1
                                        ; =>  This Inner Loop Header: Depth=2
	v_lshl_add_u32 v7, v12, 2, 0
	s_mov_b32 s18, exec_lo
                                        ; implicit-def: $sgpr19
	ds_load_b32 v13, v7
	s_waitcnt lgkmcnt(0)
	v_cmpx_ne_u32_e64 v13, v10
	s_xor_b32 s18, exec_lo, s18
	s_cbranch_execz .LBB213_103
; %bb.96:                               ;   in Loop: Header=BB213_95 Depth=2
	s_mov_b32 s20, exec_lo
                                        ; implicit-def: $sgpr19
	v_cmpx_ne_u32_e64 s16, v13
	s_xor_b32 s20, exec_lo, s20
; %bb.97:                               ;   in Loop: Header=BB213_95 Depth=2
	v_add_nc_u32_e32 v7, 1, v12
	s_mov_b32 s19, -1
	s_delay_alu instid0(VALU_DEP_1)
	v_and_b32_e32 v12, 0x1ff, v7
                                        ; implicit-def: $vgpr7
; %bb.98:                               ;   in Loop: Header=BB213_95 Depth=2
	s_and_not1_saveexec_b32 s20, s20
	s_cbranch_execz .LBB213_102
; %bb.99:                               ;   in Loop: Header=BB213_95 Depth=2
	v_mov_b32_e32 v13, s16
	s_mov_b32 s22, -1
	s_mov_b32 s21, exec_lo
	ds_cmpstore_rtn_b32 v13, v7, v10, v13
	s_waitcnt lgkmcnt(0)
	v_cmpx_eq_u32_e64 s16, v13
	s_cbranch_execz .LBB213_101
; %bb.100:                              ;   in Loop: Header=BB213_95 Depth=2
	v_mad_u64_u32 v[13:14], null, v12, 28, v[7:8]
	s_xor_b32 s22, exec_lo, -1
	ds_add_f32 v13, v9 offset:2056
	ds_add_f32 v13, v8 offset:2060
.LBB213_101:                            ;   in Loop: Header=BB213_95 Depth=2
	s_or_b32 exec_lo, exec_lo, s21
	s_delay_alu instid0(SALU_CYCLE_1) | instskip(SKIP_1) | instid1(SALU_CYCLE_1)
	s_and_not1_b32 s19, s19, exec_lo
	s_and_b32 s21, s22, exec_lo
	s_or_b32 s19, s19, s21
.LBB213_102:                            ;   in Loop: Header=BB213_95 Depth=2
	s_or_b32 exec_lo, exec_lo, s20
	s_delay_alu instid0(SALU_CYCLE_1)
	s_and_b32 s19, s19, exec_lo
                                        ; implicit-def: $vgpr7
.LBB213_103:                            ;   in Loop: Header=BB213_95 Depth=2
	s_and_not1_saveexec_b32 s18, s18
	s_cbranch_execz .LBB213_94
; %bb.104:                              ;   in Loop: Header=BB213_95 Depth=2
	v_mad_u64_u32 v[13:14], null, v12, 28, v[7:8]
	s_and_not1_b32 s19, s19, exec_lo
	ds_add_f32 v13, v9 offset:2056
	ds_add_f32 v13, v8 offset:2060
	s_branch .LBB213_94
.LBB213_105:                            ;   in Loop: Header=BB213_81 Depth=1
	s_or_b32 exec_lo, exec_lo, s15
	s_waitcnt vmcnt(0)
	v_mul_f32_e64 v7, v6, -s42
	v_mul_f32_e32 v6, s33, v6
	v_mov_b32_e32 v8, v11
	s_mov_b32 s15, 0
	s_delay_alu instid0(VALU_DEP_3) | instskip(NEXT) | instid1(VALU_DEP_3)
	v_fmac_f32_e32 v7, s33, v5
	v_fmac_f32_e32 v6, s42, v5
	s_branch .LBB213_107
.LBB213_106:                            ;   in Loop: Header=BB213_107 Depth=2
	s_or_b32 exec_lo, exec_lo, s18
	s_xor_b32 s18, s19, -1
	s_delay_alu instid0(SALU_CYCLE_1) | instskip(NEXT) | instid1(SALU_CYCLE_1)
	s_and_b32 s18, exec_lo, s18
	s_or_b32 s15, s18, s15
	s_delay_alu instid0(SALU_CYCLE_1)
	s_and_not1_b32 exec_lo, exec_lo, s15
	s_cbranch_execz .LBB213_117
.LBB213_107:                            ;   Parent Loop BB213_81 Depth=1
                                        ; =>  This Inner Loop Header: Depth=2
	v_lshl_add_u32 v5, v8, 2, 0
	s_mov_b32 s18, exec_lo
                                        ; implicit-def: $sgpr19
	ds_load_b32 v9, v5
	s_waitcnt lgkmcnt(0)
	v_cmpx_ne_u32_e64 v9, v10
	s_xor_b32 s18, exec_lo, s18
	s_cbranch_execz .LBB213_115
; %bb.108:                              ;   in Loop: Header=BB213_107 Depth=2
	s_mov_b32 s20, exec_lo
                                        ; implicit-def: $sgpr19
	v_cmpx_ne_u32_e64 s16, v9
	s_xor_b32 s20, exec_lo, s20
; %bb.109:                              ;   in Loop: Header=BB213_107 Depth=2
	v_add_nc_u32_e32 v5, 1, v8
	s_mov_b32 s19, -1
	s_delay_alu instid0(VALU_DEP_1)
	v_and_b32_e32 v8, 0x1ff, v5
                                        ; implicit-def: $vgpr5
; %bb.110:                              ;   in Loop: Header=BB213_107 Depth=2
	s_and_not1_saveexec_b32 s20, s20
	s_cbranch_execz .LBB213_114
; %bb.111:                              ;   in Loop: Header=BB213_107 Depth=2
	v_mov_b32_e32 v9, s16
	s_mov_b32 s22, -1
	s_mov_b32 s21, exec_lo
	ds_cmpstore_rtn_b32 v9, v5, v10, v9
	s_waitcnt lgkmcnt(0)
	v_cmpx_eq_u32_e64 s16, v9
	s_cbranch_execz .LBB213_113
; %bb.112:                              ;   in Loop: Header=BB213_107 Depth=2
	v_mad_u64_u32 v[12:13], null, v8, 28, v[5:6]
	s_xor_b32 s22, exec_lo, -1
	ds_add_f32 v12, v7 offset:2064
	ds_add_f32 v12, v6 offset:2068
.LBB213_113:                            ;   in Loop: Header=BB213_107 Depth=2
	s_or_b32 exec_lo, exec_lo, s21
	s_delay_alu instid0(SALU_CYCLE_1) | instskip(SKIP_1) | instid1(SALU_CYCLE_1)
	s_and_not1_b32 s19, s19, exec_lo
	s_and_b32 s21, s22, exec_lo
	s_or_b32 s19, s19, s21
.LBB213_114:                            ;   in Loop: Header=BB213_107 Depth=2
	s_or_b32 exec_lo, exec_lo, s20
	s_delay_alu instid0(SALU_CYCLE_1)
	s_and_b32 s19, s19, exec_lo
                                        ; implicit-def: $vgpr5
.LBB213_115:                            ;   in Loop: Header=BB213_107 Depth=2
	s_and_not1_saveexec_b32 s18, s18
	s_cbranch_execz .LBB213_106
; %bb.116:                              ;   in Loop: Header=BB213_107 Depth=2
	v_mad_u64_u32 v[12:13], null, v8, 28, v[5:6]
	s_and_not1_b32 s19, s19, exec_lo
	ds_add_f32 v12, v7 offset:2064
	ds_add_f32 v12, v6 offset:2068
	s_branch .LBB213_106
.LBB213_117:                            ;   in Loop: Header=BB213_81 Depth=1
	s_or_b32 exec_lo, exec_lo, s15
	v_mul_f32_e64 v5, v4, -s42
	v_mul_f32_e32 v4, s33, v4
	s_mov_b32 s15, 0
	s_delay_alu instid0(VALU_DEP_2) | instskip(NEXT) | instid1(VALU_DEP_2)
	v_fmac_f32_e32 v5, s33, v3
	v_fmac_f32_e32 v4, s42, v3
	s_branch .LBB213_119
.LBB213_118:                            ;   in Loop: Header=BB213_119 Depth=2
	s_or_b32 exec_lo, exec_lo, s18
	s_xor_b32 s18, s19, -1
	s_delay_alu instid0(SALU_CYCLE_1) | instskip(NEXT) | instid1(SALU_CYCLE_1)
	s_and_b32 s18, exec_lo, s18
	s_or_b32 s15, s18, s15
	s_delay_alu instid0(SALU_CYCLE_1)
	s_and_not1_b32 exec_lo, exec_lo, s15
	s_cbranch_execz .LBB213_80
.LBB213_119:                            ;   Parent Loop BB213_81 Depth=1
                                        ; =>  This Inner Loop Header: Depth=2
	v_lshl_add_u32 v3, v11, 2, 0
	s_mov_b32 s18, exec_lo
                                        ; implicit-def: $sgpr19
	ds_load_b32 v6, v3
	s_waitcnt lgkmcnt(0)
	v_cmpx_ne_u32_e64 v6, v10
	s_xor_b32 s18, exec_lo, s18
	s_cbranch_execz .LBB213_127
; %bb.120:                              ;   in Loop: Header=BB213_119 Depth=2
	s_mov_b32 s20, exec_lo
                                        ; implicit-def: $sgpr19
	v_cmpx_ne_u32_e64 s16, v6
	s_xor_b32 s20, exec_lo, s20
; %bb.121:                              ;   in Loop: Header=BB213_119 Depth=2
	v_add_nc_u32_e32 v3, 1, v11
	s_mov_b32 s19, -1
	s_delay_alu instid0(VALU_DEP_1)
	v_and_b32_e32 v11, 0x1ff, v3
                                        ; implicit-def: $vgpr3
; %bb.122:                              ;   in Loop: Header=BB213_119 Depth=2
	s_and_not1_saveexec_b32 s20, s20
	s_cbranch_execz .LBB213_126
; %bb.123:                              ;   in Loop: Header=BB213_119 Depth=2
	v_mov_b32_e32 v6, s16
	s_mov_b32 s22, -1
	s_mov_b32 s21, exec_lo
	ds_cmpstore_rtn_b32 v6, v3, v10, v6
	s_waitcnt lgkmcnt(0)
	v_cmpx_eq_u32_e64 s16, v6
	s_cbranch_execz .LBB213_125
; %bb.124:                              ;   in Loop: Header=BB213_119 Depth=2
	v_mad_u64_u32 v[6:7], null, v11, 28, v[3:4]
	s_xor_b32 s22, exec_lo, -1
	ds_add_f32 v6, v5 offset:2072
	ds_add_f32 v6, v4 offset:2076
.LBB213_125:                            ;   in Loop: Header=BB213_119 Depth=2
	s_or_b32 exec_lo, exec_lo, s21
	s_delay_alu instid0(SALU_CYCLE_1) | instskip(SKIP_1) | instid1(SALU_CYCLE_1)
	s_and_not1_b32 s19, s19, exec_lo
	s_and_b32 s21, s22, exec_lo
	s_or_b32 s19, s19, s21
.LBB213_126:                            ;   in Loop: Header=BB213_119 Depth=2
	s_or_b32 exec_lo, exec_lo, s20
	s_delay_alu instid0(SALU_CYCLE_1)
	s_and_b32 s19, s19, exec_lo
                                        ; implicit-def: $vgpr3
.LBB213_127:                            ;   in Loop: Header=BB213_119 Depth=2
	s_and_not1_saveexec_b32 s18, s18
	s_cbranch_execz .LBB213_118
; %bb.128:                              ;   in Loop: Header=BB213_119 Depth=2
	v_mad_u64_u32 v[6:7], null, v11, 28, v[3:4]
	s_and_not1_b32 s19, s19, exec_lo
	ds_add_f32 v6, v5 offset:2072
	ds_add_f32 v6, v4 offset:2076
	s_branch .LBB213_118
.LBB213_129:
	s_or_b32 exec_lo, exec_lo, s3
.LBB213_130:
	s_waitcnt lgkmcnt(0)
	s_barrier
	buffer_gl0_inv
	s_and_saveexec_b32 s0, s2
	s_cbranch_execz .LBB213_137
; %bb.131:
	s_lshl_b64 s[0:1], s[40:41], 3
	s_delay_alu instid0(SALU_CYCLE_1)
	s_add_u32 s0, s8, s0
	s_addc_u32 s1, s9, s1
	s_load_b64 s[0:1], s[0:1], 0x0
	s_waitcnt lgkmcnt(0)
	s_sub_u32 s2, s0, s30
	s_subb_u32 s3, s1, 0
	s_cmp_eq_u32 s17, 0
	s_mov_b32 s1, 0
	s_cselect_b32 s4, 1, 2
	s_cselect_b32 s5, 2, 1
	s_add_i32 s6, 0, 0x800
	s_branch .LBB213_133
.LBB213_132:                            ;   in Loop: Header=BB213_133 Depth=1
	s_or_b32 exec_lo, exec_lo, s7
	v_add_nc_u32_e32 v1, 0x100, v0
	v_cmp_lt_u32_e32 vcc_lo, 0xff, v0
	s_delay_alu instid0(VALU_DEP_2) | instskip(SKIP_1) | instid1(SALU_CYCLE_1)
	v_mov_b32_e32 v0, v1
	s_or_b32 s1, vcc_lo, s1
	s_and_not1_b32 exec_lo, exec_lo, s1
	s_cbranch_execz .LBB213_137
.LBB213_133:                            ; =>This Loop Header: Depth=1
                                        ;     Child Loop BB213_135 Depth 2
	s_delay_alu instid0(VALU_DEP_1)
	v_lshl_add_u32 v1, v0, 2, 0
	s_mov_b32 s7, exec_lo
	ds_load_b32 v3, v1
	s_waitcnt lgkmcnt(0)
	v_cmpx_gt_i32_e64 s16, v3
	s_cbranch_execz .LBB213_132
; %bb.134:                              ;   in Loop: Header=BB213_133 Depth=1
	v_dual_mov_b32 v1, s2 :: v_dual_mov_b32 v2, s3
	s_mov_b32 s8, 0
.LBB213_135:                            ;   Parent Loop BB213_133 Depth=1
                                        ; =>  This Inner Loop Header: Depth=2
	s_delay_alu instid0(SALU_CYCLE_1)
	s_add_i32 s0, s8, 0
	s_add_i32 s8, s8, 64
	v_mov_b32_e32 v18, s0
	s_cmpk_lg_i32 s8, 0x800
	ds_load_2addr_b32 v[4:5], v18 offset1:1
	ds_load_2addr_b32 v[6:7], v18 offset0:2 offset1:3
	ds_load_2addr_b32 v[8:9], v18 offset0:4 offset1:5
	;; [unrolled: 1-line block ×7, first 2 shown]
	s_waitcnt lgkmcnt(7)
	v_cmp_gt_i32_e32 vcc_lo, v3, v4
	v_cndmask_b32_e64 v4, 0, 1, vcc_lo
	v_cmp_gt_i32_e32 vcc_lo, v3, v5
	v_cndmask_b32_e64 v5, 0, 1, vcc_lo
	s_waitcnt lgkmcnt(6)
	v_cmp_gt_i32_e32 vcc_lo, v3, v6
	v_cndmask_b32_e64 v6, 0, 1, vcc_lo
	v_cmp_gt_i32_e32 vcc_lo, v3, v7
	v_cndmask_b32_e64 v7, 0, 1, vcc_lo
	;; [unrolled: 5-line block ×4, first 2 shown]
	s_waitcnt lgkmcnt(3)
	v_cmp_gt_i32_e32 vcc_lo, v3, v12
	v_cndmask_b32_e64 v12, 0, 1, vcc_lo
	v_add_co_u32 v1, vcc_lo, v1, v4
	v_add_co_ci_u32_e32 v2, vcc_lo, 0, v2, vcc_lo
	v_cmp_gt_i32_e32 vcc_lo, v3, v13
	s_delay_alu instid0(VALU_DEP_3) | instskip(NEXT) | instid1(VALU_DEP_1)
	v_add_co_u32 v1, s0, v1, v5
	v_add_co_ci_u32_e64 v2, s0, 0, v2, s0
	v_cndmask_b32_e64 v4, 0, 1, vcc_lo
	s_delay_alu instid0(VALU_DEP_3) | instskip(NEXT) | instid1(VALU_DEP_3)
	v_add_co_u32 v1, vcc_lo, v1, v6
	v_add_co_ci_u32_e32 v2, vcc_lo, 0, v2, vcc_lo
	s_waitcnt lgkmcnt(2)
	v_cmp_gt_i32_e32 vcc_lo, v3, v14
	s_delay_alu instid0(VALU_DEP_3) | instskip(NEXT) | instid1(VALU_DEP_1)
	v_add_co_u32 v1, s0, v1, v7
	v_add_co_ci_u32_e64 v2, s0, 0, v2, s0
	v_cndmask_b32_e64 v5, 0, 1, vcc_lo
	s_delay_alu instid0(VALU_DEP_3) | instskip(NEXT) | instid1(VALU_DEP_3)
	v_add_co_u32 v1, vcc_lo, v1, v8
	v_add_co_ci_u32_e32 v2, vcc_lo, 0, v2, vcc_lo
	v_cmp_gt_i32_e32 vcc_lo, v3, v15
	s_delay_alu instid0(VALU_DEP_3) | instskip(NEXT) | instid1(VALU_DEP_1)
	v_add_co_u32 v1, s0, v1, v9
	v_add_co_ci_u32_e64 v2, s0, 0, v2, s0
	v_cndmask_b32_e64 v6, 0, 1, vcc_lo
	s_delay_alu instid0(VALU_DEP_3) | instskip(NEXT) | instid1(VALU_DEP_3)
	v_add_co_u32 v1, vcc_lo, v1, v10
	v_add_co_ci_u32_e32 v2, vcc_lo, 0, v2, vcc_lo
	s_waitcnt lgkmcnt(1)
	v_cmp_gt_i32_e32 vcc_lo, v3, v16
	s_delay_alu instid0(VALU_DEP_3) | instskip(NEXT) | instid1(VALU_DEP_1)
	v_add_co_u32 v1, s0, v1, v11
	v_add_co_ci_u32_e64 v2, s0, 0, v2, s0
	v_cndmask_b32_e64 v7, 0, 1, vcc_lo
	s_delay_alu instid0(VALU_DEP_3) | instskip(NEXT) | instid1(VALU_DEP_3)
	;; [unrolled: 17-line block ×3, first 2 shown]
	v_add_co_u32 v1, vcc_lo, v1, v7
	v_add_co_ci_u32_e32 v2, vcc_lo, 0, v2, vcc_lo
	v_cmp_gt_i32_e32 vcc_lo, v3, v19
	s_delay_alu instid0(VALU_DEP_3) | instskip(NEXT) | instid1(VALU_DEP_1)
	v_add_co_u32 v1, s0, v1, v4
	v_add_co_ci_u32_e64 v2, s0, 0, v2, s0
	v_cndmask_b32_e64 v4, 0, 1, vcc_lo
	s_delay_alu instid0(VALU_DEP_3) | instskip(NEXT) | instid1(VALU_DEP_3)
	v_add_co_u32 v1, vcc_lo, v1, v5
	v_add_co_ci_u32_e32 v2, vcc_lo, 0, v2, vcc_lo
	s_delay_alu instid0(VALU_DEP_2) | instskip(NEXT) | instid1(VALU_DEP_2)
	v_add_co_u32 v1, vcc_lo, v1, v4
	v_add_co_ci_u32_e32 v2, vcc_lo, 0, v2, vcc_lo
	s_cbranch_scc1 .LBB213_135
; %bb.136:                              ;   in Loop: Header=BB213_133 Depth=1
	v_lshlrev_b32_e32 v4, 2, v0
	v_lshl_add_u32 v10, v0, 5, s6
	s_delay_alu instid0(VALU_DEP_3)
	v_lshlrev_b64 v[12:13], 2, v[1:2]
	v_lshlrev_b64 v[1:2], 5, v[1:2]
	v_add_nc_u32_e32 v3, s30, v3
	v_or_b32_e32 v5, s5, v4
	v_or_b32_e32 v4, s4, v4
	v_add_co_u32 v12, vcc_lo, s10, v12
	s_delay_alu instid0(VALU_DEP_3) | instskip(NEXT) | instid1(VALU_DEP_3)
	v_lshl_add_u32 v6, v5, 3, s6
	v_lshl_add_u32 v7, v4, 3, s6
	v_add_co_ci_u32_e32 v13, vcc_lo, s11, v13, vcc_lo
	ds_load_2addr_b32 v[4:5], v10 offset1:1
	ds_load_2addr_b32 v[8:9], v6 offset1:1
	;; [unrolled: 1-line block ×3, first 2 shown]
	ds_load_2addr_b32 v[10:11], v10 offset0:6 offset1:7
	v_add_co_u32 v1, vcc_lo, s34, v1
	v_add_co_ci_u32_e32 v2, vcc_lo, s35, v2, vcc_lo
	global_store_b32 v[12:13], v3, off
	s_waitcnt lgkmcnt(1)
	global_store_b128 v[1:2], v[4:7], off
	s_waitcnt lgkmcnt(0)
	global_store_b128 v[1:2], v[8:11], off offset:16
	s_branch .LBB213_132
.LBB213_137:
	s_nop 0
	s_sendmsg sendmsg(MSG_DEALLOC_VGPRS)
	s_endpgm
	.section	.rodata,"a",@progbits
	.p2align	6, 0x0
	.amdhsa_kernel _ZN9rocsparseL30bsrgemm_fill_block_per_row_2x2ILj256ELj16ELj512ELj137Eli21rocsparse_complex_numIfEEEv20rocsparse_direction_T4_S4_PKS4_S6_NS_24const_host_device_scalarIT5_EEPKT3_S6_PKS8_SC_S6_SE_S9_SC_S6_SE_SC_PS4_PS8_21rocsparse_index_base_SH_SH_SH_bbb
		.amdhsa_group_segment_fixed_size 0
		.amdhsa_private_segment_fixed_size 0
		.amdhsa_kernarg_size 164
		.amdhsa_user_sgpr_count 15
		.amdhsa_user_sgpr_dispatch_ptr 0
		.amdhsa_user_sgpr_queue_ptr 0
		.amdhsa_user_sgpr_kernarg_segment_ptr 1
		.amdhsa_user_sgpr_dispatch_id 0
		.amdhsa_user_sgpr_private_segment_size 0
		.amdhsa_wavefront_size32 1
		.amdhsa_uses_dynamic_stack 0
		.amdhsa_enable_private_segment 0
		.amdhsa_system_sgpr_workgroup_id_x 1
		.amdhsa_system_sgpr_workgroup_id_y 0
		.amdhsa_system_sgpr_workgroup_id_z 0
		.amdhsa_system_sgpr_workgroup_info 0
		.amdhsa_system_vgpr_workitem_id 0
		.amdhsa_next_free_vgpr 33
		.amdhsa_next_free_sgpr 52
		.amdhsa_reserve_vcc 1
		.amdhsa_float_round_mode_32 0
		.amdhsa_float_round_mode_16_64 0
		.amdhsa_float_denorm_mode_32 3
		.amdhsa_float_denorm_mode_16_64 3
		.amdhsa_dx10_clamp 1
		.amdhsa_ieee_mode 1
		.amdhsa_fp16_overflow 0
		.amdhsa_workgroup_processor_mode 1
		.amdhsa_memory_ordered 1
		.amdhsa_forward_progress 0
		.amdhsa_shared_vgpr_count 0
		.amdhsa_exception_fp_ieee_invalid_op 0
		.amdhsa_exception_fp_denorm_src 0
		.amdhsa_exception_fp_ieee_div_zero 0
		.amdhsa_exception_fp_ieee_overflow 0
		.amdhsa_exception_fp_ieee_underflow 0
		.amdhsa_exception_fp_ieee_inexact 0
		.amdhsa_exception_int_div_zero 0
	.end_amdhsa_kernel
	.section	.text._ZN9rocsparseL30bsrgemm_fill_block_per_row_2x2ILj256ELj16ELj512ELj137Eli21rocsparse_complex_numIfEEEv20rocsparse_direction_T4_S4_PKS4_S6_NS_24const_host_device_scalarIT5_EEPKT3_S6_PKS8_SC_S6_SE_S9_SC_S6_SE_SC_PS4_PS8_21rocsparse_index_base_SH_SH_SH_bbb,"axG",@progbits,_ZN9rocsparseL30bsrgemm_fill_block_per_row_2x2ILj256ELj16ELj512ELj137Eli21rocsparse_complex_numIfEEEv20rocsparse_direction_T4_S4_PKS4_S6_NS_24const_host_device_scalarIT5_EEPKT3_S6_PKS8_SC_S6_SE_S9_SC_S6_SE_SC_PS4_PS8_21rocsparse_index_base_SH_SH_SH_bbb,comdat
.Lfunc_end213:
	.size	_ZN9rocsparseL30bsrgemm_fill_block_per_row_2x2ILj256ELj16ELj512ELj137Eli21rocsparse_complex_numIfEEEv20rocsparse_direction_T4_S4_PKS4_S6_NS_24const_host_device_scalarIT5_EEPKT3_S6_PKS8_SC_S6_SE_S9_SC_S6_SE_SC_PS4_PS8_21rocsparse_index_base_SH_SH_SH_bbb, .Lfunc_end213-_ZN9rocsparseL30bsrgemm_fill_block_per_row_2x2ILj256ELj16ELj512ELj137Eli21rocsparse_complex_numIfEEEv20rocsparse_direction_T4_S4_PKS4_S6_NS_24const_host_device_scalarIT5_EEPKT3_S6_PKS8_SC_S6_SE_S9_SC_S6_SE_SC_PS4_PS8_21rocsparse_index_base_SH_SH_SH_bbb
                                        ; -- End function
	.section	.AMDGPU.csdata,"",@progbits
; Kernel info:
; codeLenInByte = 5080
; NumSgprs: 54
; NumVgprs: 33
; ScratchSize: 0
; MemoryBound: 0
; FloatMode: 240
; IeeeMode: 1
; LDSByteSize: 0 bytes/workgroup (compile time only)
; SGPRBlocks: 6
; VGPRBlocks: 4
; NumSGPRsForWavesPerEU: 54
; NumVGPRsForWavesPerEU: 33
; Occupancy: 16
; WaveLimiterHint : 1
; COMPUTE_PGM_RSRC2:SCRATCH_EN: 0
; COMPUTE_PGM_RSRC2:USER_SGPR: 15
; COMPUTE_PGM_RSRC2:TRAP_HANDLER: 0
; COMPUTE_PGM_RSRC2:TGID_X_EN: 1
; COMPUTE_PGM_RSRC2:TGID_Y_EN: 0
; COMPUTE_PGM_RSRC2:TGID_Z_EN: 0
; COMPUTE_PGM_RSRC2:TIDIG_COMP_CNT: 0
	.section	.text._ZN9rocsparseL38bsrgemm_block_per_row_atomic_multipassILj256ELj256ELj2Eli21rocsparse_complex_numIfEEEv20rocsparse_direction_T3_S4_PKS4_S6_NS_24const_host_device_scalarIT4_EEPKT2_S6_PKS8_SC_S6_SE_S9_SC_S6_SE_SC_PS4_PS8_PSA_21rocsparse_index_base_SI_SI_SI_bbb,"axG",@progbits,_ZN9rocsparseL38bsrgemm_block_per_row_atomic_multipassILj256ELj256ELj2Eli21rocsparse_complex_numIfEEEv20rocsparse_direction_T3_S4_PKS4_S6_NS_24const_host_device_scalarIT4_EEPKT2_S6_PKS8_SC_S6_SE_S9_SC_S6_SE_SC_PS4_PS8_PSA_21rocsparse_index_base_SI_SI_SI_bbb,comdat
	.globl	_ZN9rocsparseL38bsrgemm_block_per_row_atomic_multipassILj256ELj256ELj2Eli21rocsparse_complex_numIfEEEv20rocsparse_direction_T3_S4_PKS4_S6_NS_24const_host_device_scalarIT4_EEPKT2_S6_PKS8_SC_S6_SE_S9_SC_S6_SE_SC_PS4_PS8_PSA_21rocsparse_index_base_SI_SI_SI_bbb ; -- Begin function _ZN9rocsparseL38bsrgemm_block_per_row_atomic_multipassILj256ELj256ELj2Eli21rocsparse_complex_numIfEEEv20rocsparse_direction_T3_S4_PKS4_S6_NS_24const_host_device_scalarIT4_EEPKT2_S6_PKS8_SC_S6_SE_S9_SC_S6_SE_SC_PS4_PS8_PSA_21rocsparse_index_base_SI_SI_SI_bbb
	.p2align	8
	.type	_ZN9rocsparseL38bsrgemm_block_per_row_atomic_multipassILj256ELj256ELj2Eli21rocsparse_complex_numIfEEEv20rocsparse_direction_T3_S4_PKS4_S6_NS_24const_host_device_scalarIT4_EEPKT2_S6_PKS8_SC_S6_SE_S9_SC_S6_SE_SC_PS4_PS8_PSA_21rocsparse_index_base_SI_SI_SI_bbb,@function
_ZN9rocsparseL38bsrgemm_block_per_row_atomic_multipassILj256ELj256ELj2Eli21rocsparse_complex_numIfEEEv20rocsparse_direction_T3_S4_PKS4_S6_NS_24const_host_device_scalarIT4_EEPKT2_S6_PKS8_SC_S6_SE_S9_SC_S6_SE_SC_PS4_PS8_PSA_21rocsparse_index_base_SI_SI_SI_bbb: ; @_ZN9rocsparseL38bsrgemm_block_per_row_atomic_multipassILj256ELj256ELj2Eli21rocsparse_complex_numIfEEEv20rocsparse_direction_T3_S4_PKS4_S6_NS_24const_host_device_scalarIT4_EEPKT2_S6_PKS8_SC_S6_SE_S9_SC_S6_SE_SC_PS4_PS8_PSA_21rocsparse_index_base_SI_SI_SI_bbb
; %bb.0:
	s_clause 0x5
	s_load_b32 s3, s[0:1], 0xa8
	s_load_b256 s[16:23], s[0:1], 0x88
	s_load_b256 s[24:31], s[0:1], 0x68
	;; [unrolled: 1-line block ×3, first 2 shown]
	s_load_b128 s[4:7], s[0:1], 0x10
	s_load_b256 s[44:51], s[0:1], 0x28
	s_mov_b32 s2, s15
	s_mov_b32 s35, 0
	;; [unrolled: 1-line block ×3, first 2 shown]
	s_waitcnt lgkmcnt(0)
	s_bitcmp1_b32 s3, 0
	s_cselect_b32 s8, -1, 0
	s_bitcmp1_b32 s3, 16
	s_cselect_b32 s9, -1, 0
	s_delay_alu instid0(SALU_CYCLE_1) | instskip(SKIP_2) | instid1(VALU_DEP_1)
	s_xor_b32 s9, s9, -1
	s_bitcmp0_b32 s3, 0
	v_cndmask_b32_e64 v1, 0, 1, s9
	v_cmp_ne_u32_e32 vcc_lo, 1, v1
	s_cbranch_scc1 .LBB214_5
; %bb.1:
	s_load_b64 s[34:35], s[0:1], 0x20
	s_and_b32 vcc_lo, exec_lo, vcc_lo
	s_waitcnt lgkmcnt(0)
	s_mov_b32 s33, s34
	s_cbranch_vccnz .LBB214_3
; %bb.2:
	s_load_b32 s33, s[34:35], 0x0
.LBB214_3:
	s_and_not1_b32 vcc_lo, exec_lo, s9
	s_cbranch_vccnz .LBB214_5
; %bb.4:
	s_load_b32 s35, s[34:35], 0x4
.LBB214_5:
	s_bitcmp1_b32 s3, 8
	s_mov_b32 s59, 0
	s_cselect_b32 s34, -1, 0
	s_bfe_u32 s3, s3, 0x10008
	s_mov_b32 s58, 0
	s_cmp_eq_u32 s3, 0
	s_cbranch_scc1 .LBB214_11
; %bb.6:
	v_cmp_ne_u32_e32 vcc_lo, 1, v1
	s_mov_b32 s58, s40
	s_cbranch_vccnz .LBB214_8
; %bb.7:
	s_load_b32 s58, s[40:41], 0x0
.LBB214_8:
	v_cmp_ne_u32_e32 vcc_lo, 1, v1
	s_cbranch_vccnz .LBB214_10
; %bb.9:
	s_load_b32 s41, s[40:41], 0x4
.LBB214_10:
	s_waitcnt lgkmcnt(0)
	s_mov_b32 s59, s41
.LBB214_11:
	s_cmp_eq_u64 s[6:7], 0
	s_mov_b64 s[40:41], 0
	s_cbranch_scc1 .LBB214_13
; %bb.12:
	s_load_b32 s3, s[4:5], 0x0
	s_waitcnt lgkmcnt(0)
	s_add_i32 s2, s3, s2
	s_mov_b32 s3, 0
	s_delay_alu instid0(SALU_CYCLE_1) | instskip(NEXT) | instid1(SALU_CYCLE_1)
	s_lshl_b64 s[2:3], s[2:3], 2
	s_add_u32 s2, s6, s2
	s_addc_u32 s3, s7, s3
	s_load_b32 s2, s[2:3], 0x0
.LBB214_13:
	s_and_not1_b32 vcc_lo, exec_lo, s8
	s_cbranch_vccz .LBB214_16
; %bb.14:
	s_and_not1_b32 vcc_lo, exec_lo, s8
	s_mov_b64 s[56:57], 0
	s_cbranch_vccz .LBB214_17
.LBB214_15:
	s_load_b128 s[52:55], s[0:1], 0x0
	s_waitcnt lgkmcnt(0)
	s_cmp_lt_i32 s53, 1
	s_cbranch_scc0 .LBB214_18
	s_branch .LBB214_105
.LBB214_16:
	s_waitcnt lgkmcnt(0)
	s_ashr_i32 s3, s2, 31
	s_delay_alu instid0(SALU_CYCLE_1) | instskip(NEXT) | instid1(SALU_CYCLE_1)
	s_lshl_b64 s[4:5], s[2:3], 3
	s_add_u32 s4, s44, s4
	s_addc_u32 s5, s45, s5
	s_load_b64 s[4:5], s[4:5], 0x0
	s_waitcnt lgkmcnt(0)
	s_sub_u32 s40, s4, s20
	s_subb_u32 s41, s5, 0
	s_and_not1_b32 vcc_lo, exec_lo, s8
	s_mov_b64 s[56:57], 0
	s_cbranch_vccnz .LBB214_15
.LBB214_17:
	s_waitcnt lgkmcnt(0)
	s_ashr_i32 s3, s2, 31
	s_delay_alu instid0(SALU_CYCLE_1) | instskip(NEXT) | instid1(SALU_CYCLE_1)
	s_lshl_b64 s[4:5], s[2:3], 3
	s_add_u32 s4, s44, s4
	s_addc_u32 s5, s45, s5
	s_load_b64 s[4:5], s[4:5], 0x8
	s_waitcnt lgkmcnt(0)
	s_sub_u32 s56, s4, s20
	s_subb_u32 s57, s5, 0
	s_load_b128 s[52:55], s[0:1], 0x0
	s_waitcnt lgkmcnt(0)
	s_cmp_lt_i32 s53, 1
	s_cbranch_scc1 .LBB214_105
.LBB214_18:
	s_ashr_i32 s3, s2, 31
	v_bfe_u32 v7, v0, 1, 1
	s_lshl_b64 s[6:7], s[2:3], 3
	v_dual_mov_b32 v1, 0 :: v_dual_and_b32 v6, 3, v0
	s_add_u32 s0, s28, s6
	s_addc_u32 s1, s29, s7
	v_mul_lo_u32 v2, v7, s54
	s_load_b64 s[4:5], s[0:1], 0x0
	v_dual_mov_b32 v3, v1 :: v_dual_and_b32 v26, 1, v0
	v_mov_b32_e32 v5, v1
	v_lshrrev_b32_e32 v25, 2, v0
	v_cmp_lt_i64_e64 s9, s[40:41], s[56:57]
	s_delay_alu instid0(VALU_DEP_4)
	v_lshlrev_b32_e32 v10, 3, v26
	v_mul_lo_u32 v4, v26, s54
	v_lshlrev_b64 v[2:3], 3, v[2:3]
	v_max_i32_e32 v8, v26, v7
	v_lshlrev_b32_e32 v7, 3, v7
	v_lshlrev_b32_e32 v15, 2, v0
	v_add_co_u32 v16, s61, v0, -1
	s_delay_alu instid0(VALU_DEP_4)
	v_cmp_gt_i32_e64 s2, s54, v8
	v_cmp_le_i32_e64 s3, s54, v8
	v_add_co_u32 v8, vcc_lo, s48, v2
	v_lshlrev_b64 v[4:5], 3, v[4:5]
	v_add_co_ci_u32_e32 v9, vcc_lo, s49, v3, vcc_lo
	s_waitcnt lgkmcnt(0)
	s_sub_u32 s14, s4, s22
	v_add_co_u32 v29, s4, v8, v10
	s_delay_alu instid0(VALU_DEP_1) | instskip(SKIP_1) | instid1(VALU_DEP_1)
	v_add_co_ci_u32_e64 v30, s4, 0, v9, s4
	v_add_co_u32 v8, s4, s26, v4
	v_add_co_ci_u32_e64 v9, s4, s27, v5, s4
	v_sub_co_u32 v32, s4, v25, s23
	v_add_co_u32 v11, vcc_lo, s16, v4
	v_sub_co_ci_u32_e64 v33, null, 0, 0, s4
	v_add_co_u32 v8, s4, v8, v7
	v_add_co_ci_u32_e32 v12, vcc_lo, s17, v5, vcc_lo
	v_add_co_ci_u32_e64 v9, s4, 0, v9, s4
	v_add_co_u32 v13, vcc_lo, s16, v2
	v_add_co_u32 v2, s4, s26, v2
	v_add_co_ci_u32_e32 v14, vcc_lo, s17, v3, vcc_lo
	v_add_co_ci_u32_e64 v3, s4, s27, v3, s4
	v_add_co_u32 v11, vcc_lo, v11, v7
	s_delay_alu instid0(VALU_DEP_4)
	v_add_co_u32 v2, s4, v2, v10
	v_add_co_ci_u32_e32 v12, vcc_lo, 0, v12, vcc_lo
	s_subb_u32 s15, s5, 0
	v_add_co_u32 v13, vcc_lo, v13, v10
	v_add_co_ci_u32_e64 v3, s4, 0, v3, s4
	s_cmp_eq_u32 s52, 0
	v_add_co_ci_u32_e32 v14, vcc_lo, 0, v14, vcc_lo
	s_cselect_b32 vcc_lo, -1, 0
	v_dual_cndmask_b32 v44, v11, v13 :: v_dual_lshlrev_b32 v27, 3, v0
	v_cndmask_b32_e32 v9, v9, v3, vcc_lo
	v_lshlrev_b32_e32 v3, 5, v25
	v_cndmask_b32_e32 v43, v12, v14, vcc_lo
	v_cndmask_b32_e32 v2, v8, v2, vcc_lo
	v_cmp_eq_u32_e64 s4, 3, v6
	v_and_b32_e32 v31, 2, v0
	v_or3_b32 v46, v3, v7, 0x2000
	v_add_co_u32 v3, vcc_lo, v4, s38
	v_add_co_ci_u32_e32 v4, vcc_lo, s39, v5, vcc_lo
	v_add_co_u32 v5, s13, v10, s38
	s_delay_alu instid0(VALU_DEP_1) | instskip(NEXT) | instid1(VALU_DEP_4)
	v_add_co_ci_u32_e64 v6, null, 0, s39, s13
	v_add_co_u32 v3, vcc_lo, v3, 4
	v_and_b32_e32 v10, 0xfc, v0
	v_add_co_ci_u32_e32 v4, vcc_lo, 0, v4, vcc_lo
	v_add_co_u32 v5, vcc_lo, v5, 4
	s_cmp_lg_u32 s52, 0
	v_add_co_ci_u32_e32 v6, vcc_lo, 0, v6, vcc_lo
	v_add_co_u32 v7, vcc_lo, v2, 4
	v_or3_b32 v2, v10, v31, v26
	s_cselect_b32 s48, -1, 0
	s_cmp_gt_i32 s54, 0
	v_add_co_ci_u32_e32 v8, vcc_lo, 0, v9, vcc_lo
	s_cselect_b32 s52, -1, 0
	s_add_u32 s16, s42, s6
	v_cmp_gt_u32_e64 s0, 0x100, v0
	v_cmp_eq_u32_e64 s1, 0, v0
	s_addc_u32 s17, s43, s7
	s_and_b32 s62, s8, s9
	v_cmp_ne_u32_e64 s5, 0, v0
	v_cmp_lt_u32_e64 s6, 1, v0
	v_cmp_lt_u32_e64 s7, 3, v0
	;; [unrolled: 1-line block ×7, first 2 shown]
	v_or_b32_e32 v45, 0xffffff00, v0
	s_movk_i32 s13, 0x7f0
	v_add_co_u32 v0, vcc_lo, v32, 64
	s_mov_b32 s45, 0
	v_lshlrev_b32_e32 v49, 3, v2
	v_or_b32_e32 v50, 0x2800, v10
	v_dual_mov_b32 v9, s14 :: v_dual_mov_b32 v10, s15
	v_mov_b32_e32 v2, v1
	v_add_nc_u32_e32 v36, 0x27f8, v15
	v_or_b32_e32 v28, 0x2000, v27
	v_or_b32_e32 v34, 0x2800, v15
	v_lshl_add_u32 v35, v16, 2, 0x2800
	v_dual_mov_b32 v52, v1 :: v_dual_add_nc_u32 v37, 0x27f0, v15
	v_dual_mov_b32 v51, 1 :: v_dual_add_nc_u32 v38, 0x27e0, v15
	v_add_nc_u32_e32 v39, 0x27c0, v15
	v_add_nc_u32_e32 v40, 0x2780, v15
	v_add_nc_u32_e32 v41, 0x2700, v15
	v_add_nc_u32_e32 v42, 0x2600, v15
	s_add_u32 s63, s50, 8
	v_and_or_b32 v47, v27, s13, 0x2000
	v_add_co_ci_u32_e32 v48, vcc_lo, 0, v33, vcc_lo
	v_mov_b32_e32 v53, 0x100
	s_mul_i32 s44, s54, s54
	s_addc_u32 s64, s51, 0
	s_mov_b32 s55, s45
	s_add_u32 s65, s30, -4
	s_mov_b32 s49, s21
	s_mov_b32 s60, s23
	s_addc_u32 s66, s31, -1
	s_lshl_b64 s[26:27], s[44:45], 3
	s_lshl_b64 s[38:39], s[54:55], 3
	;; [unrolled: 1-line block ×3, first 2 shown]
	s_branch .LBB214_20
.LBB214_19:                             ;   in Loop: Header=BB214_20 Depth=1
	s_or_b32 exec_lo, exec_lo, s13
	s_waitcnt_vscnt null, 0x0
	s_barrier
	buffer_gl0_inv
	ds_load_b32 v52, v1 offset:11264
	v_ashrrev_i32_e32 v11, 31, v12
	v_add_co_u32 v9, s13, v9, v12
	s_waitcnt lgkmcnt(0)
	s_barrier
	s_delay_alu instid0(VALU_DEP_2)
	v_add_co_ci_u32_e64 v10, s13, v10, v11, s13
	buffer_gl0_inv
	v_cmp_le_i32_e32 vcc_lo, s53, v52
	v_add_nc_u32_e32 v53, 0x100, v52
	s_cbranch_vccnz .LBB214_105
.LBB214_20:                             ; =>This Loop Header: Depth=1
                                        ;     Child Loop BB214_23 Depth 2
                                        ;     Child Loop BB214_29 Depth 2
                                        ;       Child Loop BB214_43 Depth 3
                                        ;         Child Loop BB214_52 Depth 4
                                        ;         Child Loop BB214_57 Depth 4
                                        ;     Child Loop BB214_68 Depth 2
                                        ;     Child Loop BB214_77 Depth 2
	;; [unrolled: 1-line block ×3, first 2 shown]
	s_and_saveexec_b32 s13, s0
	s_cbranch_execz .LBB214_22
; %bb.21:                               ;   in Loop: Header=BB214_20 Depth=1
	ds_store_b32 v34, v1
.LBB214_22:                             ;   in Loop: Header=BB214_20 Depth=1
	s_or_b32 exec_lo, exec_lo, s13
	v_dual_mov_b32 v11, v27 :: v_dual_mov_b32 v12, v45
	s_mov_b32 s13, 0
.LBB214_23:                             ;   Parent Loop BB214_20 Depth=1
                                        ; =>  This Inner Loop Header: Depth=2
	s_delay_alu instid0(VALU_DEP_1) | instskip(SKIP_4) | instid1(SALU_CYCLE_1)
	v_add_nc_u32_e32 v12, 0x100, v12
	ds_store_b64 v11, v[1:2]
	v_add_nc_u32_e32 v11, 0x800, v11
	v_cmp_lt_u32_e32 vcc_lo, 0x2ff, v12
	s_or_b32 s13, vcc_lo, s13
	s_and_not1_b32 exec_lo, exec_lo, s13
	s_cbranch_execnz .LBB214_23
; %bb.24:                               ;   in Loop: Header=BB214_20 Depth=1
	s_or_b32 exec_lo, exec_lo, s13
	s_and_saveexec_b32 s13, s1
	s_cbranch_execz .LBB214_26
; %bb.25:                               ;   in Loop: Header=BB214_20 Depth=1
	v_mov_b32_e32 v11, s53
	ds_store_b32 v1, v11 offset:11264
.LBB214_26:                             ;   in Loop: Header=BB214_20 Depth=1
	s_or_b32 exec_lo, exec_lo, s13
	v_mov_b32_e32 v54, s53
	s_and_not1_b32 vcc_lo, exec_lo, s62
	s_waitcnt lgkmcnt(0)
	s_barrier
	buffer_gl0_inv
	s_cbranch_vccnz .LBB214_63
; %bb.27:                               ;   in Loop: Header=BB214_20 Depth=1
	v_cmp_ne_u32_e64 s13, 0, v52
	v_mov_b32_e32 v54, s53
	s_mov_b64 s[28:29], s[40:41]
	s_branch .LBB214_29
.LBB214_28:                             ;   in Loop: Header=BB214_29 Depth=2
	s_or_b32 exec_lo, exec_lo, s15
	s_add_u32 s28, s28, 64
	s_addc_u32 s29, s29, 0
	s_delay_alu instid0(SALU_CYCLE_1) | instskip(NEXT) | instid1(VALU_DEP_1)
	v_cmp_lt_i64_e64 s14, s[28:29], s[56:57]
	s_and_b32 vcc_lo, exec_lo, s14
	s_cbranch_vccz .LBB214_63
.LBB214_29:                             ;   Parent Loop BB214_20 Depth=1
                                        ; =>  This Loop Header: Depth=2
                                        ;       Child Loop BB214_43 Depth 3
                                        ;         Child Loop BB214_52 Depth 4
                                        ;         Child Loop BB214_57 Depth 4
	v_add_co_u32 v11, s14, s28, v25
	s_delay_alu instid0(VALU_DEP_1) | instskip(NEXT) | instid1(VALU_DEP_1)
	v_add_co_ci_u32_e64 v12, null, s29, 0, s14
	s_waitcnt_vscnt null, 0x0
	s_barrier
	buffer_gl0_inv
	v_cmp_gt_i64_e64 s14, s[56:57], v[11:12]
	s_delay_alu instid0(VALU_DEP_1)
	s_and_saveexec_b32 s15, s14
	s_cbranch_execz .LBB214_34
; %bb.30:                               ;   in Loop: Header=BB214_29 Depth=2
	s_and_saveexec_b32 s30, s3
	s_delay_alu instid0(SALU_CYCLE_1)
	s_xor_b32 s30, exec_lo, s30
	s_cbranch_execz .LBB214_32
; %bb.31:                               ;   in Loop: Header=BB214_29 Depth=2
	ds_store_b64 v28, v[1:2]
.LBB214_32:                             ;   in Loop: Header=BB214_29 Depth=2
	s_and_not1_saveexec_b32 s30, s30
	s_cbranch_execz .LBB214_34
; %bb.33:                               ;   in Loop: Header=BB214_29 Depth=2
	v_mad_u64_u32 v[13:14], null, v11, s44, 0
	s_delay_alu instid0(VALU_DEP_1) | instskip(NEXT) | instid1(VALU_DEP_1)
	v_mad_u64_u32 v[15:16], null, v12, s44, v[14:15]
	v_mov_b32_e32 v14, v15
	s_delay_alu instid0(VALU_DEP_1) | instskip(NEXT) | instid1(VALU_DEP_1)
	v_lshlrev_b64 v[13:14], 3, v[13:14]
	v_add_co_u32 v13, vcc_lo, v29, v13
	s_delay_alu instid0(VALU_DEP_2)
	v_add_co_ci_u32_e32 v14, vcc_lo, v30, v14, vcc_lo
	global_load_b64 v[13:14], v[13:14], off
	s_waitcnt vmcnt(0)
	ds_store_b64 v28, v[13:14]
.LBB214_34:                             ;   in Loop: Header=BB214_29 Depth=2
	s_or_b32 exec_lo, exec_lo, s15
	v_mov_b32_e32 v13, 0
	v_mov_b32_e32 v14, 0
	s_waitcnt lgkmcnt(0)
	s_barrier
	buffer_gl0_inv
	s_and_saveexec_b32 s30, s14
	s_cbranch_execz .LBB214_60
; %bb.35:                               ;   in Loop: Header=BB214_29 Depth=2
	v_lshlrev_b64 v[13:14], 2, v[11:12]
	s_delay_alu instid0(VALU_DEP_1) | instskip(NEXT) | instid1(VALU_DEP_2)
	v_add_co_u32 v13, vcc_lo, s46, v13
	v_add_co_ci_u32_e32 v14, vcc_lo, s47, v14, vcc_lo
	s_and_b32 vcc_lo, exec_lo, s13
	global_load_b32 v13, v[13:14], off
	s_waitcnt vmcnt(0)
	v_subrev_nc_u32_e32 v15, s20, v13
	s_delay_alu instid0(VALU_DEP_1)
	v_ashrrev_i32_e32 v16, 31, v15
	s_cbranch_vccz .LBB214_62
; %bb.36:                               ;   in Loop: Header=BB214_29 Depth=2
	v_lshlrev_b64 v[13:14], 3, v[11:12]
	s_delay_alu instid0(VALU_DEP_1) | instskip(NEXT) | instid1(VALU_DEP_2)
	v_add_co_u32 v13, vcc_lo, s18, v13
	v_add_co_ci_u32_e32 v14, vcc_lo, s19, v14, vcc_lo
	global_load_b64 v[13:14], v[13:14], off
	s_cbranch_execnz .LBB214_38
.LBB214_37:                             ;   in Loop: Header=BB214_29 Depth=2
	s_waitcnt vmcnt(0)
	s_delay_alu instid0(VALU_DEP_1) | instskip(NEXT) | instid1(VALU_DEP_1)
	v_lshlrev_b64 v[13:14], 3, v[15:16]
	v_add_co_u32 v13, vcc_lo, s50, v13
	s_delay_alu instid0(VALU_DEP_2)
	v_add_co_ci_u32_e32 v14, vcc_lo, s51, v14, vcc_lo
	global_load_b64 v[13:14], v[13:14], off
	s_waitcnt vmcnt(0)
	v_sub_co_u32 v13, vcc_lo, v13, s49
	v_subrev_co_ci_u32_e32 v14, vcc_lo, 0, v14, vcc_lo
.LBB214_38:                             ;   in Loop: Header=BB214_29 Depth=2
	v_lshlrev_b64 v[15:16], 3, v[15:16]
	s_mov_b32 s31, exec_lo
	s_delay_alu instid0(VALU_DEP_1) | instskip(NEXT) | instid1(VALU_DEP_2)
	v_add_co_u32 v15, vcc_lo, s63, v15
	v_add_co_ci_u32_e32 v16, vcc_lo, s64, v16, vcc_lo
	global_load_b64 v[15:16], v[15:16], off
	s_waitcnt vmcnt(0)
	v_sub_co_u32 v15, vcc_lo, v15, s49
	v_subrev_co_ci_u32_e32 v16, vcc_lo, 0, v16, vcc_lo
	s_delay_alu instid0(VALU_DEP_1)
	v_cmpx_lt_i64_e64 v[13:14], v[15:16]
	s_cbranch_execz .LBB214_59
; %bb.39:                               ;   in Loop: Header=BB214_29 Depth=2
	v_mad_u64_u32 v[17:18], null, s26, v13, v[3:4]
	v_mul_lo_u32 v21, s26, v14
	v_mul_lo_u32 v22, s27, v13
	v_mad_u64_u32 v[19:20], null, s26, v13, v[5:6]
	s_mov_b32 s45, 0
	s_delay_alu instid0(VALU_DEP_2) | instskip(NEXT) | instid1(VALU_DEP_2)
	v_add3_u32 v18, v22, v18, v21
	v_add3_u32 v20, v22, v20, v21
	v_dual_mov_b32 v22, v14 :: v_dual_mov_b32 v21, v13
	s_branch .LBB214_43
.LBB214_40:                             ;   in Loop: Header=BB214_43 Depth=3
	v_or3_b32 v23, v55, v31, v26
	s_delay_alu instid0(VALU_DEP_2) | instskip(SKIP_1) | instid1(VALU_DEP_2)
	v_mul_f32_e64 v24, v57, -s35
	v_mul_f32_e32 v55, s33, v57
	v_dual_fmac_f32 v24, s33, v56 :: v_dual_lshlrev_b32 v23, 3, v23
	s_delay_alu instid0(VALU_DEP_2)
	v_fmac_f32_e32 v55, s35, v56
	ds_add_f32 v23, v24
	ds_add_f32 v23, v55 offset:4
.LBB214_41:                             ;   in Loop: Header=BB214_43 Depth=3
	s_or_b32 exec_lo, exec_lo, s68
	s_delay_alu instid0(SALU_CYCLE_1)
	s_or_b32 s55, s55, exec_lo
.LBB214_42:                             ;   in Loop: Header=BB214_43 Depth=3
	s_or_b32 exec_lo, exec_lo, s67
	v_add_co_u32 v21, vcc_lo, v21, 1
	v_add_co_ci_u32_e32 v22, vcc_lo, 0, v22, vcc_lo
	v_add_co_u32 v17, s15, v17, s26
	s_xor_b32 s55, s55, -1
	s_delay_alu instid0(VALU_DEP_2)
	v_cmp_ge_i64_e32 vcc_lo, v[21:22], v[15:16]
	v_add_co_ci_u32_e64 v18, s15, s27, v18, s15
	s_or_b32 s15, s55, vcc_lo
	v_add_co_u32 v19, vcc_lo, v19, s26
	v_add_co_ci_u32_e32 v20, vcc_lo, s27, v20, vcc_lo
	s_and_b32 s15, exec_lo, s15
	s_delay_alu instid0(SALU_CYCLE_1) | instskip(NEXT) | instid1(SALU_CYCLE_1)
	s_or_b32 s45, s15, s45
	s_and_not1_b32 exec_lo, exec_lo, s45
	s_cbranch_execz .LBB214_58
.LBB214_43:                             ;   Parent Loop BB214_20 Depth=1
                                        ;     Parent Loop BB214_29 Depth=2
                                        ; =>    This Loop Header: Depth=3
                                        ;         Child Loop BB214_52 Depth 4
                                        ;         Child Loop BB214_57 Depth 4
	s_delay_alu instid0(VALU_DEP_1) | instskip(NEXT) | instid1(VALU_DEP_1)
	v_lshlrev_b64 v[23:24], 2, v[21:22]
                                        ; implicit-def: $sgpr55
	v_add_co_u32 v23, vcc_lo, s36, v23
	s_delay_alu instid0(VALU_DEP_2) | instskip(SKIP_3) | instid1(VALU_DEP_1)
	v_add_co_ci_u32_e32 v24, vcc_lo, s37, v24, vcc_lo
	global_load_b32 v23, v[23:24], off
	s_waitcnt vmcnt(0)
	v_subrev_nc_u32_e32 v23, s21, v23
	v_cmp_lt_i32_e64 s15, v23, v52
	v_cmp_ge_i32_e32 vcc_lo, v23, v53
	s_delay_alu instid0(VALU_DEP_2) | instskip(NEXT) | instid1(SALU_CYCLE_1)
	s_or_b32 s15, s15, vcc_lo
	s_and_saveexec_b32 s67, s15
	s_delay_alu instid0(SALU_CYCLE_1)
	s_xor_b32 s15, exec_lo, s67
	s_cbranch_execz .LBB214_47
; %bb.44:                               ;   in Loop: Header=BB214_43 Depth=3
	s_mov_b32 s55, -1
	s_and_saveexec_b32 s67, vcc_lo
; %bb.45:                               ;   in Loop: Header=BB214_43 Depth=3
	v_min_i32_e32 v54, v23, v54
	v_dual_mov_b32 v13, v21 :: v_dual_mov_b32 v14, v22
	s_xor_b32 s55, exec_lo, -1
; %bb.46:                               ;   in Loop: Header=BB214_43 Depth=3
	s_or_b32 exec_lo, exec_lo, s67
	s_delay_alu instid0(SALU_CYCLE_1)
	s_and_b32 s55, s55, exec_lo
                                        ; implicit-def: $vgpr23
.LBB214_47:                             ;   in Loop: Header=BB214_43 Depth=3
	s_and_not1_saveexec_b32 s67, s15
	s_cbranch_execz .LBB214_42
; %bb.48:                               ;   in Loop: Header=BB214_43 Depth=3
	v_sub_nc_u32_e32 v23, v23, v52
	s_delay_alu instid0(VALU_DEP_1)
	v_lshlrev_b32_e32 v55, 2, v23
	ds_store_b32 v55, v51 offset:10240
	s_and_saveexec_b32 s68, s2
	s_cbranch_execz .LBB214_41
; %bb.49:                               ;   in Loop: Header=BB214_43 Depth=3
	v_cndmask_b32_e64 v23, 0, 1, s52
	s_and_not1_b32 vcc_lo, exec_lo, s48
	s_delay_alu instid0(VALU_DEP_1)
	v_cmp_ne_u32_e64 s15, 1, v23
	s_cbranch_vccnz .LBB214_54
; %bb.50:                               ;   in Loop: Header=BB214_43 Depth=3
	v_dual_mov_b32 v56, 0 :: v_dual_mov_b32 v57, 0
	s_delay_alu instid0(VALU_DEP_2)
	s_and_b32 vcc_lo, exec_lo, s15
	s_mov_b32 s15, 0
	s_cbranch_vccnz .LBB214_53
; %bb.51:                               ;   in Loop: Header=BB214_43 Depth=3
	v_dual_mov_b32 v24, v18 :: v_dual_mov_b32 v57, 0
	v_dual_mov_b32 v56, 0 :: v_dual_mov_b32 v23, v17
	v_mov_b32_e32 v58, v46
	s_mov_b32 s69, s54
.LBB214_52:                             ;   Parent Loop BB214_20 Depth=1
                                        ;     Parent Loop BB214_29 Depth=2
                                        ;       Parent Loop BB214_43 Depth=3
                                        ; =>      This Inner Loop Header: Depth=4
	global_load_b64 v[59:60], v[23:24], off offset:-4
	ds_load_b64 v[61:62], v58
	v_add_nc_u32_e32 v58, 16, v58
	v_add_co_u32 v23, vcc_lo, v23, 8
	v_add_co_ci_u32_e32 v24, vcc_lo, 0, v24, vcc_lo
	s_add_i32 s69, s69, -1
	s_delay_alu instid0(SALU_CYCLE_1) | instskip(SKIP_3) | instid1(VALU_DEP_2)
	s_cmp_lg_u32 s69, 0
	s_waitcnt vmcnt(0) lgkmcnt(0)
	v_fmac_f32_e32 v57, v62, v59
	v_fmac_f32_e32 v56, v61, v59
	;; [unrolled: 1-line block ×3, first 2 shown]
	s_delay_alu instid0(VALU_DEP_2)
	v_fma_f32 v56, -v62, v60, v56
	s_cbranch_scc1 .LBB214_52
.LBB214_53:                             ;   in Loop: Header=BB214_43 Depth=3
	s_and_not1_b32 vcc_lo, exec_lo, s15
	s_cbranch_vccnz .LBB214_40
	s_branch .LBB214_55
.LBB214_54:                             ;   in Loop: Header=BB214_43 Depth=3
                                        ; implicit-def: $vgpr56
                                        ; implicit-def: $vgpr57
.LBB214_55:                             ;   in Loop: Header=BB214_43 Depth=3
	v_dual_mov_b32 v56, 0 :: v_dual_mov_b32 v57, 0
	s_and_not1_b32 vcc_lo, exec_lo, s52
	s_cbranch_vccnz .LBB214_40
; %bb.56:                               ;   in Loop: Header=BB214_43 Depth=3
	v_mov_b32_e32 v24, v20
	v_dual_mov_b32 v56, 0 :: v_dual_mov_b32 v23, v19
	v_dual_mov_b32 v58, v47 :: v_dual_mov_b32 v57, 0
	s_mov_b32 s15, s54
	.p2align	6
.LBB214_57:                             ;   Parent Loop BB214_20 Depth=1
                                        ;     Parent Loop BB214_29 Depth=2
                                        ;       Parent Loop BB214_43 Depth=3
                                        ; =>      This Inner Loop Header: Depth=4
	global_load_b64 v[59:60], v[23:24], off offset:-4
	ds_load_b64 v[61:62], v58
	v_add_co_u32 v23, vcc_lo, v23, s38
	v_add_co_ci_u32_e32 v24, vcc_lo, s39, v24, vcc_lo
	s_add_i32 s15, s15, -1
	v_add_nc_u32_e32 v58, 8, v58
	s_cmp_eq_u32 s15, 0
	s_waitcnt vmcnt(0) lgkmcnt(0)
	v_fmac_f32_e32 v56, v61, v59
	v_fmac_f32_e32 v57, v62, v59
	s_delay_alu instid0(VALU_DEP_2) | instskip(NEXT) | instid1(VALU_DEP_2)
	v_fma_f32 v56, -v62, v60, v56
	v_fmac_f32_e32 v57, v61, v60
	s_cbranch_scc0 .LBB214_57
	s_branch .LBB214_40
.LBB214_58:                             ;   in Loop: Header=BB214_29 Depth=2
	s_or_b32 exec_lo, exec_lo, s45
.LBB214_59:                             ;   in Loop: Header=BB214_29 Depth=2
	s_delay_alu instid0(SALU_CYCLE_1)
	s_or_b32 exec_lo, exec_lo, s31
.LBB214_60:                             ;   in Loop: Header=BB214_29 Depth=2
	s_delay_alu instid0(SALU_CYCLE_1)
	s_or_b32 exec_lo, exec_lo, s30
	s_waitcnt lgkmcnt(0)
	s_barrier
	buffer_gl0_inv
	s_and_saveexec_b32 s15, s14
	s_cbranch_execz .LBB214_28
; %bb.61:                               ;   in Loop: Header=BB214_29 Depth=2
	v_lshlrev_b64 v[11:12], 3, v[11:12]
	s_delay_alu instid0(VALU_DEP_1) | instskip(NEXT) | instid1(VALU_DEP_2)
	v_add_co_u32 v11, vcc_lo, s18, v11
	v_add_co_ci_u32_e32 v12, vcc_lo, s19, v12, vcc_lo
	global_store_b64 v[11:12], v[13:14], off
	s_branch .LBB214_28
.LBB214_62:                             ;   in Loop: Header=BB214_29 Depth=2
                                        ; implicit-def: $vgpr13_vgpr14
	s_branch .LBB214_37
.LBB214_63:                             ;   in Loop: Header=BB214_20 Depth=1
	s_and_not1_b32 vcc_lo, exec_lo, s34
	s_cbranch_vccnz .LBB214_75
; %bb.64:                               ;   in Loop: Header=BB214_20 Depth=1
	s_load_b128 s[28:31], s[16:17], 0x0
	s_mov_b32 s15, exec_lo
	s_waitcnt lgkmcnt(0)
	v_add_co_u32 v13, vcc_lo, s28, v32
	v_add_co_ci_u32_e32 v14, vcc_lo, s29, v33, vcc_lo
	s_sub_u32 s30, s30, s60
	s_subb_u32 s31, s31, 0
	s_delay_alu instid0(VALU_DEP_1) | instid1(SALU_CYCLE_1)
	v_cmpx_gt_i64_e64 s[30:31], v[13:14]
	s_cbranch_execz .LBB214_74
; %bb.65:                               ;   in Loop: Header=BB214_20 Depth=1
	v_lshlrev_b64 v[15:16], 2, v[13:14]
	v_mad_u64_u32 v[11:12], null, s26, v13, v[7:8]
	v_mul_lo_u32 v17, s26, v14
	v_mul_lo_u32 v18, s27, v13
	s_delay_alu instid0(VALU_DEP_4) | instskip(SKIP_2) | instid1(VALU_DEP_4)
	v_add_co_u32 v13, vcc_lo, s24, v15
	v_add_co_ci_u32_e32 v14, vcc_lo, s25, v16, vcc_lo
	v_add_co_u32 v15, vcc_lo, v0, s28
	v_add3_u32 v12, v18, v12, v17
	v_add_co_ci_u32_e32 v16, vcc_lo, s29, v48, vcc_lo
	s_mov_b32 s28, 0
	s_branch .LBB214_68
.LBB214_66:                             ;   in Loop: Header=BB214_68 Depth=2
	s_or_b32 exec_lo, exec_lo, s29
	s_delay_alu instid0(SALU_CYCLE_1)
	s_or_b32 s13, s13, exec_lo
.LBB214_67:                             ;   in Loop: Header=BB214_68 Depth=2
	s_or_b32 exec_lo, exec_lo, s14
	v_cmp_le_i64_e32 vcc_lo, s[30:31], v[15:16]
	s_xor_b32 s14, s13, -1
	v_add_co_u32 v13, s13, 0x100, v13
	s_delay_alu instid0(VALU_DEP_1)
	v_add_co_ci_u32_e64 v14, s13, 0, v14, s13
	s_or_b32 s13, s14, vcc_lo
	v_add_co_u32 v11, vcc_lo, v11, s42
	v_add_co_ci_u32_e32 v12, vcc_lo, s43, v12, vcc_lo
	v_add_co_u32 v15, vcc_lo, v15, 64
	v_add_co_ci_u32_e32 v16, vcc_lo, 0, v16, vcc_lo
	s_and_b32 s13, exec_lo, s13
	s_delay_alu instid0(SALU_CYCLE_1) | instskip(NEXT) | instid1(SALU_CYCLE_1)
	s_or_b32 s28, s13, s28
	s_and_not1_b32 exec_lo, exec_lo, s28
	s_cbranch_execz .LBB214_73
.LBB214_68:                             ;   Parent Loop BB214_20 Depth=1
                                        ; =>  This Inner Loop Header: Depth=2
	global_load_b32 v17, v[13:14], off
	s_waitcnt vmcnt(0)
	v_subrev_nc_u32_e32 v17, s23, v17
	s_delay_alu instid0(VALU_DEP_1) | instskip(SKIP_2) | instid1(VALU_DEP_2)
	v_cmp_lt_i32_e64 s13, v17, v52
	v_cmp_ge_i32_e64 s14, v17, v53
	v_cmp_lt_i32_e32 vcc_lo, v17, v53
	s_or_b32 s14, s13, s14
                                        ; implicit-def: $sgpr13
	s_delay_alu instid0(SALU_CYCLE_1) | instskip(NEXT) | instid1(SALU_CYCLE_1)
	s_and_saveexec_b32 s29, s14
	s_xor_b32 s14, exec_lo, s29
; %bb.69:                               ;   in Loop: Header=BB214_68 Depth=2
	v_min_i32_e32 v17, v17, v54
	s_and_b32 s13, vcc_lo, exec_lo
	s_delay_alu instid0(VALU_DEP_1)
	v_cndmask_b32_e32 v54, v17, v54, vcc_lo
                                        ; implicit-def: $vgpr17
; %bb.70:                               ;   in Loop: Header=BB214_68 Depth=2
	s_and_not1_saveexec_b32 s14, s14
	s_cbranch_execz .LBB214_67
; %bb.71:                               ;   in Loop: Header=BB214_68 Depth=2
	v_sub_nc_u32_e32 v17, v17, v52
	s_delay_alu instid0(VALU_DEP_1)
	v_lshlrev_b32_e32 v17, 2, v17
	ds_store_b32 v17, v51 offset:10240
	s_and_saveexec_b32 s29, s2
	s_cbranch_execz .LBB214_66
; %bb.72:                               ;   in Loop: Header=BB214_68 Depth=2
	global_load_b64 v[18:19], v[11:12], off offset:-4
	v_or3_b32 v17, v17, v31, v26
	s_delay_alu instid0(VALU_DEP_1) | instskip(SKIP_2) | instid1(VALU_DEP_1)
	v_lshlrev_b32_e32 v17, 3, v17
	s_waitcnt vmcnt(0)
	v_mul_f32_e64 v20, v19, -s59
	v_dual_mul_f32 v19, s58, v19 :: v_dual_fmac_f32 v20, s58, v18
	s_delay_alu instid0(VALU_DEP_1)
	v_fmac_f32_e32 v19, s59, v18
	ds_add_f32 v17, v20
	ds_add_f32 v17, v19 offset:4
	s_branch .LBB214_66
.LBB214_73:                             ;   in Loop: Header=BB214_20 Depth=1
	s_or_b32 exec_lo, exec_lo, s28
.LBB214_74:                             ;   in Loop: Header=BB214_20 Depth=1
	s_delay_alu instid0(SALU_CYCLE_1)
	s_or_b32 exec_lo, exec_lo, s15
.LBB214_75:                             ;   in Loop: Header=BB214_20 Depth=1
	s_and_saveexec_b32 s13, s4
	s_cbranch_execz .LBB214_80
; %bb.76:                               ;   in Loop: Header=BB214_20 Depth=1
	s_mov_b32 s15, exec_lo
	s_brev_b32 s14, -2
.LBB214_77:                             ;   Parent Loop BB214_20 Depth=1
                                        ; =>  This Inner Loop Header: Depth=2
	s_ctz_i32_b32 s28, s15
	s_delay_alu instid0(SALU_CYCLE_1) | instskip(SKIP_1) | instid1(SALU_CYCLE_1)
	v_readlane_b32 s29, v54, s28
	s_lshl_b32 s28, 1, s28
	s_and_not1_b32 s15, s15, s28
	s_delay_alu instid0(VALU_DEP_1)
	s_min_i32 s14, s14, s29
	s_cmp_lg_u32 s15, 0
	s_cbranch_scc1 .LBB214_77
; %bb.78:                               ;   in Loop: Header=BB214_20 Depth=1
	v_mbcnt_lo_u32_b32 v11, exec_lo, 0
	s_mov_b32 s15, exec_lo
	s_delay_alu instid0(VALU_DEP_1)
	v_cmpx_eq_u32_e32 0, v11
	s_xor_b32 s15, exec_lo, s15
	s_cbranch_execz .LBB214_80
; %bb.79:                               ;   in Loop: Header=BB214_20 Depth=1
	v_mov_b32_e32 v11, s14
	ds_min_i32 v1, v11 offset:11264
.LBB214_80:                             ;   in Loop: Header=BB214_20 Depth=1
	s_or_b32 exec_lo, exec_lo, s13
	s_waitcnt lgkmcnt(0)
	s_waitcnt_vscnt null, 0x0
	s_barrier
	buffer_gl0_inv
	ds_load_b32 v11, v34
	s_waitcnt lgkmcnt(0)
	s_barrier
	buffer_gl0_inv
	s_and_saveexec_b32 s13, s5
	s_cbranch_execz .LBB214_82
; %bb.81:                               ;   in Loop: Header=BB214_20 Depth=1
	ds_load_b32 v12, v35
	s_waitcnt lgkmcnt(0)
	v_add_nc_u32_e32 v11, v12, v11
.LBB214_82:                             ;   in Loop: Header=BB214_20 Depth=1
	s_or_b32 exec_lo, exec_lo, s13
	s_barrier
	buffer_gl0_inv
	ds_store_b32 v34, v11
	s_waitcnt lgkmcnt(0)
	s_barrier
	buffer_gl0_inv
	s_and_saveexec_b32 s13, s6
	s_cbranch_execz .LBB214_84
; %bb.83:                               ;   in Loop: Header=BB214_20 Depth=1
	ds_load_b32 v12, v36
	s_waitcnt lgkmcnt(0)
	v_add_nc_u32_e32 v11, v12, v11
.LBB214_84:                             ;   in Loop: Header=BB214_20 Depth=1
	s_or_b32 exec_lo, exec_lo, s13
	s_barrier
	buffer_gl0_inv
	ds_store_b32 v34, v11
	;; [unrolled: 14-line block ×8, first 2 shown]
	s_waitcnt lgkmcnt(0)
	s_barrier
	buffer_gl0_inv
	ds_load_b32 v12, v1 offset:11260
	v_mov_b32_e32 v13, 0
	s_and_saveexec_b32 s13, s61
	s_cbranch_execz .LBB214_98
; %bb.97:                               ;   in Loop: Header=BB214_20 Depth=1
	ds_load_b32 v13, v35
.LBB214_98:                             ;   in Loop: Header=BB214_20 Depth=1
	s_or_b32 exec_lo, exec_lo, s13
	s_waitcnt lgkmcnt(0)
	v_cmp_eq_u32_e32 vcc_lo, v11, v13
	s_barrier
	buffer_gl0_inv
	s_and_b32 s14, s61, vcc_lo
	s_delay_alu instid0(SALU_CYCLE_1)
	s_and_saveexec_b32 s13, s14
	s_cbranch_execz .LBB214_100
; %bb.99:                               ;   in Loop: Header=BB214_20 Depth=1
	ds_store_b32 v34, v1
.LBB214_100:                            ;   in Loop: Header=BB214_20 Depth=1
	s_or_b32 exec_lo, exec_lo, s13
	v_add_co_u32 v11, vcc_lo, v9, -1
	v_add_co_ci_u32_e32 v13, vcc_lo, -1, v10, vcc_lo
	v_dual_mov_b32 v15, v50 :: v_dual_add_nc_u32 v14, s22, v52
	v_mov_b32_e32 v16, v49
	v_mov_b32_e32 v17, v25
	s_mov_b32 s13, 0
	s_waitcnt lgkmcnt(0)
	s_barrier
	buffer_gl0_inv
	s_branch .LBB214_102
.LBB214_101:                            ;   in Loop: Header=BB214_102 Depth=2
	s_or_b32 exec_lo, exec_lo, s14
	v_add_nc_u32_e32 v18, 64, v17
	v_cmp_lt_u32_e32 vcc_lo, 0xbf, v17
	v_add_nc_u32_e32 v16, 0x800, v16
	v_add_nc_u32_e32 v15, 0x100, v15
	s_delay_alu instid0(VALU_DEP_4) | instskip(SKIP_1) | instid1(SALU_CYCLE_1)
	v_mov_b32_e32 v17, v18
	s_or_b32 s13, vcc_lo, s13
	s_and_not1_b32 exec_lo, exec_lo, s13
	s_cbranch_execz .LBB214_19
.LBB214_102:                            ;   Parent Loop BB214_20 Depth=1
                                        ; =>  This Inner Loop Header: Depth=2
	ds_load_b32 v18, v15
	s_mov_b32 s14, exec_lo
	s_waitcnt lgkmcnt(0)
	v_cmpx_ne_u32_e32 0, v18
	s_cbranch_execz .LBB214_101
; %bb.103:                              ;   in Loop: Header=BB214_102 Depth=2
	v_ashrrev_i32_e32 v19, 31, v18
	v_add_co_u32 v20, vcc_lo, v9, v18
	v_add_nc_u32_e32 v22, v14, v17
	s_delay_alu instid0(VALU_DEP_3) | instskip(NEXT) | instid1(VALU_DEP_1)
	v_add_co_ci_u32_e32 v21, vcc_lo, v10, v19, vcc_lo
	v_lshlrev_b64 v[20:21], 2, v[20:21]
	s_delay_alu instid0(VALU_DEP_1) | instskip(NEXT) | instid1(VALU_DEP_2)
	v_add_co_u32 v20, vcc_lo, s65, v20
	v_add_co_ci_u32_e32 v21, vcc_lo, s66, v21, vcc_lo
	global_store_b32 v[20:21], v22, off
	s_and_b32 exec_lo, exec_lo, s2
	s_cbranch_execz .LBB214_101
; %bb.104:                              ;   in Loop: Header=BB214_102 Depth=2
	v_add_co_u32 v20, vcc_lo, v11, v18
	v_add_co_ci_u32_e32 v22, vcc_lo, v13, v19, vcc_lo
	s_delay_alu instid0(VALU_DEP_2) | instskip(NEXT) | instid1(VALU_DEP_1)
	v_mad_u64_u32 v[18:19], null, v20, s44, 0
	v_mad_u64_u32 v[20:21], null, v22, s44, v[19:20]
	ds_load_b64 v[21:22], v16
	v_mov_b32_e32 v19, v20
	s_delay_alu instid0(VALU_DEP_1) | instskip(NEXT) | instid1(VALU_DEP_1)
	v_lshlrev_b64 v[18:19], 3, v[18:19]
	v_add_co_u32 v18, vcc_lo, v44, v18
	s_delay_alu instid0(VALU_DEP_2)
	v_add_co_ci_u32_e32 v19, vcc_lo, v43, v19, vcc_lo
	s_waitcnt lgkmcnt(0)
	global_store_b64 v[18:19], v[21:22], off
	s_branch .LBB214_101
.LBB214_105:
	s_endpgm
	.section	.rodata,"a",@progbits
	.p2align	6, 0x0
	.amdhsa_kernel _ZN9rocsparseL38bsrgemm_block_per_row_atomic_multipassILj256ELj256ELj2Eli21rocsparse_complex_numIfEEEv20rocsparse_direction_T3_S4_PKS4_S6_NS_24const_host_device_scalarIT4_EEPKT2_S6_PKS8_SC_S6_SE_S9_SC_S6_SE_SC_PS4_PS8_PSA_21rocsparse_index_base_SI_SI_SI_bbb
		.amdhsa_group_segment_fixed_size 11268
		.amdhsa_private_segment_fixed_size 0
		.amdhsa_kernarg_size 172
		.amdhsa_user_sgpr_count 15
		.amdhsa_user_sgpr_dispatch_ptr 0
		.amdhsa_user_sgpr_queue_ptr 0
		.amdhsa_user_sgpr_kernarg_segment_ptr 1
		.amdhsa_user_sgpr_dispatch_id 0
		.amdhsa_user_sgpr_private_segment_size 0
		.amdhsa_wavefront_size32 1
		.amdhsa_uses_dynamic_stack 0
		.amdhsa_enable_private_segment 0
		.amdhsa_system_sgpr_workgroup_id_x 1
		.amdhsa_system_sgpr_workgroup_id_y 0
		.amdhsa_system_sgpr_workgroup_id_z 0
		.amdhsa_system_sgpr_workgroup_info 0
		.amdhsa_system_vgpr_workitem_id 0
		.amdhsa_next_free_vgpr 63
		.amdhsa_next_free_sgpr 70
		.amdhsa_reserve_vcc 1
		.amdhsa_float_round_mode_32 0
		.amdhsa_float_round_mode_16_64 0
		.amdhsa_float_denorm_mode_32 3
		.amdhsa_float_denorm_mode_16_64 3
		.amdhsa_dx10_clamp 1
		.amdhsa_ieee_mode 1
		.amdhsa_fp16_overflow 0
		.amdhsa_workgroup_processor_mode 1
		.amdhsa_memory_ordered 1
		.amdhsa_forward_progress 0
		.amdhsa_shared_vgpr_count 0
		.amdhsa_exception_fp_ieee_invalid_op 0
		.amdhsa_exception_fp_denorm_src 0
		.amdhsa_exception_fp_ieee_div_zero 0
		.amdhsa_exception_fp_ieee_overflow 0
		.amdhsa_exception_fp_ieee_underflow 0
		.amdhsa_exception_fp_ieee_inexact 0
		.amdhsa_exception_int_div_zero 0
	.end_amdhsa_kernel
	.section	.text._ZN9rocsparseL38bsrgemm_block_per_row_atomic_multipassILj256ELj256ELj2Eli21rocsparse_complex_numIfEEEv20rocsparse_direction_T3_S4_PKS4_S6_NS_24const_host_device_scalarIT4_EEPKT2_S6_PKS8_SC_S6_SE_S9_SC_S6_SE_SC_PS4_PS8_PSA_21rocsparse_index_base_SI_SI_SI_bbb,"axG",@progbits,_ZN9rocsparseL38bsrgemm_block_per_row_atomic_multipassILj256ELj256ELj2Eli21rocsparse_complex_numIfEEEv20rocsparse_direction_T3_S4_PKS4_S6_NS_24const_host_device_scalarIT4_EEPKT2_S6_PKS8_SC_S6_SE_S9_SC_S6_SE_SC_PS4_PS8_PSA_21rocsparse_index_base_SI_SI_SI_bbb,comdat
.Lfunc_end214:
	.size	_ZN9rocsparseL38bsrgemm_block_per_row_atomic_multipassILj256ELj256ELj2Eli21rocsparse_complex_numIfEEEv20rocsparse_direction_T3_S4_PKS4_S6_NS_24const_host_device_scalarIT4_EEPKT2_S6_PKS8_SC_S6_SE_S9_SC_S6_SE_SC_PS4_PS8_PSA_21rocsparse_index_base_SI_SI_SI_bbb, .Lfunc_end214-_ZN9rocsparseL38bsrgemm_block_per_row_atomic_multipassILj256ELj256ELj2Eli21rocsparse_complex_numIfEEEv20rocsparse_direction_T3_S4_PKS4_S6_NS_24const_host_device_scalarIT4_EEPKT2_S6_PKS8_SC_S6_SE_S9_SC_S6_SE_SC_PS4_PS8_PSA_21rocsparse_index_base_SI_SI_SI_bbb
                                        ; -- End function
	.section	.AMDGPU.csdata,"",@progbits
; Kernel info:
; codeLenInByte = 4104
; NumSgprs: 72
; NumVgprs: 63
; ScratchSize: 0
; MemoryBound: 0
; FloatMode: 240
; IeeeMode: 1
; LDSByteSize: 11268 bytes/workgroup (compile time only)
; SGPRBlocks: 8
; VGPRBlocks: 7
; NumSGPRsForWavesPerEU: 72
; NumVGPRsForWavesPerEU: 63
; Occupancy: 16
; WaveLimiterHint : 1
; COMPUTE_PGM_RSRC2:SCRATCH_EN: 0
; COMPUTE_PGM_RSRC2:USER_SGPR: 15
; COMPUTE_PGM_RSRC2:TRAP_HANDLER: 0
; COMPUTE_PGM_RSRC2:TGID_X_EN: 1
; COMPUTE_PGM_RSRC2:TGID_Y_EN: 0
; COMPUTE_PGM_RSRC2:TGID_Z_EN: 0
; COMPUTE_PGM_RSRC2:TIDIG_COMP_CNT: 0
	.section	.text._ZN9rocsparseL23bsrgemm_fill_wf_per_rowILj256ELj64ELj8ELj137ELj4Eli21rocsparse_complex_numIfEEEv20rocsparse_direction_T5_S4_S4_PKS4_S6_NS_24const_host_device_scalarIT6_EEPKT4_S6_PKS8_SC_S6_SE_S9_SC_S6_SE_SC_PS4_PS8_21rocsparse_index_base_SH_SH_SH_bbb,"axG",@progbits,_ZN9rocsparseL23bsrgemm_fill_wf_per_rowILj256ELj64ELj8ELj137ELj4Eli21rocsparse_complex_numIfEEEv20rocsparse_direction_T5_S4_S4_PKS4_S6_NS_24const_host_device_scalarIT6_EEPKT4_S6_PKS8_SC_S6_SE_S9_SC_S6_SE_SC_PS4_PS8_21rocsparse_index_base_SH_SH_SH_bbb,comdat
	.globl	_ZN9rocsparseL23bsrgemm_fill_wf_per_rowILj256ELj64ELj8ELj137ELj4Eli21rocsparse_complex_numIfEEEv20rocsparse_direction_T5_S4_S4_PKS4_S6_NS_24const_host_device_scalarIT6_EEPKT4_S6_PKS8_SC_S6_SE_S9_SC_S6_SE_SC_PS4_PS8_21rocsparse_index_base_SH_SH_SH_bbb ; -- Begin function _ZN9rocsparseL23bsrgemm_fill_wf_per_rowILj256ELj64ELj8ELj137ELj4Eli21rocsparse_complex_numIfEEEv20rocsparse_direction_T5_S4_S4_PKS4_S6_NS_24const_host_device_scalarIT6_EEPKT4_S6_PKS8_SC_S6_SE_S9_SC_S6_SE_SC_PS4_PS8_21rocsparse_index_base_SH_SH_SH_bbb
	.p2align	8
	.type	_ZN9rocsparseL23bsrgemm_fill_wf_per_rowILj256ELj64ELj8ELj137ELj4Eli21rocsparse_complex_numIfEEEv20rocsparse_direction_T5_S4_S4_PKS4_S6_NS_24const_host_device_scalarIT6_EEPKT4_S6_PKS8_SC_S6_SE_S9_SC_S6_SE_SC_PS4_PS8_21rocsparse_index_base_SH_SH_SH_bbb,@function
_ZN9rocsparseL23bsrgemm_fill_wf_per_rowILj256ELj64ELj8ELj137ELj4Eli21rocsparse_complex_numIfEEEv20rocsparse_direction_T5_S4_S4_PKS4_S6_NS_24const_host_device_scalarIT6_EEPKT4_S6_PKS8_SC_S6_SE_S9_SC_S6_SE_SC_PS4_PS8_21rocsparse_index_base_SH_SH_SH_bbb: ; @_ZN9rocsparseL23bsrgemm_fill_wf_per_rowILj256ELj64ELj8ELj137ELj4Eli21rocsparse_complex_numIfEEEv20rocsparse_direction_T5_S4_S4_PKS4_S6_NS_24const_host_device_scalarIT6_EEPKT4_S6_PKS8_SC_S6_SE_S9_SC_S6_SE_SC_PS4_PS8_21rocsparse_index_base_SH_SH_SH_bbb
; %bb.0:
	s_clause 0x6
	s_load_b32 s13, s[0:1], 0xa0
	s_load_b256 s[4:11], s[0:1], 0x68
	s_load_b256 s[16:23], s[0:1], 0x48
	s_load_b128 s[44:47], s[0:1], 0x10
	s_load_b256 s[24:31], s[0:1], 0x28
	s_load_b64 s[2:3], s[0:1], 0x88
	s_load_b128 s[36:39], s[0:1], 0x90
	s_mov_b32 s35, 0
	s_mov_b32 s48, 0
	s_waitcnt lgkmcnt(0)
	s_bitcmp1_b32 s13, 0
	s_cselect_b32 s12, -1, 0
	s_bitcmp1_b32 s13, 16
	s_cselect_b32 s14, -1, 0
	s_delay_alu instid0(SALU_CYCLE_1) | instskip(SKIP_2) | instid1(VALU_DEP_1)
	s_xor_b32 s14, s14, -1
	s_bitcmp0_b32 s13, 0
	v_cndmask_b32_e64 v1, 0, 1, s14
	v_cmp_ne_u32_e32 vcc_lo, 1, v1
	s_cbranch_scc1 .LBB215_5
; %bb.1:
	s_load_b64 s[34:35], s[0:1], 0x20
	s_and_b32 vcc_lo, exec_lo, vcc_lo
	s_waitcnt lgkmcnt(0)
	s_mov_b32 s48, s34
	s_cbranch_vccnz .LBB215_3
; %bb.2:
	s_load_b32 s48, s[34:35], 0x0
.LBB215_3:
	s_and_not1_b32 vcc_lo, exec_lo, s14
	s_cbranch_vccnz .LBB215_5
; %bb.4:
	s_load_b32 s35, s[34:35], 0x4
.LBB215_5:
	s_bitcmp1_b32 s13, 8
	s_mov_b32 s34, 0
	s_cselect_b32 s49, -1, 0
	s_bfe_u32 s13, s13, 0x10008
	s_mov_b32 s33, 0
	s_cmp_eq_u32 s13, 0
	s_cbranch_scc1 .LBB215_11
; %bb.6:
	v_cmp_ne_u32_e32 vcc_lo, 1, v1
	s_mov_b32 s33, s20
	s_cbranch_vccnz .LBB215_8
; %bb.7:
	s_load_b32 s33, s[20:21], 0x0
.LBB215_8:
	v_cmp_ne_u32_e32 vcc_lo, 1, v1
	s_cbranch_vccnz .LBB215_10
; %bb.9:
	s_load_b32 s21, s[20:21], 0x4
.LBB215_10:
	s_waitcnt lgkmcnt(0)
	s_mov_b32 s34, s21
.LBB215_11:
	s_load_b128 s[40:43], s[0:1], 0x0
	v_lshrrev_b32_e32 v28, 6, v0
	v_and_b32_e32 v3, 63, v0
	s_mov_b32 s0, exec_lo
	s_delay_alu instid0(VALU_DEP_2) | instskip(NEXT) | instid1(VALU_DEP_2)
	v_lshl_or_b32 v27, v28, 5, 0x1000
	v_cmpx_gt_u32_e32 8, v3
	s_cbranch_execz .LBB215_13
; %bb.12:
	s_delay_alu instid0(VALU_DEP_2)
	v_lshl_add_u32 v1, v3, 2, v27
	s_waitcnt lgkmcnt(0)
	v_mov_b32_e32 v2, s42
	ds_store_b32 v1, v2
.LBB215_13:
	s_or_b32 exec_lo, exec_lo, s0
	v_mov_b32_e32 v1, 0
	v_lshlrev_b32_e32 v29, 10, v28
	v_or_b32_e32 v4, 0xffffffc0, v3
	s_mov_b32 s0, 0
	s_delay_alu instid0(VALU_DEP_3) | instskip(NEXT) | instid1(VALU_DEP_3)
	v_mov_b32_e32 v2, v1
	v_lshl_or_b32 v5, v3, 3, v29
.LBB215_14:                             ; =>This Inner Loop Header: Depth=1
	s_delay_alu instid0(VALU_DEP_3) | instskip(NEXT) | instid1(VALU_DEP_1)
	v_add_co_u32 v4, s1, v4, 64
	s_xor_b32 s1, s1, -1
	ds_store_b64 v5, v[1:2]
	v_add_nc_u32_e32 v5, 0x200, v5
	s_and_b32 s1, exec_lo, s1
	s_delay_alu instid0(SALU_CYCLE_1) | instskip(NEXT) | instid1(SALU_CYCLE_1)
	s_or_b32 s0, s1, s0
	s_and_not1_b32 exec_lo, exec_lo, s0
	s_cbranch_execnz .LBB215_14
; %bb.15:
	s_or_b32 exec_lo, exec_lo, s0
	v_lshl_or_b32 v1, s15, 2, v28
	s_waitcnt lgkmcnt(0)
	s_barrier
	buffer_gl0_inv
	s_mov_b32 s0, exec_lo
	v_cmpx_gt_i32_e64 s41, v1
	s_cbranch_execz .LBB215_71
; %bb.16:
	s_cmp_eq_u64 s[46:47], 0
	s_cbranch_scc1 .LBB215_18
; %bb.17:
	s_load_b32 s0, s[44:45], 0x0
	s_waitcnt lgkmcnt(0)
	v_add_nc_u32_e32 v1, s0, v1
	s_delay_alu instid0(VALU_DEP_1) | instskip(NEXT) | instid1(VALU_DEP_1)
	v_ashrrev_i32_e32 v2, 31, v1
	v_lshlrev_b64 v[1:2], 2, v[1:2]
	s_delay_alu instid0(VALU_DEP_1) | instskip(NEXT) | instid1(VALU_DEP_2)
	v_add_co_u32 v1, vcc_lo, s46, v1
	v_add_co_ci_u32_e32 v2, vcc_lo, s47, v2, vcc_lo
	global_load_b32 v1, v[1:2], off
.LBB215_18:
	s_waitcnt vmcnt(0)
	v_ashrrev_i32_e32 v2, 31, v1
	v_lshrrev_b32_e32 v30, 4, v3
	v_and_b32_e32 v31, 3, v0
	v_bfe_u32 v32, v0, 2, 2
	s_and_not1_b32 vcc_lo, exec_lo, s12
	v_lshlrev_b64 v[5:6], 3, v[1:2]
	s_mul_i32 s12, s43, s43
	s_cbranch_vccnz .LBB215_48
; %bb.19:
	s_delay_alu instid0(VALU_DEP_1) | instskip(NEXT) | instid1(VALU_DEP_2)
	v_add_co_u32 v1, vcc_lo, s24, v5
	v_add_co_ci_u32_e32 v2, vcc_lo, s25, v6, vcc_lo
	v_sub_co_u32 v9, s0, v30, s36
	s_delay_alu instid0(VALU_DEP_1)
	v_sub_co_ci_u32_e64 v10, null, 0, 0, s0
	global_load_b128 v[1:4], v[1:2], off
	s_mov_b32 s13, 0
	s_mov_b32 s24, exec_lo
	s_waitcnt vmcnt(0)
	v_sub_co_u32 v7, vcc_lo, v3, s36
	v_subrev_co_ci_u32_e32 v8, vcc_lo, 0, v4, vcc_lo
	v_add_co_u32 v9, vcc_lo, v1, v9
	v_add_co_ci_u32_e32 v10, vcc_lo, v2, v10, vcc_lo
	s_delay_alu instid0(VALU_DEP_1)
	v_cmpx_lt_i64_e64 v[9:10], v[7:8]
	s_cbranch_execz .LBB215_47
; %bb.20:
	v_mad_u64_u32 v[1:2], null, v9, s12, 0
	v_mul_lo_u32 v11, v31, s43
	v_dual_mov_b32 v12, 0 :: v_dual_and_b32 v33, 15, v0
	v_mul_lo_u32 v13, v32, s43
	s_cmp_lg_u32 s40, 0
	s_mov_b32 s20, s43
	s_delay_alu instid0(VALU_DEP_4)
	v_mad_u64_u32 v[3:4], null, v10, s12, v[2:3]
	v_lshlrev_b32_e32 v15, 3, v32
	v_max_i32_e32 v4, v31, v32
	v_mov_b32_e32 v14, v12
	s_mov_b32 s21, s13
	s_cselect_b32 s41, -1, 0
	s_cmp_gt_i32 s43, 0
	s_delay_alu instid0(VALU_DEP_4)
	v_mov_b32_e32 v2, v3
	v_cmp_gt_i32_e64 s0, s43, v4
	v_lshlrev_b64 v[3:4], 3, v[11:12]
	s_mov_b32 s25, s37
	s_cselect_b32 s44, -1, 0
	v_lshlrev_b64 v[1:2], 3, v[1:2]
	s_lshl_b64 s[14:15], s[12:13], 5
	s_delay_alu instid0(VALU_DEP_1) | instskip(NEXT) | instid1(VALU_DEP_2)
	v_add_co_u32 v11, vcc_lo, v1, v15
	v_add_co_ci_u32_e32 v12, vcc_lo, 0, v2, vcc_lo
	v_lshlrev_b64 v[15:16], 3, v[13:14]
	s_delay_alu instid0(VALU_DEP_3) | instskip(NEXT) | instid1(VALU_DEP_3)
	v_add_co_u32 v11, vcc_lo, v11, s28
	v_add_co_ci_u32_e32 v12, vcc_lo, s29, v12, vcc_lo
	v_add_co_u32 v3, vcc_lo, v3, s18
	v_add_co_ci_u32_e32 v4, vcc_lo, s19, v4, vcc_lo
	s_delay_alu instid0(VALU_DEP_4) | instskip(NEXT) | instid1(VALU_DEP_4)
	v_add_co_u32 v11, vcc_lo, v11, 4
	v_add_co_ci_u32_e32 v12, vcc_lo, 0, v12, vcc_lo
	s_delay_alu instid0(VALU_DEP_4) | instskip(SKIP_4) | instid1(VALU_DEP_4)
	v_add_co_u32 v13, vcc_lo, v3, 4
	v_lshlrev_b32_e32 v3, 3, v31
	v_add_co_ci_u32_e32 v14, vcc_lo, 0, v4, vcc_lo
	v_add_co_u32 v1, vcc_lo, v1, v15
	v_add_co_ci_u32_e32 v2, vcc_lo, v2, v16, vcc_lo
	v_add_co_u32 v3, s1, v3, s18
	s_delay_alu instid0(VALU_DEP_3) | instskip(NEXT) | instid1(VALU_DEP_3)
	v_add_co_u32 v1, vcc_lo, v1, s28
	v_add_co_ci_u32_e32 v2, vcc_lo, s29, v2, vcc_lo
	v_add_co_ci_u32_e64 v4, null, 0, s19, s1
	s_delay_alu instid0(VALU_DEP_3) | instskip(NEXT) | instid1(VALU_DEP_3)
	v_add_co_u32 v15, vcc_lo, v1, 4
	v_add_co_ci_u32_e32 v16, vcc_lo, 0, v2, vcc_lo
	v_add_co_u32 v17, vcc_lo, v3, 4
	s_delay_alu instid0(VALU_DEP_4)
	v_add_co_ci_u32_e32 v18, vcc_lo, 0, v4, vcc_lo
	s_lshl_b64 s[18:19], s[20:21], 3
	s_lshl_b64 s[20:21], s[12:13], 3
	s_branch .LBB215_22
.LBB215_21:                             ;   in Loop: Header=BB215_22 Depth=1
	s_or_b32 exec_lo, exec_lo, s28
	v_add_co_u32 v9, vcc_lo, v9, 4
	v_add_co_ci_u32_e32 v10, vcc_lo, 0, v10, vcc_lo
	v_add_co_u32 v11, vcc_lo, v11, s14
	v_add_co_ci_u32_e32 v12, vcc_lo, s15, v12, vcc_lo
	s_delay_alu instid0(VALU_DEP_3) | instskip(SKIP_1) | instid1(VALU_DEP_1)
	v_cmp_ge_i64_e32 vcc_lo, v[9:10], v[7:8]
	v_add_co_u32 v15, s1, v15, s14
	v_add_co_ci_u32_e64 v16, s1, s15, v16, s1
	s_or_b32 s13, vcc_lo, s13
	s_delay_alu instid0(SALU_CYCLE_1)
	s_and_not1_b32 exec_lo, exec_lo, s13
	s_cbranch_execz .LBB215_47
.LBB215_22:                             ; =>This Loop Header: Depth=1
                                        ;     Child Loop BB215_25 Depth 2
                                        ;       Child Loop BB215_29 Depth 3
                                        ;       Child Loop BB215_34 Depth 3
	;; [unrolled: 1-line block ×3, first 2 shown]
	v_lshlrev_b64 v[1:2], 2, v[9:10]
	s_mov_b32 s28, exec_lo
	s_delay_alu instid0(VALU_DEP_1) | instskip(NEXT) | instid1(VALU_DEP_2)
	v_add_co_u32 v1, vcc_lo, s26, v1
	v_add_co_ci_u32_e32 v2, vcc_lo, s27, v2, vcc_lo
	global_load_b32 v1, v[1:2], off
	s_waitcnt vmcnt(0)
	v_subrev_nc_u32_e32 v1, s36, v1
	s_delay_alu instid0(VALU_DEP_1) | instskip(NEXT) | instid1(VALU_DEP_1)
	v_ashrrev_i32_e32 v2, 31, v1
	v_lshlrev_b64 v[1:2], 3, v[1:2]
	s_delay_alu instid0(VALU_DEP_1) | instskip(NEXT) | instid1(VALU_DEP_2)
	v_add_co_u32 v1, vcc_lo, s30, v1
	v_add_co_ci_u32_e32 v2, vcc_lo, s31, v2, vcc_lo
	global_load_b128 v[1:4], v[1:2], off
	s_waitcnt vmcnt(0)
	v_cmpx_lt_i64_e64 v[1:2], v[3:4]
	s_cbranch_execz .LBB215_21
; %bb.23:                               ;   in Loop: Header=BB215_22 Depth=1
	v_sub_co_u32 v1, vcc_lo, v1, s25
	v_subrev_co_ci_u32_e32 v2, vcc_lo, 0, v2, vcc_lo
	v_sub_co_u32 v3, vcc_lo, v3, s25
	s_delay_alu instid0(VALU_DEP_3) | instskip(NEXT) | instid1(VALU_DEP_3)
	v_mad_u64_u32 v[19:20], null, s20, v1, v[13:14]
	v_mul_lo_u32 v23, s20, v2
	v_mul_lo_u32 v24, s21, v1
	v_mad_u64_u32 v[21:22], null, s20, v1, v[17:18]
	v_subrev_co_ci_u32_e32 v4, vcc_lo, 0, v4, vcc_lo
	s_mov_b32 s29, 0
	s_delay_alu instid0(VALU_DEP_3) | instskip(NEXT) | instid1(VALU_DEP_3)
	v_add3_u32 v20, v24, v20, v23
	v_add3_u32 v22, v24, v22, v23
	s_branch .LBB215_25
.LBB215_24:                             ;   in Loop: Header=BB215_25 Depth=2
	s_or_b32 exec_lo, exec_lo, s45
	v_add_co_u32 v1, vcc_lo, v1, 1
	v_add_co_ci_u32_e32 v2, vcc_lo, 0, v2, vcc_lo
	v_add_co_u32 v19, vcc_lo, v19, s20
	v_add_co_ci_u32_e32 v20, vcc_lo, s21, v20, vcc_lo
	s_delay_alu instid0(VALU_DEP_3) | instskip(SKIP_1) | instid1(VALU_DEP_1)
	v_cmp_ge_i64_e32 vcc_lo, v[1:2], v[3:4]
	v_add_co_u32 v21, s1, v21, s20
	v_add_co_ci_u32_e64 v22, s1, s21, v22, s1
	s_or_b32 s29, vcc_lo, s29
	s_delay_alu instid0(SALU_CYCLE_1)
	s_and_not1_b32 exec_lo, exec_lo, s29
	s_cbranch_execz .LBB215_21
.LBB215_25:                             ;   Parent Loop BB215_22 Depth=1
                                        ; =>  This Loop Header: Depth=2
                                        ;       Child Loop BB215_29 Depth 3
                                        ;       Child Loop BB215_34 Depth 3
	;; [unrolled: 1-line block ×3, first 2 shown]
	s_and_saveexec_b32 s45, s0
	s_cbranch_execz .LBB215_24
; %bb.26:                               ;   in Loop: Header=BB215_25 Depth=2
	v_lshlrev_b64 v[23:24], 2, v[1:2]
	s_delay_alu instid0(VALU_DEP_1) | instskip(NEXT) | instid1(VALU_DEP_2)
	v_add_co_u32 v23, vcc_lo, s16, v23
	v_add_co_ci_u32_e32 v24, vcc_lo, s17, v24, vcc_lo
	s_and_not1_b32 vcc_lo, exec_lo, s41
	global_load_b32 v34, v[23:24], off
	v_cndmask_b32_e64 v23, 0, 1, s44
	s_delay_alu instid0(VALU_DEP_1)
	v_cmp_ne_u32_e64 s1, 1, v23
	s_cbranch_vccnz .LBB215_31
; %bb.27:                               ;   in Loop: Header=BB215_25 Depth=2
	v_dual_mov_b32 v35, 0 :: v_dual_mov_b32 v36, 0
	s_delay_alu instid0(VALU_DEP_2)
	s_and_b32 vcc_lo, exec_lo, s1
	s_mov_b32 s1, 0
	s_cbranch_vccnz .LBB215_30
; %bb.28:                               ;   in Loop: Header=BB215_25 Depth=2
	v_dual_mov_b32 v35, 0 :: v_dual_mov_b32 v24, v20
	v_dual_mov_b32 v23, v19 :: v_dual_mov_b32 v26, v12
	;; [unrolled: 1-line block ×3, first 2 shown]
	s_mov_b32 s46, s43
	.p2align	6
.LBB215_29:                             ;   Parent Loop BB215_22 Depth=1
                                        ;     Parent Loop BB215_25 Depth=2
                                        ; =>    This Inner Loop Header: Depth=3
	global_load_b64 v[37:38], v[25:26], off offset:-4
	global_load_b64 v[39:40], v[23:24], off offset:-4
	v_add_co_u32 v25, vcc_lo, v25, s18
	v_add_co_ci_u32_e32 v26, vcc_lo, s19, v26, vcc_lo
	v_add_co_u32 v23, vcc_lo, v23, 8
	v_add_co_ci_u32_e32 v24, vcc_lo, 0, v24, vcc_lo
	s_add_i32 s46, s46, -1
	s_delay_alu instid0(SALU_CYCLE_1) | instskip(SKIP_3) | instid1(VALU_DEP_2)
	s_cmp_lg_u32 s46, 0
	s_waitcnt vmcnt(0)
	v_fmac_f32_e32 v35, v37, v39
	v_fmac_f32_e32 v36, v38, v39
	v_fma_f32 v35, -v38, v40, v35
	s_delay_alu instid0(VALU_DEP_2)
	v_fmac_f32_e32 v36, v37, v40
	s_cbranch_scc1 .LBB215_29
.LBB215_30:                             ;   in Loop: Header=BB215_25 Depth=2
	s_and_not1_b32 vcc_lo, exec_lo, s1
	s_cbranch_vccz .LBB215_32
	s_branch .LBB215_35
.LBB215_31:                             ;   in Loop: Header=BB215_25 Depth=2
                                        ; implicit-def: $vgpr35
                                        ; implicit-def: $vgpr36
.LBB215_32:                             ;   in Loop: Header=BB215_25 Depth=2
	v_dual_mov_b32 v35, 0 :: v_dual_mov_b32 v36, 0
	s_and_not1_b32 vcc_lo, exec_lo, s44
	s_cbranch_vccnz .LBB215_35
; %bb.33:                               ;   in Loop: Header=BB215_25 Depth=2
	v_dual_mov_b32 v35, 0 :: v_dual_mov_b32 v24, v22
	v_dual_mov_b32 v23, v21 :: v_dual_mov_b32 v26, v16
	;; [unrolled: 1-line block ×3, first 2 shown]
	s_mov_b32 s1, s43
	.p2align	6
.LBB215_34:                             ;   Parent Loop BB215_22 Depth=1
                                        ;     Parent Loop BB215_25 Depth=2
                                        ; =>    This Inner Loop Header: Depth=3
	global_load_b64 v[37:38], v[25:26], off offset:-4
	global_load_b64 v[39:40], v[23:24], off offset:-4
	v_add_co_u32 v25, vcc_lo, v25, 8
	v_add_co_ci_u32_e32 v26, vcc_lo, 0, v26, vcc_lo
	v_add_co_u32 v23, vcc_lo, v23, s18
	v_add_co_ci_u32_e32 v24, vcc_lo, s19, v24, vcc_lo
	s_add_i32 s1, s1, -1
	s_delay_alu instid0(SALU_CYCLE_1) | instskip(SKIP_3) | instid1(VALU_DEP_2)
	s_cmp_eq_u32 s1, 0
	s_waitcnt vmcnt(0)
	v_fmac_f32_e32 v35, v37, v39
	v_fmac_f32_e32 v36, v38, v39
	v_fma_f32 v35, -v38, v40, v35
	s_delay_alu instid0(VALU_DEP_2)
	v_fmac_f32_e32 v36, v37, v40
	s_cbranch_scc0 .LBB215_34
.LBB215_35:                             ;   in Loop: Header=BB215_25 Depth=2
	s_delay_alu instid0(VALU_DEP_1)
	v_mul_f32_e64 v23, v36, -s35
	v_mul_f32_e32 v24, s48, v36
	s_waitcnt vmcnt(0)
	v_subrev_nc_u32_e32 v25, s37, v34
	s_mov_b32 s1, 0
	v_fmac_f32_e32 v23, s48, v35
	v_fmac_f32_e32 v24, s35, v35
	s_delay_alu instid0(VALU_DEP_3)
	v_and_b32_e32 v26, 7, v25
	s_branch .LBB215_37
.LBB215_36:                             ;   in Loop: Header=BB215_37 Depth=3
	s_or_b32 exec_lo, exec_lo, s46
	s_xor_b32 s46, s47, -1
	s_delay_alu instid0(SALU_CYCLE_1) | instskip(NEXT) | instid1(SALU_CYCLE_1)
	s_and_b32 s46, exec_lo, s46
	s_or_b32 s1, s46, s1
	s_delay_alu instid0(SALU_CYCLE_1)
	s_and_not1_b32 exec_lo, exec_lo, s1
	s_cbranch_execz .LBB215_24
.LBB215_37:                             ;   Parent Loop BB215_22 Depth=1
                                        ;     Parent Loop BB215_25 Depth=2
                                        ; =>    This Inner Loop Header: Depth=3
	s_delay_alu instid0(VALU_DEP_1)
	v_lshl_add_u32 v34, v26, 2, v27
	s_mov_b32 s46, exec_lo
                                        ; implicit-def: $sgpr47
	ds_load_b32 v35, v34
	s_waitcnt lgkmcnt(0)
	v_cmpx_ne_u32_e64 v35, v25
	s_xor_b32 s46, exec_lo, s46
	s_cbranch_execz .LBB215_45
; %bb.38:                               ;   in Loop: Header=BB215_37 Depth=3
	s_mov_b32 s50, exec_lo
                                        ; implicit-def: $sgpr47
	v_cmpx_ne_u32_e64 s42, v35
	s_xor_b32 s50, exec_lo, s50
; %bb.39:                               ;   in Loop: Header=BB215_37 Depth=3
	v_add_nc_u32_e32 v26, 1, v26
	s_mov_b32 s47, -1
                                        ; implicit-def: $vgpr34
	s_delay_alu instid0(VALU_DEP_1)
	v_and_b32_e32 v26, 7, v26
; %bb.40:                               ;   in Loop: Header=BB215_37 Depth=3
	s_and_not1_saveexec_b32 s50, s50
	s_cbranch_execz .LBB215_44
; %bb.41:                               ;   in Loop: Header=BB215_37 Depth=3
	v_mov_b32_e32 v35, s42
	s_mov_b32 s52, -1
	s_mov_b32 s51, exec_lo
	ds_cmpstore_rtn_b32 v34, v34, v25, v35
	s_waitcnt lgkmcnt(0)
	v_cmpx_eq_u32_e64 s42, v34
	s_cbranch_execz .LBB215_43
; %bb.42:                               ;   in Loop: Header=BB215_37 Depth=3
	v_lshlrev_b32_e32 v34, 3, v33
	s_xor_b32 s52, exec_lo, -1
	s_delay_alu instid0(VALU_DEP_1) | instskip(NEXT) | instid1(VALU_DEP_1)
	v_lshl_or_b32 v34, v26, 7, v34
	v_add_nc_u32_e32 v34, v29, v34
	ds_add_f32 v34, v23
	ds_add_f32 v34, v24 offset:4
.LBB215_43:                             ;   in Loop: Header=BB215_37 Depth=3
	s_or_b32 exec_lo, exec_lo, s51
	s_delay_alu instid0(SALU_CYCLE_1) | instskip(SKIP_1) | instid1(SALU_CYCLE_1)
	s_and_not1_b32 s47, s47, exec_lo
	s_and_b32 s51, s52, exec_lo
	s_or_b32 s47, s47, s51
.LBB215_44:                             ;   in Loop: Header=BB215_37 Depth=3
	s_or_b32 exec_lo, exec_lo, s50
	s_delay_alu instid0(SALU_CYCLE_1)
	s_and_b32 s47, s47, exec_lo
.LBB215_45:                             ;   in Loop: Header=BB215_37 Depth=3
	s_and_not1_saveexec_b32 s46, s46
	s_cbranch_execz .LBB215_36
; %bb.46:                               ;   in Loop: Header=BB215_37 Depth=3
	v_lshlrev_b32_e32 v34, 3, v33
	s_and_not1_b32 s47, s47, exec_lo
	s_delay_alu instid0(VALU_DEP_1) | instskip(NEXT) | instid1(VALU_DEP_1)
	v_lshl_or_b32 v34, v26, 7, v34
	v_add_nc_u32_e32 v34, v29, v34
	ds_add_f32 v34, v23
	ds_add_f32 v34, v24 offset:4
	s_branch .LBB215_36
.LBB215_47:
	s_or_b32 exec_lo, exec_lo, s24
.LBB215_48:
	s_delay_alu instid0(SALU_CYCLE_1)
	s_and_not1_b32 vcc_lo, exec_lo, s49
	s_waitcnt lgkmcnt(0)
	s_barrier
	buffer_gl0_inv
	s_cbranch_vccnz .LBB215_66
; %bb.49:
	v_add_co_u32 v1, vcc_lo, s22, v5
	v_add_co_ci_u32_e32 v2, vcc_lo, s23, v6, vcc_lo
	v_sub_co_u32 v3, s0, v30, s39
	s_delay_alu instid0(VALU_DEP_1)
	v_sub_co_ci_u32_e64 v4, null, 0, 0, s0
	global_load_b128 v[7:10], v[1:2], off
	s_mov_b32 s13, 0
	s_mov_b32 s1, exec_lo
	s_waitcnt vmcnt(0)
	v_sub_co_u32 v1, vcc_lo, v9, s39
	v_subrev_co_ci_u32_e32 v2, vcc_lo, 0, v10, vcc_lo
	v_add_co_u32 v3, vcc_lo, v7, v3
	v_add_co_ci_u32_e32 v4, vcc_lo, v8, v4, vcc_lo
	s_delay_alu instid0(VALU_DEP_1)
	v_cmpx_lt_i64_e64 v[3:4], v[1:2]
	s_cbranch_execz .LBB215_65
; %bb.50:
	v_mul_lo_u32 v7, v31, s43
	v_dual_mov_b32 v8, 0 :: v_dual_lshlrev_b32 v13, 3, v31
	v_lshlrev_b32_e32 v12, 3, v32
	v_max_i32_e32 v11, v31, v32
	s_cmp_eq_u32 s40, 0
	s_cselect_b32 s0, -1, 0
	s_delay_alu instid0(VALU_DEP_4) | instskip(SKIP_1) | instid1(VALU_DEP_2)
	v_lshlrev_b64 v[9:10], 3, v[7:8]
	v_mul_lo_u32 v7, v32, s43
	v_add_co_u32 v9, vcc_lo, s6, v9
	s_delay_alu instid0(VALU_DEP_3) | instskip(NEXT) | instid1(VALU_DEP_3)
	v_add_co_ci_u32_e32 v10, vcc_lo, s7, v10, vcc_lo
	v_lshlrev_b64 v[7:8], 3, v[7:8]
	s_delay_alu instid0(VALU_DEP_1) | instskip(NEXT) | instid1(VALU_DEP_2)
	v_add_co_u32 v7, vcc_lo, s6, v7
	v_add_co_ci_u32_e32 v8, vcc_lo, s7, v8, vcc_lo
	v_add_co_u32 v9, vcc_lo, v9, v12
	v_add_co_ci_u32_e32 v10, vcc_lo, 0, v10, vcc_lo
	s_delay_alu instid0(VALU_DEP_4) | instskip(NEXT) | instid1(VALU_DEP_4)
	v_add_co_u32 v7, vcc_lo, v7, v13
	v_add_co_ci_u32_e32 v8, vcc_lo, 0, v8, vcc_lo
	v_and_b32_e32 v12, 15, v0
	v_cmp_gt_i32_e32 vcc_lo, s43, v11
	s_delay_alu instid0(VALU_DEP_4) | instskip(NEXT) | instid1(VALU_DEP_4)
	v_cndmask_b32_e64 v7, v9, v7, s0
	v_cndmask_b32_e64 v0, v10, v8, s0
	s_delay_alu instid0(VALU_DEP_4)
	v_lshlrev_b32_e32 v8, 3, v12
	s_branch .LBB215_52
.LBB215_51:                             ;   in Loop: Header=BB215_52 Depth=1
	s_or_b32 exec_lo, exec_lo, s6
	v_add_co_u32 v3, s0, v3, 4
	s_delay_alu instid0(VALU_DEP_1) | instskip(NEXT) | instid1(VALU_DEP_1)
	v_add_co_ci_u32_e64 v4, s0, 0, v4, s0
	v_cmp_ge_i64_e64 s0, v[3:4], v[1:2]
	s_delay_alu instid0(VALU_DEP_1) | instskip(NEXT) | instid1(SALU_CYCLE_1)
	s_or_b32 s13, s0, s13
	s_and_not1_b32 exec_lo, exec_lo, s13
	s_cbranch_execz .LBB215_65
.LBB215_52:                             ; =>This Loop Header: Depth=1
                                        ;     Child Loop BB215_55 Depth 2
	s_and_saveexec_b32 s6, vcc_lo
	s_cbranch_execz .LBB215_51
; %bb.53:                               ;   in Loop: Header=BB215_52 Depth=1
	v_mad_u64_u32 v[9:10], null, v3, s12, 0
	s_mov_b32 s7, 0
	s_delay_alu instid0(VALU_DEP_1) | instskip(NEXT) | instid1(VALU_DEP_1)
	v_mad_u64_u32 v[11:12], null, v4, s12, v[10:11]
	v_mov_b32_e32 v10, v11
	v_lshlrev_b64 v[11:12], 2, v[3:4]
	s_delay_alu instid0(VALU_DEP_2) | instskip(NEXT) | instid1(VALU_DEP_1)
	v_lshlrev_b64 v[9:10], 3, v[9:10]
	v_add_co_u32 v9, s0, v7, v9
	s_delay_alu instid0(VALU_DEP_1) | instskip(NEXT) | instid1(VALU_DEP_4)
	v_add_co_ci_u32_e64 v10, s0, v0, v10, s0
	v_add_co_u32 v11, s0, s4, v11
	s_delay_alu instid0(VALU_DEP_1)
	v_add_co_ci_u32_e64 v12, s0, s5, v12, s0
	global_load_b64 v[13:14], v[9:10], off
	global_load_b32 v11, v[11:12], off
	s_waitcnt vmcnt(1)
	v_mul_f32_e64 v9, v14, -s34
	v_mul_f32_e32 v10, s33, v14
	s_waitcnt vmcnt(0)
	v_subrev_nc_u32_e32 v11, s39, v11
	s_delay_alu instid0(VALU_DEP_3) | instskip(NEXT) | instid1(VALU_DEP_3)
	v_fmac_f32_e32 v9, s33, v13
	v_fmac_f32_e32 v10, s34, v13
	s_delay_alu instid0(VALU_DEP_3)
	v_and_b32_e32 v12, 7, v11
	s_branch .LBB215_55
.LBB215_54:                             ;   in Loop: Header=BB215_55 Depth=2
	s_or_b32 exec_lo, exec_lo, s0
	s_xor_b32 s0, s15, -1
	s_delay_alu instid0(SALU_CYCLE_1) | instskip(NEXT) | instid1(SALU_CYCLE_1)
	s_and_b32 s0, exec_lo, s0
	s_or_b32 s7, s0, s7
	s_delay_alu instid0(SALU_CYCLE_1)
	s_and_not1_b32 exec_lo, exec_lo, s7
	s_cbranch_execz .LBB215_51
.LBB215_55:                             ;   Parent Loop BB215_52 Depth=1
                                        ; =>  This Inner Loop Header: Depth=2
	s_delay_alu instid0(VALU_DEP_1)
	v_lshl_add_u32 v13, v12, 2, v27
	s_mov_b32 s14, exec_lo
                                        ; implicit-def: $sgpr15
	ds_load_b32 v14, v13
	s_waitcnt lgkmcnt(0)
	v_cmpx_ne_u32_e64 v14, v11
	s_xor_b32 s14, exec_lo, s14
	s_cbranch_execz .LBB215_63
; %bb.56:                               ;   in Loop: Header=BB215_55 Depth=2
	v_cmp_ne_u32_e64 s0, s42, v14
                                        ; implicit-def: $sgpr15
	s_delay_alu instid0(VALU_DEP_1) | instskip(NEXT) | instid1(SALU_CYCLE_1)
	s_and_saveexec_b32 s16, s0
	s_xor_b32 s0, exec_lo, s16
; %bb.57:                               ;   in Loop: Header=BB215_55 Depth=2
	v_add_nc_u32_e32 v12, 1, v12
	s_mov_b32 s15, -1
                                        ; implicit-def: $vgpr13
	s_delay_alu instid0(VALU_DEP_1)
	v_and_b32_e32 v12, 7, v12
; %bb.58:                               ;   in Loop: Header=BB215_55 Depth=2
	s_and_not1_saveexec_b32 s16, s0
	s_cbranch_execz .LBB215_62
; %bb.59:                               ;   in Loop: Header=BB215_55 Depth=2
	v_mov_b32_e32 v14, s42
	s_mov_b32 s18, -1
	s_mov_b32 s17, exec_lo
	ds_cmpstore_rtn_b32 v13, v13, v11, v14
	s_waitcnt lgkmcnt(0)
	v_cmpx_eq_u32_e64 s42, v13
	s_cbranch_execz .LBB215_61
; %bb.60:                               ;   in Loop: Header=BB215_55 Depth=2
	v_lshl_or_b32 v13, v12, 7, v8
	s_xor_b32 s18, exec_lo, -1
	s_delay_alu instid0(VALU_DEP_1)
	v_add_nc_u32_e32 v13, v29, v13
	ds_add_f32 v13, v9
	ds_add_f32 v13, v10 offset:4
.LBB215_61:                             ;   in Loop: Header=BB215_55 Depth=2
	s_or_b32 exec_lo, exec_lo, s17
	s_delay_alu instid0(SALU_CYCLE_1) | instskip(SKIP_1) | instid1(SALU_CYCLE_1)
	s_and_not1_b32 s0, s15, exec_lo
	s_and_b32 s15, s18, exec_lo
	s_or_b32 s15, s0, s15
.LBB215_62:                             ;   in Loop: Header=BB215_55 Depth=2
	s_or_b32 exec_lo, exec_lo, s16
	s_delay_alu instid0(SALU_CYCLE_1)
	s_and_b32 s15, s15, exec_lo
.LBB215_63:                             ;   in Loop: Header=BB215_55 Depth=2
	s_and_not1_saveexec_b32 s0, s14
	s_cbranch_execz .LBB215_54
; %bb.64:                               ;   in Loop: Header=BB215_55 Depth=2
	v_lshl_or_b32 v13, v12, 7, v8
	s_and_not1_b32 s15, s15, exec_lo
	s_delay_alu instid0(VALU_DEP_1)
	v_add_nc_u32_e32 v13, v29, v13
	ds_add_f32 v13, v9
	ds_add_f32 v13, v10 offset:4
	s_branch .LBB215_54
.LBB215_65:
	s_or_b32 exec_lo, exec_lo, s1
.LBB215_66:
	v_add_co_u32 v0, vcc_lo, s8, v5
	v_add_co_ci_u32_e32 v1, vcc_lo, s9, v6, vcc_lo
	s_waitcnt lgkmcnt(0)
	s_barrier
	buffer_gl0_inv
	global_load_b64 v[0:1], v[0:1], off
	s_cmp_eq_u32 s40, 0
	v_mul_lo_u32 v3, v32, s43
	s_cselect_b32 vcc_lo, -1, 0
	v_dual_mov_b32 v4, 0 :: v_dual_lshlrev_b32 v9, 5, v28
	v_dual_cndmask_b32 v5, v31, v32 :: v_dual_cndmask_b32 v6, v32, v31
	v_lshlrev_b32_e32 v8, 3, v31
	v_max_i32_e32 v7, v31, v32
	s_delay_alu instid0(VALU_DEP_4)
	v_lshlrev_b64 v[3:4], 3, v[3:4]
	v_lshlrev_b32_e32 v10, 2, v30
	v_lshlrev_b32_e32 v6, 3, v6
	v_or_b32_e32 v2, -4, v30
	v_cmp_gt_i32_e32 vcc_lo, s43, v7
	s_mov_b32 s1, 0
	v_add_co_u32 v3, s0, s2, v3
	v_lshl_or_b32 v6, v30, 7, v6
	v_add_co_ci_u32_e64 v4, s0, s3, v4, s0
	s_delay_alu instid0(VALU_DEP_3) | instskip(NEXT) | instid1(VALU_DEP_3)
	v_add_co_u32 v3, s0, v3, v8
	v_lshl_or_b32 v5, v5, 5, v6
	s_delay_alu instid0(VALU_DEP_3) | instskip(SKIP_1) | instid1(VALU_DEP_3)
	v_add_co_ci_u32_e64 v4, s0, 0, v4, s0
	v_or3_b32 v8, v9, v10, 0x1000
	v_add_nc_u32_e32 v5, v29, v5
	s_waitcnt vmcnt(0)
	v_sub_co_u32 v6, s0, v0, s38
	s_delay_alu instid0(VALU_DEP_1)
	v_subrev_co_ci_u32_e64 v7, s0, 0, v1, s0
	s_branch .LBB215_68
.LBB215_67:                             ;   in Loop: Header=BB215_68 Depth=1
	s_or_b32 exec_lo, exec_lo, s2
	v_add_co_u32 v2, s0, v2, 4
	s_delay_alu instid0(VALU_DEP_1) | instskip(SKIP_3) | instid1(SALU_CYCLE_1)
	s_xor_b32 s0, s0, -1
	v_add_nc_u32_e32 v5, 0x200, v5
	v_add_nc_u32_e32 v8, 16, v8
	s_and_b32 s0, exec_lo, s0
	s_or_b32 s1, s0, s1
	s_delay_alu instid0(SALU_CYCLE_1)
	s_and_not1_b32 exec_lo, exec_lo, s1
	s_cbranch_execz .LBB215_71
.LBB215_68:                             ; =>This Inner Loop Header: Depth=1
	ds_load_b32 v9, v8
	s_mov_b32 s2, exec_lo
	s_waitcnt lgkmcnt(0)
	v_cmpx_gt_i32_e64 s42, v9
	s_cbranch_execz .LBB215_67
; %bb.69:                               ;   in Loop: Header=BB215_68 Depth=1
	ds_load_b128 v[10:13], v27
	ds_load_b128 v[14:17], v27 offset:16
	s_waitcnt lgkmcnt(1)
	v_cmp_gt_i32_e64 s0, v9, v10
	s_delay_alu instid0(VALU_DEP_1) | instskip(SKIP_1) | instid1(VALU_DEP_1)
	v_cndmask_b32_e64 v0, 0, 1, s0
	v_cmp_gt_i32_e64 s0, v9, v11
	v_cndmask_b32_e64 v1, 0, 1, s0
	s_delay_alu instid0(VALU_DEP_3) | instskip(NEXT) | instid1(VALU_DEP_1)
	v_add_co_u32 v0, s0, v6, v0
	v_add_co_ci_u32_e64 v10, s0, 0, v7, s0
	v_cmp_gt_i32_e64 s0, v9, v12
	v_add_nc_u32_e32 v12, s38, v9
	s_delay_alu instid0(VALU_DEP_2) | instskip(SKIP_1) | instid1(VALU_DEP_1)
	v_cndmask_b32_e64 v11, 0, 1, s0
	v_add_co_u32 v0, s0, v0, v1
	v_add_co_ci_u32_e64 v1, s0, 0, v10, s0
	v_cmp_gt_i32_e64 s0, v9, v13
	s_delay_alu instid0(VALU_DEP_1) | instskip(NEXT) | instid1(VALU_DEP_4)
	v_cndmask_b32_e64 v10, 0, 1, s0
	v_add_co_u32 v0, s0, v0, v11
	s_delay_alu instid0(VALU_DEP_1) | instskip(SKIP_2) | instid1(VALU_DEP_1)
	v_add_co_ci_u32_e64 v1, s0, 0, v1, s0
	s_waitcnt lgkmcnt(0)
	v_cmp_gt_i32_e64 s0, v9, v14
	v_cndmask_b32_e64 v11, 0, 1, s0
	v_add_co_u32 v0, s0, v0, v10
	s_delay_alu instid0(VALU_DEP_1) | instskip(SKIP_1) | instid1(VALU_DEP_1)
	v_add_co_ci_u32_e64 v1, s0, 0, v1, s0
	v_cmp_gt_i32_e64 s0, v9, v15
	v_cndmask_b32_e64 v10, 0, 1, s0
	s_delay_alu instid0(VALU_DEP_4) | instskip(NEXT) | instid1(VALU_DEP_1)
	v_add_co_u32 v0, s0, v0, v11
	v_add_co_ci_u32_e64 v1, s0, 0, v1, s0
	v_cmp_gt_i32_e64 s0, v9, v16
	s_delay_alu instid0(VALU_DEP_1) | instskip(NEXT) | instid1(VALU_DEP_4)
	v_cndmask_b32_e64 v11, 0, 1, s0
	v_add_co_u32 v0, s0, v0, v10
	s_delay_alu instid0(VALU_DEP_1) | instskip(SKIP_1) | instid1(VALU_DEP_1)
	v_add_co_ci_u32_e64 v1, s0, 0, v1, s0
	v_cmp_gt_i32_e64 s0, v9, v17
	v_cndmask_b32_e64 v10, 0, 1, s0
	s_delay_alu instid0(VALU_DEP_4) | instskip(NEXT) | instid1(VALU_DEP_1)
	v_add_co_u32 v0, s0, v0, v11
	v_add_co_ci_u32_e64 v1, s0, 0, v1, s0
	s_delay_alu instid0(VALU_DEP_2) | instskip(NEXT) | instid1(VALU_DEP_1)
	v_add_co_u32 v0, s0, v0, v10
	v_add_co_ci_u32_e64 v1, s0, 0, v1, s0
	s_delay_alu instid0(VALU_DEP_1) | instskip(NEXT) | instid1(VALU_DEP_1)
	v_lshlrev_b64 v[10:11], 2, v[0:1]
	v_add_co_u32 v9, s0, s10, v10
	s_delay_alu instid0(VALU_DEP_1)
	v_add_co_ci_u32_e64 v10, s0, s11, v11, s0
	global_store_b32 v[9:10], v12, off
	s_and_b32 exec_lo, exec_lo, vcc_lo
	s_cbranch_execz .LBB215_67
; %bb.70:                               ;   in Loop: Header=BB215_68 Depth=1
	v_mad_u64_u32 v[9:10], null, v0, s12, 0
	s_delay_alu instid0(VALU_DEP_1) | instskip(NEXT) | instid1(VALU_DEP_1)
	v_mov_b32_e32 v0, v10
	v_mad_u64_u32 v[10:11], null, v1, s12, v[0:1]
	ds_load_b64 v[0:1], v5
	v_lshlrev_b64 v[9:10], 3, v[9:10]
	s_delay_alu instid0(VALU_DEP_1) | instskip(NEXT) | instid1(VALU_DEP_1)
	v_add_co_u32 v9, s0, v3, v9
	v_add_co_ci_u32_e64 v10, s0, v4, v10, s0
	s_waitcnt lgkmcnt(0)
	global_store_b64 v[9:10], v[0:1], off
	s_branch .LBB215_67
.LBB215_71:
	s_nop 0
	s_sendmsg sendmsg(MSG_DEALLOC_VGPRS)
	s_endpgm
	.section	.rodata,"a",@progbits
	.p2align	6, 0x0
	.amdhsa_kernel _ZN9rocsparseL23bsrgemm_fill_wf_per_rowILj256ELj64ELj8ELj137ELj4Eli21rocsparse_complex_numIfEEEv20rocsparse_direction_T5_S4_S4_PKS4_S6_NS_24const_host_device_scalarIT6_EEPKT4_S6_PKS8_SC_S6_SE_S9_SC_S6_SE_SC_PS4_PS8_21rocsparse_index_base_SH_SH_SH_bbb
		.amdhsa_group_segment_fixed_size 4224
		.amdhsa_private_segment_fixed_size 0
		.amdhsa_kernarg_size 164
		.amdhsa_user_sgpr_count 15
		.amdhsa_user_sgpr_dispatch_ptr 0
		.amdhsa_user_sgpr_queue_ptr 0
		.amdhsa_user_sgpr_kernarg_segment_ptr 1
		.amdhsa_user_sgpr_dispatch_id 0
		.amdhsa_user_sgpr_private_segment_size 0
		.amdhsa_wavefront_size32 1
		.amdhsa_uses_dynamic_stack 0
		.amdhsa_enable_private_segment 0
		.amdhsa_system_sgpr_workgroup_id_x 1
		.amdhsa_system_sgpr_workgroup_id_y 0
		.amdhsa_system_sgpr_workgroup_id_z 0
		.amdhsa_system_sgpr_workgroup_info 0
		.amdhsa_system_vgpr_workitem_id 0
		.amdhsa_next_free_vgpr 41
		.amdhsa_next_free_sgpr 53
		.amdhsa_reserve_vcc 1
		.amdhsa_float_round_mode_32 0
		.amdhsa_float_round_mode_16_64 0
		.amdhsa_float_denorm_mode_32 3
		.amdhsa_float_denorm_mode_16_64 3
		.amdhsa_dx10_clamp 1
		.amdhsa_ieee_mode 1
		.amdhsa_fp16_overflow 0
		.amdhsa_workgroup_processor_mode 1
		.amdhsa_memory_ordered 1
		.amdhsa_forward_progress 0
		.amdhsa_shared_vgpr_count 0
		.amdhsa_exception_fp_ieee_invalid_op 0
		.amdhsa_exception_fp_denorm_src 0
		.amdhsa_exception_fp_ieee_div_zero 0
		.amdhsa_exception_fp_ieee_overflow 0
		.amdhsa_exception_fp_ieee_underflow 0
		.amdhsa_exception_fp_ieee_inexact 0
		.amdhsa_exception_int_div_zero 0
	.end_amdhsa_kernel
	.section	.text._ZN9rocsparseL23bsrgemm_fill_wf_per_rowILj256ELj64ELj8ELj137ELj4Eli21rocsparse_complex_numIfEEEv20rocsparse_direction_T5_S4_S4_PKS4_S6_NS_24const_host_device_scalarIT6_EEPKT4_S6_PKS8_SC_S6_SE_S9_SC_S6_SE_SC_PS4_PS8_21rocsparse_index_base_SH_SH_SH_bbb,"axG",@progbits,_ZN9rocsparseL23bsrgemm_fill_wf_per_rowILj256ELj64ELj8ELj137ELj4Eli21rocsparse_complex_numIfEEEv20rocsparse_direction_T5_S4_S4_PKS4_S6_NS_24const_host_device_scalarIT6_EEPKT4_S6_PKS8_SC_S6_SE_S9_SC_S6_SE_SC_PS4_PS8_21rocsparse_index_base_SH_SH_SH_bbb,comdat
.Lfunc_end215:
	.size	_ZN9rocsparseL23bsrgemm_fill_wf_per_rowILj256ELj64ELj8ELj137ELj4Eli21rocsparse_complex_numIfEEEv20rocsparse_direction_T5_S4_S4_PKS4_S6_NS_24const_host_device_scalarIT6_EEPKT4_S6_PKS8_SC_S6_SE_S9_SC_S6_SE_SC_PS4_PS8_21rocsparse_index_base_SH_SH_SH_bbb, .Lfunc_end215-_ZN9rocsparseL23bsrgemm_fill_wf_per_rowILj256ELj64ELj8ELj137ELj4Eli21rocsparse_complex_numIfEEEv20rocsparse_direction_T5_S4_S4_PKS4_S6_NS_24const_host_device_scalarIT6_EEPKT4_S6_PKS8_SC_S6_SE_S9_SC_S6_SE_SC_PS4_PS8_21rocsparse_index_base_SH_SH_SH_bbb
                                        ; -- End function
	.section	.AMDGPU.csdata,"",@progbits
; Kernel info:
; codeLenInByte = 3460
; NumSgprs: 55
; NumVgprs: 41
; ScratchSize: 0
; MemoryBound: 0
; FloatMode: 240
; IeeeMode: 1
; LDSByteSize: 4224 bytes/workgroup (compile time only)
; SGPRBlocks: 6
; VGPRBlocks: 5
; NumSGPRsForWavesPerEU: 55
; NumVGPRsForWavesPerEU: 41
; Occupancy: 16
; WaveLimiterHint : 1
; COMPUTE_PGM_RSRC2:SCRATCH_EN: 0
; COMPUTE_PGM_RSRC2:USER_SGPR: 15
; COMPUTE_PGM_RSRC2:TRAP_HANDLER: 0
; COMPUTE_PGM_RSRC2:TGID_X_EN: 1
; COMPUTE_PGM_RSRC2:TGID_Y_EN: 0
; COMPUTE_PGM_RSRC2:TGID_Z_EN: 0
; COMPUTE_PGM_RSRC2:TIDIG_COMP_CNT: 0
	.section	.text._ZN9rocsparseL23bsrgemm_fill_wf_per_rowILj256ELj64ELj16ELj137ELj4Eli21rocsparse_complex_numIfEEEv20rocsparse_direction_T5_S4_S4_PKS4_S6_NS_24const_host_device_scalarIT6_EEPKT4_S6_PKS8_SC_S6_SE_S9_SC_S6_SE_SC_PS4_PS8_21rocsparse_index_base_SH_SH_SH_bbb,"axG",@progbits,_ZN9rocsparseL23bsrgemm_fill_wf_per_rowILj256ELj64ELj16ELj137ELj4Eli21rocsparse_complex_numIfEEEv20rocsparse_direction_T5_S4_S4_PKS4_S6_NS_24const_host_device_scalarIT6_EEPKT4_S6_PKS8_SC_S6_SE_S9_SC_S6_SE_SC_PS4_PS8_21rocsparse_index_base_SH_SH_SH_bbb,comdat
	.globl	_ZN9rocsparseL23bsrgemm_fill_wf_per_rowILj256ELj64ELj16ELj137ELj4Eli21rocsparse_complex_numIfEEEv20rocsparse_direction_T5_S4_S4_PKS4_S6_NS_24const_host_device_scalarIT6_EEPKT4_S6_PKS8_SC_S6_SE_S9_SC_S6_SE_SC_PS4_PS8_21rocsparse_index_base_SH_SH_SH_bbb ; -- Begin function _ZN9rocsparseL23bsrgemm_fill_wf_per_rowILj256ELj64ELj16ELj137ELj4Eli21rocsparse_complex_numIfEEEv20rocsparse_direction_T5_S4_S4_PKS4_S6_NS_24const_host_device_scalarIT6_EEPKT4_S6_PKS8_SC_S6_SE_S9_SC_S6_SE_SC_PS4_PS8_21rocsparse_index_base_SH_SH_SH_bbb
	.p2align	8
	.type	_ZN9rocsparseL23bsrgemm_fill_wf_per_rowILj256ELj64ELj16ELj137ELj4Eli21rocsparse_complex_numIfEEEv20rocsparse_direction_T5_S4_S4_PKS4_S6_NS_24const_host_device_scalarIT6_EEPKT4_S6_PKS8_SC_S6_SE_S9_SC_S6_SE_SC_PS4_PS8_21rocsparse_index_base_SH_SH_SH_bbb,@function
_ZN9rocsparseL23bsrgemm_fill_wf_per_rowILj256ELj64ELj16ELj137ELj4Eli21rocsparse_complex_numIfEEEv20rocsparse_direction_T5_S4_S4_PKS4_S6_NS_24const_host_device_scalarIT6_EEPKT4_S6_PKS8_SC_S6_SE_S9_SC_S6_SE_SC_PS4_PS8_21rocsparse_index_base_SH_SH_SH_bbb: ; @_ZN9rocsparseL23bsrgemm_fill_wf_per_rowILj256ELj64ELj16ELj137ELj4Eli21rocsparse_complex_numIfEEEv20rocsparse_direction_T5_S4_S4_PKS4_S6_NS_24const_host_device_scalarIT6_EEPKT4_S6_PKS8_SC_S6_SE_S9_SC_S6_SE_SC_PS4_PS8_21rocsparse_index_base_SH_SH_SH_bbb
; %bb.0:
	s_clause 0x6
	s_load_b32 s13, s[0:1], 0xa0
	s_load_b256 s[4:11], s[0:1], 0x68
	s_load_b256 s[16:23], s[0:1], 0x48
	s_load_b128 s[44:47], s[0:1], 0x10
	s_load_b256 s[24:31], s[0:1], 0x28
	s_load_b64 s[2:3], s[0:1], 0x88
	s_load_b128 s[36:39], s[0:1], 0x90
	s_mov_b32 s35, 0
	s_mov_b32 s48, 0
	s_waitcnt lgkmcnt(0)
	s_bitcmp1_b32 s13, 0
	s_cselect_b32 s12, -1, 0
	s_bitcmp1_b32 s13, 16
	s_cselect_b32 s14, -1, 0
	s_delay_alu instid0(SALU_CYCLE_1) | instskip(SKIP_2) | instid1(VALU_DEP_1)
	s_xor_b32 s14, s14, -1
	s_bitcmp0_b32 s13, 0
	v_cndmask_b32_e64 v1, 0, 1, s14
	v_cmp_ne_u32_e32 vcc_lo, 1, v1
	s_cbranch_scc1 .LBB216_5
; %bb.1:
	s_load_b64 s[34:35], s[0:1], 0x20
	s_and_b32 vcc_lo, exec_lo, vcc_lo
	s_waitcnt lgkmcnt(0)
	s_mov_b32 s48, s34
	s_cbranch_vccnz .LBB216_3
; %bb.2:
	s_load_b32 s48, s[34:35], 0x0
.LBB216_3:
	s_and_not1_b32 vcc_lo, exec_lo, s14
	s_cbranch_vccnz .LBB216_5
; %bb.4:
	s_load_b32 s35, s[34:35], 0x4
.LBB216_5:
	s_bitcmp1_b32 s13, 8
	s_mov_b32 s34, 0
	s_cselect_b32 s49, -1, 0
	s_bfe_u32 s13, s13, 0x10008
	s_mov_b32 s33, 0
	s_cmp_eq_u32 s13, 0
	s_cbranch_scc1 .LBB216_11
; %bb.6:
	v_cmp_ne_u32_e32 vcc_lo, 1, v1
	s_mov_b32 s33, s20
	s_cbranch_vccnz .LBB216_8
; %bb.7:
	s_load_b32 s33, s[20:21], 0x0
.LBB216_8:
	v_cmp_ne_u32_e32 vcc_lo, 1, v1
	s_cbranch_vccnz .LBB216_10
; %bb.9:
	s_load_b32 s21, s[20:21], 0x4
.LBB216_10:
	s_waitcnt lgkmcnt(0)
	s_mov_b32 s34, s21
.LBB216_11:
	s_load_b128 s[40:43], s[0:1], 0x0
	s_movk_i32 s0, 0xc0
	v_and_b32_e32 v3, 63, v0
	v_lshrrev_b32_e32 v28, 6, v0
	v_and_or_b32 v27, v0, s0, 0x2000
	s_mov_b32 s0, exec_lo
	s_delay_alu instid0(VALU_DEP_3)
	v_cmpx_gt_u32_e32 16, v3
	s_cbranch_execz .LBB216_13
; %bb.12:
	s_delay_alu instid0(VALU_DEP_2)
	v_lshl_add_u32 v1, v3, 2, v27
	s_waitcnt lgkmcnt(0)
	v_mov_b32_e32 v2, s42
	ds_store_b32 v1, v2
.LBB216_13:
	s_or_b32 exec_lo, exec_lo, s0
	v_mov_b32_e32 v1, 0
	v_lshlrev_b32_e32 v29, 11, v28
	v_or_b32_e32 v4, 0xffffffc0, v3
	s_mov_b32 s0, 0
	s_delay_alu instid0(VALU_DEP_3) | instskip(NEXT) | instid1(VALU_DEP_3)
	v_mov_b32_e32 v2, v1
	v_lshl_or_b32 v5, v3, 3, v29
.LBB216_14:                             ; =>This Inner Loop Header: Depth=1
	s_delay_alu instid0(VALU_DEP_3) | instskip(SKIP_4) | instid1(SALU_CYCLE_1)
	v_add_nc_u32_e32 v4, 64, v4
	ds_store_b64 v5, v[1:2]
	v_add_nc_u32_e32 v5, 0x200, v5
	v_cmp_lt_u32_e32 vcc_lo, 0xbf, v4
	s_or_b32 s0, vcc_lo, s0
	s_and_not1_b32 exec_lo, exec_lo, s0
	s_cbranch_execnz .LBB216_14
; %bb.15:
	s_or_b32 exec_lo, exec_lo, s0
	v_lshl_or_b32 v1, s15, 2, v28
	s_waitcnt lgkmcnt(0)
	s_barrier
	buffer_gl0_inv
	s_mov_b32 s0, exec_lo
	v_cmpx_gt_i32_e64 s41, v1
	s_cbranch_execz .LBB216_71
; %bb.16:
	s_cmp_eq_u64 s[46:47], 0
	s_cbranch_scc1 .LBB216_18
; %bb.17:
	s_load_b32 s0, s[44:45], 0x0
	s_waitcnt lgkmcnt(0)
	v_add_nc_u32_e32 v1, s0, v1
	s_delay_alu instid0(VALU_DEP_1) | instskip(NEXT) | instid1(VALU_DEP_1)
	v_ashrrev_i32_e32 v2, 31, v1
	v_lshlrev_b64 v[1:2], 2, v[1:2]
	s_delay_alu instid0(VALU_DEP_1) | instskip(NEXT) | instid1(VALU_DEP_2)
	v_add_co_u32 v1, vcc_lo, s46, v1
	v_add_co_ci_u32_e32 v2, vcc_lo, s47, v2, vcc_lo
	global_load_b32 v1, v[1:2], off
.LBB216_18:
	s_waitcnt vmcnt(0)
	v_ashrrev_i32_e32 v2, 31, v1
	v_lshrrev_b32_e32 v30, 4, v3
	v_and_b32_e32 v31, 3, v0
	v_bfe_u32 v32, v0, 2, 2
	s_and_not1_b32 vcc_lo, exec_lo, s12
	v_lshlrev_b64 v[5:6], 3, v[1:2]
	s_mul_i32 s12, s43, s43
	s_cbranch_vccnz .LBB216_48
; %bb.19:
	s_delay_alu instid0(VALU_DEP_1) | instskip(NEXT) | instid1(VALU_DEP_2)
	v_add_co_u32 v1, vcc_lo, s24, v5
	v_add_co_ci_u32_e32 v2, vcc_lo, s25, v6, vcc_lo
	v_sub_co_u32 v9, s0, v30, s36
	s_delay_alu instid0(VALU_DEP_1)
	v_sub_co_ci_u32_e64 v10, null, 0, 0, s0
	global_load_b128 v[1:4], v[1:2], off
	s_mov_b32 s13, 0
	s_mov_b32 s24, exec_lo
	s_waitcnt vmcnt(0)
	v_sub_co_u32 v7, vcc_lo, v3, s36
	v_subrev_co_ci_u32_e32 v8, vcc_lo, 0, v4, vcc_lo
	v_add_co_u32 v9, vcc_lo, v1, v9
	v_add_co_ci_u32_e32 v10, vcc_lo, v2, v10, vcc_lo
	s_delay_alu instid0(VALU_DEP_1)
	v_cmpx_lt_i64_e64 v[9:10], v[7:8]
	s_cbranch_execz .LBB216_47
; %bb.20:
	v_mad_u64_u32 v[1:2], null, v9, s12, 0
	v_mul_lo_u32 v11, v31, s43
	v_dual_mov_b32 v12, 0 :: v_dual_and_b32 v33, 15, v0
	v_mul_lo_u32 v13, v32, s43
	s_cmp_lg_u32 s40, 0
	s_mov_b32 s20, s43
	s_delay_alu instid0(VALU_DEP_4)
	v_mad_u64_u32 v[3:4], null, v10, s12, v[2:3]
	v_lshlrev_b32_e32 v15, 3, v32
	v_max_i32_e32 v4, v31, v32
	v_mov_b32_e32 v14, v12
	s_mov_b32 s21, s13
	s_cselect_b32 s41, -1, 0
	s_cmp_gt_i32 s43, 0
	s_delay_alu instid0(VALU_DEP_4)
	v_mov_b32_e32 v2, v3
	v_cmp_gt_i32_e64 s0, s43, v4
	v_lshlrev_b64 v[3:4], 3, v[11:12]
	s_mov_b32 s25, s37
	s_cselect_b32 s44, -1, 0
	v_lshlrev_b64 v[1:2], 3, v[1:2]
	s_lshl_b64 s[14:15], s[12:13], 5
	s_delay_alu instid0(VALU_DEP_1) | instskip(NEXT) | instid1(VALU_DEP_2)
	v_add_co_u32 v11, vcc_lo, v1, v15
	v_add_co_ci_u32_e32 v12, vcc_lo, 0, v2, vcc_lo
	v_lshlrev_b64 v[15:16], 3, v[13:14]
	s_delay_alu instid0(VALU_DEP_3) | instskip(NEXT) | instid1(VALU_DEP_3)
	v_add_co_u32 v11, vcc_lo, v11, s28
	v_add_co_ci_u32_e32 v12, vcc_lo, s29, v12, vcc_lo
	v_add_co_u32 v3, vcc_lo, v3, s18
	v_add_co_ci_u32_e32 v4, vcc_lo, s19, v4, vcc_lo
	s_delay_alu instid0(VALU_DEP_4) | instskip(NEXT) | instid1(VALU_DEP_4)
	v_add_co_u32 v11, vcc_lo, v11, 4
	v_add_co_ci_u32_e32 v12, vcc_lo, 0, v12, vcc_lo
	s_delay_alu instid0(VALU_DEP_4) | instskip(SKIP_4) | instid1(VALU_DEP_4)
	v_add_co_u32 v13, vcc_lo, v3, 4
	v_lshlrev_b32_e32 v3, 3, v31
	v_add_co_ci_u32_e32 v14, vcc_lo, 0, v4, vcc_lo
	v_add_co_u32 v1, vcc_lo, v1, v15
	v_add_co_ci_u32_e32 v2, vcc_lo, v2, v16, vcc_lo
	v_add_co_u32 v3, s1, v3, s18
	s_delay_alu instid0(VALU_DEP_3) | instskip(NEXT) | instid1(VALU_DEP_3)
	v_add_co_u32 v1, vcc_lo, v1, s28
	v_add_co_ci_u32_e32 v2, vcc_lo, s29, v2, vcc_lo
	v_add_co_ci_u32_e64 v4, null, 0, s19, s1
	s_delay_alu instid0(VALU_DEP_3) | instskip(NEXT) | instid1(VALU_DEP_3)
	v_add_co_u32 v15, vcc_lo, v1, 4
	v_add_co_ci_u32_e32 v16, vcc_lo, 0, v2, vcc_lo
	v_add_co_u32 v17, vcc_lo, v3, 4
	s_delay_alu instid0(VALU_DEP_4)
	v_add_co_ci_u32_e32 v18, vcc_lo, 0, v4, vcc_lo
	s_lshl_b64 s[18:19], s[20:21], 3
	s_lshl_b64 s[20:21], s[12:13], 3
	s_branch .LBB216_22
.LBB216_21:                             ;   in Loop: Header=BB216_22 Depth=1
	s_or_b32 exec_lo, exec_lo, s28
	v_add_co_u32 v9, vcc_lo, v9, 4
	v_add_co_ci_u32_e32 v10, vcc_lo, 0, v10, vcc_lo
	v_add_co_u32 v11, vcc_lo, v11, s14
	v_add_co_ci_u32_e32 v12, vcc_lo, s15, v12, vcc_lo
	s_delay_alu instid0(VALU_DEP_3) | instskip(SKIP_1) | instid1(VALU_DEP_1)
	v_cmp_ge_i64_e32 vcc_lo, v[9:10], v[7:8]
	v_add_co_u32 v15, s1, v15, s14
	v_add_co_ci_u32_e64 v16, s1, s15, v16, s1
	s_or_b32 s13, vcc_lo, s13
	s_delay_alu instid0(SALU_CYCLE_1)
	s_and_not1_b32 exec_lo, exec_lo, s13
	s_cbranch_execz .LBB216_47
.LBB216_22:                             ; =>This Loop Header: Depth=1
                                        ;     Child Loop BB216_25 Depth 2
                                        ;       Child Loop BB216_29 Depth 3
                                        ;       Child Loop BB216_34 Depth 3
	;; [unrolled: 1-line block ×3, first 2 shown]
	v_lshlrev_b64 v[1:2], 2, v[9:10]
	s_mov_b32 s28, exec_lo
	s_delay_alu instid0(VALU_DEP_1) | instskip(NEXT) | instid1(VALU_DEP_2)
	v_add_co_u32 v1, vcc_lo, s26, v1
	v_add_co_ci_u32_e32 v2, vcc_lo, s27, v2, vcc_lo
	global_load_b32 v1, v[1:2], off
	s_waitcnt vmcnt(0)
	v_subrev_nc_u32_e32 v1, s36, v1
	s_delay_alu instid0(VALU_DEP_1) | instskip(NEXT) | instid1(VALU_DEP_1)
	v_ashrrev_i32_e32 v2, 31, v1
	v_lshlrev_b64 v[1:2], 3, v[1:2]
	s_delay_alu instid0(VALU_DEP_1) | instskip(NEXT) | instid1(VALU_DEP_2)
	v_add_co_u32 v1, vcc_lo, s30, v1
	v_add_co_ci_u32_e32 v2, vcc_lo, s31, v2, vcc_lo
	global_load_b128 v[1:4], v[1:2], off
	s_waitcnt vmcnt(0)
	v_cmpx_lt_i64_e64 v[1:2], v[3:4]
	s_cbranch_execz .LBB216_21
; %bb.23:                               ;   in Loop: Header=BB216_22 Depth=1
	v_sub_co_u32 v1, vcc_lo, v1, s25
	v_subrev_co_ci_u32_e32 v2, vcc_lo, 0, v2, vcc_lo
	v_sub_co_u32 v3, vcc_lo, v3, s25
	s_delay_alu instid0(VALU_DEP_3) | instskip(NEXT) | instid1(VALU_DEP_3)
	v_mad_u64_u32 v[19:20], null, s20, v1, v[13:14]
	v_mul_lo_u32 v23, s20, v2
	v_mul_lo_u32 v24, s21, v1
	v_mad_u64_u32 v[21:22], null, s20, v1, v[17:18]
	v_subrev_co_ci_u32_e32 v4, vcc_lo, 0, v4, vcc_lo
	s_mov_b32 s29, 0
	s_delay_alu instid0(VALU_DEP_3) | instskip(NEXT) | instid1(VALU_DEP_3)
	v_add3_u32 v20, v24, v20, v23
	v_add3_u32 v22, v24, v22, v23
	s_branch .LBB216_25
.LBB216_24:                             ;   in Loop: Header=BB216_25 Depth=2
	s_or_b32 exec_lo, exec_lo, s45
	v_add_co_u32 v1, vcc_lo, v1, 1
	v_add_co_ci_u32_e32 v2, vcc_lo, 0, v2, vcc_lo
	v_add_co_u32 v19, vcc_lo, v19, s20
	v_add_co_ci_u32_e32 v20, vcc_lo, s21, v20, vcc_lo
	s_delay_alu instid0(VALU_DEP_3) | instskip(SKIP_1) | instid1(VALU_DEP_1)
	v_cmp_ge_i64_e32 vcc_lo, v[1:2], v[3:4]
	v_add_co_u32 v21, s1, v21, s20
	v_add_co_ci_u32_e64 v22, s1, s21, v22, s1
	s_or_b32 s29, vcc_lo, s29
	s_delay_alu instid0(SALU_CYCLE_1)
	s_and_not1_b32 exec_lo, exec_lo, s29
	s_cbranch_execz .LBB216_21
.LBB216_25:                             ;   Parent Loop BB216_22 Depth=1
                                        ; =>  This Loop Header: Depth=2
                                        ;       Child Loop BB216_29 Depth 3
                                        ;       Child Loop BB216_34 Depth 3
	;; [unrolled: 1-line block ×3, first 2 shown]
	s_and_saveexec_b32 s45, s0
	s_cbranch_execz .LBB216_24
; %bb.26:                               ;   in Loop: Header=BB216_25 Depth=2
	v_lshlrev_b64 v[23:24], 2, v[1:2]
	s_delay_alu instid0(VALU_DEP_1) | instskip(NEXT) | instid1(VALU_DEP_2)
	v_add_co_u32 v23, vcc_lo, s16, v23
	v_add_co_ci_u32_e32 v24, vcc_lo, s17, v24, vcc_lo
	s_and_not1_b32 vcc_lo, exec_lo, s41
	global_load_b32 v34, v[23:24], off
	v_cndmask_b32_e64 v23, 0, 1, s44
	s_delay_alu instid0(VALU_DEP_1)
	v_cmp_ne_u32_e64 s1, 1, v23
	s_cbranch_vccnz .LBB216_31
; %bb.27:                               ;   in Loop: Header=BB216_25 Depth=2
	v_dual_mov_b32 v35, 0 :: v_dual_mov_b32 v36, 0
	s_delay_alu instid0(VALU_DEP_2)
	s_and_b32 vcc_lo, exec_lo, s1
	s_mov_b32 s1, 0
	s_cbranch_vccnz .LBB216_30
; %bb.28:                               ;   in Loop: Header=BB216_25 Depth=2
	v_dual_mov_b32 v35, 0 :: v_dual_mov_b32 v24, v20
	v_dual_mov_b32 v23, v19 :: v_dual_mov_b32 v26, v12
	;; [unrolled: 1-line block ×3, first 2 shown]
	s_mov_b32 s46, s43
	.p2align	6
.LBB216_29:                             ;   Parent Loop BB216_22 Depth=1
                                        ;     Parent Loop BB216_25 Depth=2
                                        ; =>    This Inner Loop Header: Depth=3
	global_load_b64 v[37:38], v[25:26], off offset:-4
	global_load_b64 v[39:40], v[23:24], off offset:-4
	v_add_co_u32 v25, vcc_lo, v25, s18
	v_add_co_ci_u32_e32 v26, vcc_lo, s19, v26, vcc_lo
	v_add_co_u32 v23, vcc_lo, v23, 8
	v_add_co_ci_u32_e32 v24, vcc_lo, 0, v24, vcc_lo
	s_add_i32 s46, s46, -1
	s_delay_alu instid0(SALU_CYCLE_1) | instskip(SKIP_3) | instid1(VALU_DEP_2)
	s_cmp_lg_u32 s46, 0
	s_waitcnt vmcnt(0)
	v_fmac_f32_e32 v35, v37, v39
	v_fmac_f32_e32 v36, v38, v39
	v_fma_f32 v35, -v38, v40, v35
	s_delay_alu instid0(VALU_DEP_2)
	v_fmac_f32_e32 v36, v37, v40
	s_cbranch_scc1 .LBB216_29
.LBB216_30:                             ;   in Loop: Header=BB216_25 Depth=2
	s_and_not1_b32 vcc_lo, exec_lo, s1
	s_cbranch_vccz .LBB216_32
	s_branch .LBB216_35
.LBB216_31:                             ;   in Loop: Header=BB216_25 Depth=2
                                        ; implicit-def: $vgpr35
                                        ; implicit-def: $vgpr36
.LBB216_32:                             ;   in Loop: Header=BB216_25 Depth=2
	v_dual_mov_b32 v35, 0 :: v_dual_mov_b32 v36, 0
	s_and_not1_b32 vcc_lo, exec_lo, s44
	s_cbranch_vccnz .LBB216_35
; %bb.33:                               ;   in Loop: Header=BB216_25 Depth=2
	v_dual_mov_b32 v35, 0 :: v_dual_mov_b32 v24, v22
	v_dual_mov_b32 v23, v21 :: v_dual_mov_b32 v26, v16
	;; [unrolled: 1-line block ×3, first 2 shown]
	s_mov_b32 s1, s43
	.p2align	6
.LBB216_34:                             ;   Parent Loop BB216_22 Depth=1
                                        ;     Parent Loop BB216_25 Depth=2
                                        ; =>    This Inner Loop Header: Depth=3
	global_load_b64 v[37:38], v[25:26], off offset:-4
	global_load_b64 v[39:40], v[23:24], off offset:-4
	v_add_co_u32 v25, vcc_lo, v25, 8
	v_add_co_ci_u32_e32 v26, vcc_lo, 0, v26, vcc_lo
	v_add_co_u32 v23, vcc_lo, v23, s18
	v_add_co_ci_u32_e32 v24, vcc_lo, s19, v24, vcc_lo
	s_add_i32 s1, s1, -1
	s_delay_alu instid0(SALU_CYCLE_1) | instskip(SKIP_3) | instid1(VALU_DEP_2)
	s_cmp_eq_u32 s1, 0
	s_waitcnt vmcnt(0)
	v_fmac_f32_e32 v35, v37, v39
	v_fmac_f32_e32 v36, v38, v39
	v_fma_f32 v35, -v38, v40, v35
	s_delay_alu instid0(VALU_DEP_2)
	v_fmac_f32_e32 v36, v37, v40
	s_cbranch_scc0 .LBB216_34
.LBB216_35:                             ;   in Loop: Header=BB216_25 Depth=2
	s_waitcnt vmcnt(0)
	v_subrev_nc_u32_e32 v23, s37, v34
	s_delay_alu instid0(VALU_DEP_2) | instskip(SKIP_2) | instid1(VALU_DEP_3)
	v_mul_f32_e64 v24, v36, -s35
	v_mul_f32_e32 v25, s48, v36
	s_mov_b32 s1, 0
	v_lshl_add_u32 v26, v23, 3, v23
	s_delay_alu instid0(VALU_DEP_3) | instskip(NEXT) | instid1(VALU_DEP_2)
	v_fmac_f32_e32 v24, s48, v35
	v_dual_fmac_f32 v25, s35, v35 :: v_dual_and_b32 v26, 15, v26
	s_branch .LBB216_37
.LBB216_36:                             ;   in Loop: Header=BB216_37 Depth=3
	s_or_b32 exec_lo, exec_lo, s46
	s_xor_b32 s46, s47, -1
	s_delay_alu instid0(SALU_CYCLE_1) | instskip(NEXT) | instid1(SALU_CYCLE_1)
	s_and_b32 s46, exec_lo, s46
	s_or_b32 s1, s46, s1
	s_delay_alu instid0(SALU_CYCLE_1)
	s_and_not1_b32 exec_lo, exec_lo, s1
	s_cbranch_execz .LBB216_24
.LBB216_37:                             ;   Parent Loop BB216_22 Depth=1
                                        ;     Parent Loop BB216_25 Depth=2
                                        ; =>    This Inner Loop Header: Depth=3
	s_delay_alu instid0(VALU_DEP_1)
	v_lshl_add_u32 v34, v26, 2, v27
	s_mov_b32 s46, exec_lo
                                        ; implicit-def: $sgpr47
	ds_load_b32 v35, v34
	s_waitcnt lgkmcnt(0)
	v_cmpx_ne_u32_e64 v35, v23
	s_xor_b32 s46, exec_lo, s46
	s_cbranch_execz .LBB216_45
; %bb.38:                               ;   in Loop: Header=BB216_37 Depth=3
	s_mov_b32 s50, exec_lo
                                        ; implicit-def: $sgpr47
	v_cmpx_ne_u32_e64 s42, v35
	s_xor_b32 s50, exec_lo, s50
; %bb.39:                               ;   in Loop: Header=BB216_37 Depth=3
	v_add_nc_u32_e32 v26, 1, v26
	s_mov_b32 s47, -1
                                        ; implicit-def: $vgpr34
	s_delay_alu instid0(VALU_DEP_1)
	v_and_b32_e32 v26, 15, v26
; %bb.40:                               ;   in Loop: Header=BB216_37 Depth=3
	s_and_not1_saveexec_b32 s50, s50
	s_cbranch_execz .LBB216_44
; %bb.41:                               ;   in Loop: Header=BB216_37 Depth=3
	v_mov_b32_e32 v35, s42
	s_mov_b32 s52, -1
	s_mov_b32 s51, exec_lo
	ds_cmpstore_rtn_b32 v34, v34, v23, v35
	s_waitcnt lgkmcnt(0)
	v_cmpx_eq_u32_e64 s42, v34
	s_cbranch_execz .LBB216_43
; %bb.42:                               ;   in Loop: Header=BB216_37 Depth=3
	v_lshlrev_b32_e32 v34, 3, v33
	s_xor_b32 s52, exec_lo, -1
	s_delay_alu instid0(VALU_DEP_1) | instskip(NEXT) | instid1(VALU_DEP_1)
	v_lshl_or_b32 v34, v26, 7, v34
	v_add_nc_u32_e32 v34, v29, v34
	ds_add_f32 v34, v24
	ds_add_f32 v34, v25 offset:4
.LBB216_43:                             ;   in Loop: Header=BB216_37 Depth=3
	s_or_b32 exec_lo, exec_lo, s51
	s_delay_alu instid0(SALU_CYCLE_1) | instskip(SKIP_1) | instid1(SALU_CYCLE_1)
	s_and_not1_b32 s47, s47, exec_lo
	s_and_b32 s51, s52, exec_lo
	s_or_b32 s47, s47, s51
.LBB216_44:                             ;   in Loop: Header=BB216_37 Depth=3
	s_or_b32 exec_lo, exec_lo, s50
	s_delay_alu instid0(SALU_CYCLE_1)
	s_and_b32 s47, s47, exec_lo
.LBB216_45:                             ;   in Loop: Header=BB216_37 Depth=3
	s_and_not1_saveexec_b32 s46, s46
	s_cbranch_execz .LBB216_36
; %bb.46:                               ;   in Loop: Header=BB216_37 Depth=3
	v_lshlrev_b32_e32 v34, 3, v33
	s_and_not1_b32 s47, s47, exec_lo
	s_delay_alu instid0(VALU_DEP_1) | instskip(NEXT) | instid1(VALU_DEP_1)
	v_lshl_or_b32 v34, v26, 7, v34
	v_add_nc_u32_e32 v34, v29, v34
	ds_add_f32 v34, v24
	ds_add_f32 v34, v25 offset:4
	s_branch .LBB216_36
.LBB216_47:
	s_or_b32 exec_lo, exec_lo, s24
.LBB216_48:
	s_delay_alu instid0(SALU_CYCLE_1)
	s_and_not1_b32 vcc_lo, exec_lo, s49
	s_waitcnt lgkmcnt(0)
	s_barrier
	buffer_gl0_inv
	s_cbranch_vccnz .LBB216_66
; %bb.49:
	v_add_co_u32 v1, vcc_lo, s22, v5
	v_add_co_ci_u32_e32 v2, vcc_lo, s23, v6, vcc_lo
	v_sub_co_u32 v3, s0, v30, s39
	s_delay_alu instid0(VALU_DEP_1)
	v_sub_co_ci_u32_e64 v4, null, 0, 0, s0
	global_load_b128 v[7:10], v[1:2], off
	s_mov_b32 s13, 0
	s_mov_b32 s1, exec_lo
	s_waitcnt vmcnt(0)
	v_sub_co_u32 v1, vcc_lo, v9, s39
	v_subrev_co_ci_u32_e32 v2, vcc_lo, 0, v10, vcc_lo
	v_add_co_u32 v3, vcc_lo, v7, v3
	v_add_co_ci_u32_e32 v4, vcc_lo, v8, v4, vcc_lo
	s_delay_alu instid0(VALU_DEP_1)
	v_cmpx_lt_i64_e64 v[3:4], v[1:2]
	s_cbranch_execz .LBB216_65
; %bb.50:
	v_mul_lo_u32 v7, v31, s43
	v_dual_mov_b32 v8, 0 :: v_dual_lshlrev_b32 v13, 3, v31
	v_lshlrev_b32_e32 v12, 3, v32
	v_max_i32_e32 v11, v31, v32
	s_cmp_eq_u32 s40, 0
	s_cselect_b32 s0, -1, 0
	s_delay_alu instid0(VALU_DEP_4) | instskip(SKIP_1) | instid1(VALU_DEP_2)
	v_lshlrev_b64 v[9:10], 3, v[7:8]
	v_mul_lo_u32 v7, v32, s43
	v_add_co_u32 v9, vcc_lo, s6, v9
	s_delay_alu instid0(VALU_DEP_3) | instskip(NEXT) | instid1(VALU_DEP_3)
	v_add_co_ci_u32_e32 v10, vcc_lo, s7, v10, vcc_lo
	v_lshlrev_b64 v[7:8], 3, v[7:8]
	s_delay_alu instid0(VALU_DEP_1) | instskip(NEXT) | instid1(VALU_DEP_2)
	v_add_co_u32 v7, vcc_lo, s6, v7
	v_add_co_ci_u32_e32 v8, vcc_lo, s7, v8, vcc_lo
	v_add_co_u32 v9, vcc_lo, v9, v12
	v_add_co_ci_u32_e32 v10, vcc_lo, 0, v10, vcc_lo
	s_delay_alu instid0(VALU_DEP_4) | instskip(NEXT) | instid1(VALU_DEP_4)
	v_add_co_u32 v7, vcc_lo, v7, v13
	v_add_co_ci_u32_e32 v8, vcc_lo, 0, v8, vcc_lo
	v_and_b32_e32 v12, 15, v0
	v_cmp_gt_i32_e32 vcc_lo, s43, v11
	s_delay_alu instid0(VALU_DEP_4) | instskip(NEXT) | instid1(VALU_DEP_4)
	v_cndmask_b32_e64 v7, v9, v7, s0
	v_cndmask_b32_e64 v0, v10, v8, s0
	s_delay_alu instid0(VALU_DEP_4)
	v_lshlrev_b32_e32 v8, 3, v12
	s_branch .LBB216_52
.LBB216_51:                             ;   in Loop: Header=BB216_52 Depth=1
	s_or_b32 exec_lo, exec_lo, s6
	v_add_co_u32 v3, s0, v3, 4
	s_delay_alu instid0(VALU_DEP_1) | instskip(NEXT) | instid1(VALU_DEP_1)
	v_add_co_ci_u32_e64 v4, s0, 0, v4, s0
	v_cmp_ge_i64_e64 s0, v[3:4], v[1:2]
	s_delay_alu instid0(VALU_DEP_1) | instskip(NEXT) | instid1(SALU_CYCLE_1)
	s_or_b32 s13, s0, s13
	s_and_not1_b32 exec_lo, exec_lo, s13
	s_cbranch_execz .LBB216_65
.LBB216_52:                             ; =>This Loop Header: Depth=1
                                        ;     Child Loop BB216_55 Depth 2
	s_and_saveexec_b32 s6, vcc_lo
	s_cbranch_execz .LBB216_51
; %bb.53:                               ;   in Loop: Header=BB216_52 Depth=1
	v_mad_u64_u32 v[9:10], null, v3, s12, 0
	s_mov_b32 s7, 0
	s_delay_alu instid0(VALU_DEP_1) | instskip(NEXT) | instid1(VALU_DEP_1)
	v_mad_u64_u32 v[11:12], null, v4, s12, v[10:11]
	v_mov_b32_e32 v10, v11
	v_lshlrev_b64 v[11:12], 2, v[3:4]
	s_delay_alu instid0(VALU_DEP_2) | instskip(NEXT) | instid1(VALU_DEP_2)
	v_lshlrev_b64 v[9:10], 3, v[9:10]
	v_add_co_u32 v11, s0, s4, v11
	s_delay_alu instid0(VALU_DEP_1) | instskip(NEXT) | instid1(VALU_DEP_3)
	v_add_co_ci_u32_e64 v12, s0, s5, v12, s0
	v_add_co_u32 v9, s0, v7, v9
	s_delay_alu instid0(VALU_DEP_1)
	v_add_co_ci_u32_e64 v10, s0, v0, v10, s0
	global_load_b32 v11, v[11:12], off
	global_load_b64 v[12:13], v[9:10], off
	s_waitcnt vmcnt(1)
	v_subrev_nc_u32_e32 v9, s39, v11
	s_waitcnt vmcnt(0)
	v_mul_f32_e32 v11, s33, v13
	v_mul_f32_e64 v10, v13, -s34
	s_delay_alu instid0(VALU_DEP_3) | instskip(NEXT) | instid1(VALU_DEP_3)
	v_lshl_add_u32 v13, v9, 3, v9
	v_fmac_f32_e32 v11, s34, v12
	s_delay_alu instid0(VALU_DEP_3) | instskip(NEXT) | instid1(VALU_DEP_3)
	v_fmac_f32_e32 v10, s33, v12
	v_and_b32_e32 v12, 15, v13
	s_branch .LBB216_55
.LBB216_54:                             ;   in Loop: Header=BB216_55 Depth=2
	s_or_b32 exec_lo, exec_lo, s0
	s_xor_b32 s0, s15, -1
	s_delay_alu instid0(SALU_CYCLE_1) | instskip(NEXT) | instid1(SALU_CYCLE_1)
	s_and_b32 s0, exec_lo, s0
	s_or_b32 s7, s0, s7
	s_delay_alu instid0(SALU_CYCLE_1)
	s_and_not1_b32 exec_lo, exec_lo, s7
	s_cbranch_execz .LBB216_51
.LBB216_55:                             ;   Parent Loop BB216_52 Depth=1
                                        ; =>  This Inner Loop Header: Depth=2
	s_delay_alu instid0(VALU_DEP_1)
	v_lshl_add_u32 v13, v12, 2, v27
	s_mov_b32 s14, exec_lo
                                        ; implicit-def: $sgpr15
	ds_load_b32 v14, v13
	s_waitcnt lgkmcnt(0)
	v_cmpx_ne_u32_e64 v14, v9
	s_xor_b32 s14, exec_lo, s14
	s_cbranch_execz .LBB216_63
; %bb.56:                               ;   in Loop: Header=BB216_55 Depth=2
	v_cmp_ne_u32_e64 s0, s42, v14
                                        ; implicit-def: $sgpr15
	s_delay_alu instid0(VALU_DEP_1) | instskip(NEXT) | instid1(SALU_CYCLE_1)
	s_and_saveexec_b32 s16, s0
	s_xor_b32 s0, exec_lo, s16
; %bb.57:                               ;   in Loop: Header=BB216_55 Depth=2
	v_add_nc_u32_e32 v12, 1, v12
	s_mov_b32 s15, -1
                                        ; implicit-def: $vgpr13
	s_delay_alu instid0(VALU_DEP_1)
	v_and_b32_e32 v12, 15, v12
; %bb.58:                               ;   in Loop: Header=BB216_55 Depth=2
	s_and_not1_saveexec_b32 s16, s0
	s_cbranch_execz .LBB216_62
; %bb.59:                               ;   in Loop: Header=BB216_55 Depth=2
	v_mov_b32_e32 v14, s42
	s_mov_b32 s18, -1
	s_mov_b32 s17, exec_lo
	ds_cmpstore_rtn_b32 v13, v13, v9, v14
	s_waitcnt lgkmcnt(0)
	v_cmpx_eq_u32_e64 s42, v13
	s_cbranch_execz .LBB216_61
; %bb.60:                               ;   in Loop: Header=BB216_55 Depth=2
	v_lshl_or_b32 v13, v12, 7, v8
	s_xor_b32 s18, exec_lo, -1
	s_delay_alu instid0(VALU_DEP_1)
	v_add_nc_u32_e32 v13, v29, v13
	ds_add_f32 v13, v10
	ds_add_f32 v13, v11 offset:4
.LBB216_61:                             ;   in Loop: Header=BB216_55 Depth=2
	s_or_b32 exec_lo, exec_lo, s17
	s_delay_alu instid0(SALU_CYCLE_1) | instskip(SKIP_1) | instid1(SALU_CYCLE_1)
	s_and_not1_b32 s0, s15, exec_lo
	s_and_b32 s15, s18, exec_lo
	s_or_b32 s15, s0, s15
.LBB216_62:                             ;   in Loop: Header=BB216_55 Depth=2
	s_or_b32 exec_lo, exec_lo, s16
	s_delay_alu instid0(SALU_CYCLE_1)
	s_and_b32 s15, s15, exec_lo
.LBB216_63:                             ;   in Loop: Header=BB216_55 Depth=2
	s_and_not1_saveexec_b32 s0, s14
	s_cbranch_execz .LBB216_54
; %bb.64:                               ;   in Loop: Header=BB216_55 Depth=2
	v_lshl_or_b32 v13, v12, 7, v8
	s_and_not1_b32 s15, s15, exec_lo
	s_delay_alu instid0(VALU_DEP_1)
	v_add_nc_u32_e32 v13, v29, v13
	ds_add_f32 v13, v10
	ds_add_f32 v13, v11 offset:4
	s_branch .LBB216_54
.LBB216_65:
	s_or_b32 exec_lo, exec_lo, s1
.LBB216_66:
	v_add_co_u32 v0, vcc_lo, s8, v5
	v_add_co_ci_u32_e32 v1, vcc_lo, s9, v6, vcc_lo
	s_waitcnt lgkmcnt(0)
	s_barrier
	buffer_gl0_inv
	global_load_b64 v[0:1], v[0:1], off
	s_cmp_eq_u32 s40, 0
	v_mul_lo_u32 v3, v32, s43
	s_cselect_b32 vcc_lo, -1, 0
	v_dual_mov_b32 v4, 0 :: v_dual_lshlrev_b32 v9, 6, v28
	v_dual_cndmask_b32 v5, v31, v32 :: v_dual_cndmask_b32 v6, v32, v31
	v_lshlrev_b32_e32 v8, 3, v31
	v_max_i32_e32 v7, v31, v32
	s_delay_alu instid0(VALU_DEP_4)
	v_lshlrev_b64 v[3:4], 3, v[3:4]
	v_lshlrev_b32_e32 v10, 2, v30
	v_lshlrev_b32_e32 v6, 3, v6
	v_or_b32_e32 v2, -4, v30
	v_cmp_gt_i32_e32 vcc_lo, s43, v7
	s_mov_b32 s1, 0
	v_add_co_u32 v3, s0, s2, v3
	v_lshl_or_b32 v6, v30, 7, v6
	v_add_co_ci_u32_e64 v4, s0, s3, v4, s0
	s_delay_alu instid0(VALU_DEP_3) | instskip(NEXT) | instid1(VALU_DEP_3)
	v_add_co_u32 v3, s0, v3, v8
	v_lshl_or_b32 v5, v5, 5, v6
	s_delay_alu instid0(VALU_DEP_3) | instskip(SKIP_1) | instid1(VALU_DEP_3)
	v_add_co_ci_u32_e64 v4, s0, 0, v4, s0
	v_or3_b32 v8, v9, v10, 0x2000
	v_add_nc_u32_e32 v5, v29, v5
	s_waitcnt vmcnt(0)
	v_sub_co_u32 v6, s0, v0, s38
	s_delay_alu instid0(VALU_DEP_1)
	v_subrev_co_ci_u32_e64 v7, s0, 0, v1, s0
	s_branch .LBB216_68
.LBB216_67:                             ;   in Loop: Header=BB216_68 Depth=1
	s_or_b32 exec_lo, exec_lo, s2
	v_add_nc_u32_e32 v2, 4, v2
	v_add_nc_u32_e32 v5, 0x200, v5
	;; [unrolled: 1-line block ×3, first 2 shown]
	s_delay_alu instid0(VALU_DEP_3) | instskip(NEXT) | instid1(VALU_DEP_1)
	v_cmp_lt_u32_e64 s0, 11, v2
	s_or_b32 s1, s0, s1
	s_delay_alu instid0(SALU_CYCLE_1)
	s_and_not1_b32 exec_lo, exec_lo, s1
	s_cbranch_execz .LBB216_71
.LBB216_68:                             ; =>This Inner Loop Header: Depth=1
	ds_load_b32 v9, v8
	s_mov_b32 s2, exec_lo
	s_waitcnt lgkmcnt(0)
	v_cmpx_gt_i32_e64 s42, v9
	s_cbranch_execz .LBB216_67
; %bb.69:                               ;   in Loop: Header=BB216_68 Depth=1
	ds_load_b128 v[10:13], v27
	ds_load_b128 v[14:17], v27 offset:16
	ds_load_b128 v[18:21], v27 offset:32
	;; [unrolled: 1-line block ×3, first 2 shown]
	s_waitcnt lgkmcnt(3)
	v_cmp_gt_i32_e64 s0, v9, v10
	s_delay_alu instid0(VALU_DEP_1) | instskip(SKIP_1) | instid1(VALU_DEP_1)
	v_cndmask_b32_e64 v0, 0, 1, s0
	v_cmp_gt_i32_e64 s0, v9, v11
	v_cndmask_b32_e64 v1, 0, 1, s0
	s_delay_alu instid0(VALU_DEP_3) | instskip(NEXT) | instid1(VALU_DEP_1)
	v_add_co_u32 v0, s0, v6, v0
	v_add_co_ci_u32_e64 v10, s0, 0, v7, s0
	v_cmp_gt_i32_e64 s0, v9, v12
	v_add_nc_u32_e32 v12, s38, v9
	s_delay_alu instid0(VALU_DEP_2) | instskip(SKIP_1) | instid1(VALU_DEP_1)
	v_cndmask_b32_e64 v11, 0, 1, s0
	v_add_co_u32 v0, s0, v0, v1
	v_add_co_ci_u32_e64 v1, s0, 0, v10, s0
	v_cmp_gt_i32_e64 s0, v9, v13
	s_delay_alu instid0(VALU_DEP_1) | instskip(NEXT) | instid1(VALU_DEP_4)
	v_cndmask_b32_e64 v10, 0, 1, s0
	v_add_co_u32 v0, s0, v0, v11
	s_delay_alu instid0(VALU_DEP_1) | instskip(SKIP_2) | instid1(VALU_DEP_1)
	v_add_co_ci_u32_e64 v1, s0, 0, v1, s0
	s_waitcnt lgkmcnt(2)
	v_cmp_gt_i32_e64 s0, v9, v14
	v_cndmask_b32_e64 v11, 0, 1, s0
	v_add_co_u32 v0, s0, v0, v10
	s_delay_alu instid0(VALU_DEP_1) | instskip(SKIP_1) | instid1(VALU_DEP_1)
	v_add_co_ci_u32_e64 v1, s0, 0, v1, s0
	v_cmp_gt_i32_e64 s0, v9, v15
	v_cndmask_b32_e64 v10, 0, 1, s0
	s_delay_alu instid0(VALU_DEP_4) | instskip(NEXT) | instid1(VALU_DEP_1)
	v_add_co_u32 v0, s0, v0, v11
	v_add_co_ci_u32_e64 v1, s0, 0, v1, s0
	v_cmp_gt_i32_e64 s0, v9, v16
	s_delay_alu instid0(VALU_DEP_1) | instskip(NEXT) | instid1(VALU_DEP_4)
	v_cndmask_b32_e64 v11, 0, 1, s0
	v_add_co_u32 v0, s0, v0, v10
	s_delay_alu instid0(VALU_DEP_1) | instskip(SKIP_1) | instid1(VALU_DEP_1)
	v_add_co_ci_u32_e64 v1, s0, 0, v1, s0
	v_cmp_gt_i32_e64 s0, v9, v17
	v_cndmask_b32_e64 v10, 0, 1, s0
	s_delay_alu instid0(VALU_DEP_4) | instskip(NEXT) | instid1(VALU_DEP_1)
	v_add_co_u32 v0, s0, v0, v11
	v_add_co_ci_u32_e64 v1, s0, 0, v1, s0
	s_waitcnt lgkmcnt(1)
	v_cmp_gt_i32_e64 s0, v9, v18
	s_delay_alu instid0(VALU_DEP_1) | instskip(SKIP_1) | instid1(VALU_DEP_1)
	v_cndmask_b32_e64 v11, 0, 1, s0
	v_add_co_u32 v0, s0, v0, v10
	v_add_co_ci_u32_e64 v1, s0, 0, v1, s0
	v_cmp_gt_i32_e64 s0, v9, v19
	s_delay_alu instid0(VALU_DEP_1) | instskip(NEXT) | instid1(VALU_DEP_4)
	v_cndmask_b32_e64 v10, 0, 1, s0
	v_add_co_u32 v0, s0, v0, v11
	s_delay_alu instid0(VALU_DEP_1) | instskip(SKIP_1) | instid1(VALU_DEP_1)
	v_add_co_ci_u32_e64 v1, s0, 0, v1, s0
	v_cmp_gt_i32_e64 s0, v9, v20
	v_cndmask_b32_e64 v11, 0, 1, s0
	s_delay_alu instid0(VALU_DEP_4) | instskip(NEXT) | instid1(VALU_DEP_1)
	v_add_co_u32 v0, s0, v0, v10
	v_add_co_ci_u32_e64 v1, s0, 0, v1, s0
	v_cmp_gt_i32_e64 s0, v9, v21
	s_delay_alu instid0(VALU_DEP_1) | instskip(NEXT) | instid1(VALU_DEP_4)
	v_cndmask_b32_e64 v10, 0, 1, s0
	v_add_co_u32 v0, s0, v0, v11
	s_delay_alu instid0(VALU_DEP_1) | instskip(SKIP_2) | instid1(VALU_DEP_1)
	v_add_co_ci_u32_e64 v1, s0, 0, v1, s0
	s_waitcnt lgkmcnt(0)
	v_cmp_gt_i32_e64 s0, v9, v22
	v_cndmask_b32_e64 v11, 0, 1, s0
	v_add_co_u32 v0, s0, v0, v10
	s_delay_alu instid0(VALU_DEP_1) | instskip(SKIP_1) | instid1(VALU_DEP_1)
	v_add_co_ci_u32_e64 v1, s0, 0, v1, s0
	v_cmp_gt_i32_e64 s0, v9, v23
	v_cndmask_b32_e64 v10, 0, 1, s0
	s_delay_alu instid0(VALU_DEP_4) | instskip(NEXT) | instid1(VALU_DEP_1)
	v_add_co_u32 v0, s0, v0, v11
	v_add_co_ci_u32_e64 v1, s0, 0, v1, s0
	v_cmp_gt_i32_e64 s0, v9, v24
	s_delay_alu instid0(VALU_DEP_1) | instskip(NEXT) | instid1(VALU_DEP_4)
	v_cndmask_b32_e64 v11, 0, 1, s0
	v_add_co_u32 v0, s0, v0, v10
	s_delay_alu instid0(VALU_DEP_1) | instskip(SKIP_1) | instid1(VALU_DEP_1)
	v_add_co_ci_u32_e64 v1, s0, 0, v1, s0
	v_cmp_gt_i32_e64 s0, v9, v25
	v_cndmask_b32_e64 v10, 0, 1, s0
	s_delay_alu instid0(VALU_DEP_4) | instskip(NEXT) | instid1(VALU_DEP_1)
	v_add_co_u32 v0, s0, v0, v11
	v_add_co_ci_u32_e64 v1, s0, 0, v1, s0
	s_delay_alu instid0(VALU_DEP_2) | instskip(NEXT) | instid1(VALU_DEP_1)
	v_add_co_u32 v0, s0, v0, v10
	v_add_co_ci_u32_e64 v1, s0, 0, v1, s0
	s_delay_alu instid0(VALU_DEP_1) | instskip(NEXT) | instid1(VALU_DEP_1)
	v_lshlrev_b64 v[10:11], 2, v[0:1]
	v_add_co_u32 v9, s0, s10, v10
	s_delay_alu instid0(VALU_DEP_1)
	v_add_co_ci_u32_e64 v10, s0, s11, v11, s0
	global_store_b32 v[9:10], v12, off
	s_and_b32 exec_lo, exec_lo, vcc_lo
	s_cbranch_execz .LBB216_67
; %bb.70:                               ;   in Loop: Header=BB216_68 Depth=1
	v_mad_u64_u32 v[9:10], null, v0, s12, 0
	s_delay_alu instid0(VALU_DEP_1) | instskip(NEXT) | instid1(VALU_DEP_1)
	v_mov_b32_e32 v0, v10
	v_mad_u64_u32 v[10:11], null, v1, s12, v[0:1]
	ds_load_b64 v[0:1], v5
	v_lshlrev_b64 v[9:10], 3, v[9:10]
	s_delay_alu instid0(VALU_DEP_1) | instskip(NEXT) | instid1(VALU_DEP_1)
	v_add_co_u32 v9, s0, v3, v9
	v_add_co_ci_u32_e64 v10, s0, v4, v10, s0
	s_waitcnt lgkmcnt(0)
	global_store_b64 v[9:10], v[0:1], off
	s_branch .LBB216_67
.LBB216_71:
	s_nop 0
	s_sendmsg sendmsg(MSG_DEALLOC_VGPRS)
	s_endpgm
	.section	.rodata,"a",@progbits
	.p2align	6, 0x0
	.amdhsa_kernel _ZN9rocsparseL23bsrgemm_fill_wf_per_rowILj256ELj64ELj16ELj137ELj4Eli21rocsparse_complex_numIfEEEv20rocsparse_direction_T5_S4_S4_PKS4_S6_NS_24const_host_device_scalarIT6_EEPKT4_S6_PKS8_SC_S6_SE_S9_SC_S6_SE_SC_PS4_PS8_21rocsparse_index_base_SH_SH_SH_bbb
		.amdhsa_group_segment_fixed_size 8448
		.amdhsa_private_segment_fixed_size 0
		.amdhsa_kernarg_size 164
		.amdhsa_user_sgpr_count 15
		.amdhsa_user_sgpr_dispatch_ptr 0
		.amdhsa_user_sgpr_queue_ptr 0
		.amdhsa_user_sgpr_kernarg_segment_ptr 1
		.amdhsa_user_sgpr_dispatch_id 0
		.amdhsa_user_sgpr_private_segment_size 0
		.amdhsa_wavefront_size32 1
		.amdhsa_uses_dynamic_stack 0
		.amdhsa_enable_private_segment 0
		.amdhsa_system_sgpr_workgroup_id_x 1
		.amdhsa_system_sgpr_workgroup_id_y 0
		.amdhsa_system_sgpr_workgroup_id_z 0
		.amdhsa_system_sgpr_workgroup_info 0
		.amdhsa_system_vgpr_workitem_id 0
		.amdhsa_next_free_vgpr 41
		.amdhsa_next_free_sgpr 53
		.amdhsa_reserve_vcc 1
		.amdhsa_float_round_mode_32 0
		.amdhsa_float_round_mode_16_64 0
		.amdhsa_float_denorm_mode_32 3
		.amdhsa_float_denorm_mode_16_64 3
		.amdhsa_dx10_clamp 1
		.amdhsa_ieee_mode 1
		.amdhsa_fp16_overflow 0
		.amdhsa_workgroup_processor_mode 1
		.amdhsa_memory_ordered 1
		.amdhsa_forward_progress 0
		.amdhsa_shared_vgpr_count 0
		.amdhsa_exception_fp_ieee_invalid_op 0
		.amdhsa_exception_fp_denorm_src 0
		.amdhsa_exception_fp_ieee_div_zero 0
		.amdhsa_exception_fp_ieee_overflow 0
		.amdhsa_exception_fp_ieee_underflow 0
		.amdhsa_exception_fp_ieee_inexact 0
		.amdhsa_exception_int_div_zero 0
	.end_amdhsa_kernel
	.section	.text._ZN9rocsparseL23bsrgemm_fill_wf_per_rowILj256ELj64ELj16ELj137ELj4Eli21rocsparse_complex_numIfEEEv20rocsparse_direction_T5_S4_S4_PKS4_S6_NS_24const_host_device_scalarIT6_EEPKT4_S6_PKS8_SC_S6_SE_S9_SC_S6_SE_SC_PS4_PS8_21rocsparse_index_base_SH_SH_SH_bbb,"axG",@progbits,_ZN9rocsparseL23bsrgemm_fill_wf_per_rowILj256ELj64ELj16ELj137ELj4Eli21rocsparse_complex_numIfEEEv20rocsparse_direction_T5_S4_S4_PKS4_S6_NS_24const_host_device_scalarIT6_EEPKT4_S6_PKS8_SC_S6_SE_S9_SC_S6_SE_SC_PS4_PS8_21rocsparse_index_base_SH_SH_SH_bbb,comdat
.Lfunc_end216:
	.size	_ZN9rocsparseL23bsrgemm_fill_wf_per_rowILj256ELj64ELj16ELj137ELj4Eli21rocsparse_complex_numIfEEEv20rocsparse_direction_T5_S4_S4_PKS4_S6_NS_24const_host_device_scalarIT6_EEPKT4_S6_PKS8_SC_S6_SE_S9_SC_S6_SE_SC_PS4_PS8_21rocsparse_index_base_SH_SH_SH_bbb, .Lfunc_end216-_ZN9rocsparseL23bsrgemm_fill_wf_per_rowILj256ELj64ELj16ELj137ELj4Eli21rocsparse_complex_numIfEEEv20rocsparse_direction_T5_S4_S4_PKS4_S6_NS_24const_host_device_scalarIT6_EEPKT4_S6_PKS8_SC_S6_SE_S9_SC_S6_SE_SC_PS4_PS8_21rocsparse_index_base_SH_SH_SH_bbb
                                        ; -- End function
	.section	.AMDGPU.csdata,"",@progbits
; Kernel info:
; codeLenInByte = 3792
; NumSgprs: 55
; NumVgprs: 41
; ScratchSize: 0
; MemoryBound: 0
; FloatMode: 240
; IeeeMode: 1
; LDSByteSize: 8448 bytes/workgroup (compile time only)
; SGPRBlocks: 6
; VGPRBlocks: 5
; NumSGPRsForWavesPerEU: 55
; NumVGPRsForWavesPerEU: 41
; Occupancy: 16
; WaveLimiterHint : 1
; COMPUTE_PGM_RSRC2:SCRATCH_EN: 0
; COMPUTE_PGM_RSRC2:USER_SGPR: 15
; COMPUTE_PGM_RSRC2:TRAP_HANDLER: 0
; COMPUTE_PGM_RSRC2:TGID_X_EN: 1
; COMPUTE_PGM_RSRC2:TGID_Y_EN: 0
; COMPUTE_PGM_RSRC2:TGID_Z_EN: 0
; COMPUTE_PGM_RSRC2:TIDIG_COMP_CNT: 0
	.section	.text._ZN9rocsparseL38bsrgemm_block_per_row_atomic_multipassILj256ELj32ELj4Eli21rocsparse_complex_numIfEEEv20rocsparse_direction_T3_S4_PKS4_S6_NS_24const_host_device_scalarIT4_EEPKT2_S6_PKS8_SC_S6_SE_S9_SC_S6_SE_SC_PS4_PS8_PSA_21rocsparse_index_base_SI_SI_SI_bbb,"axG",@progbits,_ZN9rocsparseL38bsrgemm_block_per_row_atomic_multipassILj256ELj32ELj4Eli21rocsparse_complex_numIfEEEv20rocsparse_direction_T3_S4_PKS4_S6_NS_24const_host_device_scalarIT4_EEPKT2_S6_PKS8_SC_S6_SE_S9_SC_S6_SE_SC_PS4_PS8_PSA_21rocsparse_index_base_SI_SI_SI_bbb,comdat
	.globl	_ZN9rocsparseL38bsrgemm_block_per_row_atomic_multipassILj256ELj32ELj4Eli21rocsparse_complex_numIfEEEv20rocsparse_direction_T3_S4_PKS4_S6_NS_24const_host_device_scalarIT4_EEPKT2_S6_PKS8_SC_S6_SE_S9_SC_S6_SE_SC_PS4_PS8_PSA_21rocsparse_index_base_SI_SI_SI_bbb ; -- Begin function _ZN9rocsparseL38bsrgemm_block_per_row_atomic_multipassILj256ELj32ELj4Eli21rocsparse_complex_numIfEEEv20rocsparse_direction_T3_S4_PKS4_S6_NS_24const_host_device_scalarIT4_EEPKT2_S6_PKS8_SC_S6_SE_S9_SC_S6_SE_SC_PS4_PS8_PSA_21rocsparse_index_base_SI_SI_SI_bbb
	.p2align	8
	.type	_ZN9rocsparseL38bsrgemm_block_per_row_atomic_multipassILj256ELj32ELj4Eli21rocsparse_complex_numIfEEEv20rocsparse_direction_T3_S4_PKS4_S6_NS_24const_host_device_scalarIT4_EEPKT2_S6_PKS8_SC_S6_SE_S9_SC_S6_SE_SC_PS4_PS8_PSA_21rocsparse_index_base_SI_SI_SI_bbb,@function
_ZN9rocsparseL38bsrgemm_block_per_row_atomic_multipassILj256ELj32ELj4Eli21rocsparse_complex_numIfEEEv20rocsparse_direction_T3_S4_PKS4_S6_NS_24const_host_device_scalarIT4_EEPKT2_S6_PKS8_SC_S6_SE_S9_SC_S6_SE_SC_PS4_PS8_PSA_21rocsparse_index_base_SI_SI_SI_bbb: ; @_ZN9rocsparseL38bsrgemm_block_per_row_atomic_multipassILj256ELj32ELj4Eli21rocsparse_complex_numIfEEEv20rocsparse_direction_T3_S4_PKS4_S6_NS_24const_host_device_scalarIT4_EEPKT2_S6_PKS8_SC_S6_SE_S9_SC_S6_SE_SC_PS4_PS8_PSA_21rocsparse_index_base_SI_SI_SI_bbb
; %bb.0:
	s_mov_b32 s2, s15
	s_clause 0x5
	s_load_b32 s3, s[0:1], 0xa8
	s_load_b256 s[12:19], s[0:1], 0x88
	s_load_b256 s[20:27], s[0:1], 0x68
	;; [unrolled: 1-line block ×3, first 2 shown]
	s_load_b128 s[4:7], s[0:1], 0x10
	s_load_b256 s[44:51], s[0:1], 0x28
	s_mov_b32 s35, 0
	s_mov_b32 s33, 0
	s_waitcnt lgkmcnt(0)
	s_bitcmp1_b32 s3, 0
	s_cselect_b32 s8, -1, 0
	s_bitcmp1_b32 s3, 16
	s_cselect_b32 s9, -1, 0
	s_delay_alu instid0(SALU_CYCLE_1) | instskip(SKIP_2) | instid1(VALU_DEP_1)
	s_xor_b32 s9, s9, -1
	s_bitcmp0_b32 s3, 0
	v_cndmask_b32_e64 v1, 0, 1, s9
	v_cmp_ne_u32_e32 vcc_lo, 1, v1
	s_cbranch_scc1 .LBB217_5
; %bb.1:
	s_load_b64 s[34:35], s[0:1], 0x20
	s_and_b32 vcc_lo, exec_lo, vcc_lo
	s_waitcnt lgkmcnt(0)
	s_mov_b32 s33, s34
	s_cbranch_vccnz .LBB217_3
; %bb.2:
	s_load_b32 s33, s[34:35], 0x0
.LBB217_3:
	s_and_not1_b32 vcc_lo, exec_lo, s9
	s_cbranch_vccnz .LBB217_5
; %bb.4:
	s_load_b32 s35, s[34:35], 0x4
.LBB217_5:
	s_bitcmp1_b32 s3, 8
	s_mov_b32 s55, 0
	s_cselect_b32 s34, -1, 0
	s_bfe_u32 s3, s3, 0x10008
	s_mov_b32 s54, 0
	s_cmp_eq_u32 s3, 0
	s_cbranch_scc1 .LBB217_11
; %bb.6:
	v_cmp_ne_u32_e32 vcc_lo, 1, v1
	s_mov_b32 s54, s40
	s_cbranch_vccnz .LBB217_8
; %bb.7:
	s_load_b32 s54, s[40:41], 0x0
.LBB217_8:
	v_cmp_ne_u32_e32 vcc_lo, 1, v1
	s_cbranch_vccnz .LBB217_10
; %bb.9:
	s_load_b32 s41, s[40:41], 0x4
.LBB217_10:
	s_waitcnt lgkmcnt(0)
	s_mov_b32 s55, s41
.LBB217_11:
	s_cmp_eq_u64 s[6:7], 0
	s_mov_b64 s[40:41], 0
	s_cbranch_scc1 .LBB217_13
; %bb.12:
	s_load_b32 s3, s[4:5], 0x0
	s_waitcnt lgkmcnt(0)
	s_add_i32 s2, s3, s2
	s_mov_b32 s3, 0
	s_delay_alu instid0(SALU_CYCLE_1) | instskip(NEXT) | instid1(SALU_CYCLE_1)
	s_lshl_b64 s[2:3], s[2:3], 2
	s_add_u32 s2, s6, s2
	s_addc_u32 s3, s7, s3
	s_load_b32 s2, s[2:3], 0x0
.LBB217_13:
	s_and_not1_b32 vcc_lo, exec_lo, s8
	s_cbranch_vccz .LBB217_16
; %bb.14:
	s_and_not1_b32 vcc_lo, exec_lo, s8
	s_mov_b64 s[52:53], 0
	s_cbranch_vccz .LBB217_17
.LBB217_15:
	s_load_b128 s[28:31], s[0:1], 0x0
	s_waitcnt lgkmcnt(0)
	s_cmp_lt_i32 s29, 1
	s_cbranch_scc0 .LBB217_18
	s_branch .LBB217_101
.LBB217_16:
	s_waitcnt lgkmcnt(0)
	s_ashr_i32 s3, s2, 31
	s_delay_alu instid0(SALU_CYCLE_1) | instskip(NEXT) | instid1(SALU_CYCLE_1)
	s_lshl_b64 s[4:5], s[2:3], 3
	s_add_u32 s4, s44, s4
	s_addc_u32 s5, s45, s5
	s_load_b64 s[4:5], s[4:5], 0x0
	s_waitcnt lgkmcnt(0)
	s_sub_u32 s40, s4, s16
	s_subb_u32 s41, s5, 0
	s_and_not1_b32 vcc_lo, exec_lo, s8
	s_mov_b64 s[52:53], 0
	s_cbranch_vccnz .LBB217_15
.LBB217_17:
	s_waitcnt lgkmcnt(0)
	s_ashr_i32 s3, s2, 31
	s_delay_alu instid0(SALU_CYCLE_1) | instskip(NEXT) | instid1(SALU_CYCLE_1)
	s_lshl_b64 s[4:5], s[2:3], 3
	s_add_u32 s4, s44, s4
	s_addc_u32 s5, s45, s5
	s_load_b64 s[4:5], s[4:5], 0x8
	s_waitcnt lgkmcnt(0)
	s_sub_u32 s52, s4, s16
	s_subb_u32 s53, s5, 0
	s_load_b128 s[28:31], s[0:1], 0x0
	s_waitcnt lgkmcnt(0)
	s_cmp_lt_i32 s29, 1
	s_cbranch_scc1 .LBB217_101
.LBB217_18:
	v_bfe_u32 v7, v0, 2, 2
	s_ashr_i32 s3, s2, 31
	v_dual_mov_b32 v1, 0 :: v_dual_and_b32 v6, 15, v0
	v_and_b32_e32 v26, 3, v0
	s_lshl_b64 s[6:7], s[2:3], 3
	v_mul_lo_u32 v2, v7, s30
	s_add_u32 s0, s24, s6
	v_mov_b32_e32 v3, v1
	s_addc_u32 s1, s25, s7
	v_mul_lo_u32 v4, v26, s30
	s_load_b64 s[10:11], s[0:1], 0x0
	v_dual_mov_b32 v5, v1 :: v_dual_lshlrev_b32 v10, 3, v26
	s_delay_alu instid0(VALU_DEP_4)
	v_lshlrev_b64 v[2:3], 3, v[2:3]
	v_max_i32_e32 v8, v26, v7
	v_lshlrev_b32_e32 v7, 3, v7
	v_lshrrev_b32_e32 v25, 4, v0
	v_lshlrev_b64 v[4:5], 3, v[4:5]
	v_cmp_lt_i64_e64 s9, s[40:41], s[52:53]
	v_cmp_gt_i32_e64 s3, s30, v8
	v_cmp_le_i32_e64 s4, s30, v8
	v_add_co_u32 v8, vcc_lo, s48, v2
	v_add_co_ci_u32_e32 v9, vcc_lo, s49, v3, vcc_lo
	v_add_co_u32 v11, vcc_lo, s22, v4
	v_add_co_ci_u32_e32 v12, vcc_lo, s23, v5, vcc_lo
	;; [unrolled: 2-line block ×3, first 2 shown]
	s_delay_alu instid0(VALU_DEP_4)
	v_add_co_u32 v11, vcc_lo, v11, v7
	s_waitcnt lgkmcnt(0)
	s_sub_u32 s24, s10, s18
	v_add_co_ci_u32_e32 v12, vcc_lo, 0, v12, vcc_lo
	s_subb_u32 s25, s11, 0
	v_add_co_u32 v13, vcc_lo, v13, v10
	s_cmp_eq_u32 s28, 0
	v_add_co_ci_u32_e32 v14, vcc_lo, 0, v14, vcc_lo
	s_cselect_b32 vcc_lo, -1, 0
	v_add_co_u32 v29, s5, v8, v10
	v_and_b32_e32 v8, 31, v0
	v_add_co_ci_u32_e64 v30, s5, 0, v9, s5
	s_cmp_lg_u32 s28, 0
	v_sub_co_u32 v32, s5, v25, s19
	s_delay_alu instid0(VALU_DEP_3) | instskip(SKIP_3) | instid1(VALU_DEP_2)
	v_lshlrev_b32_e32 v9, 2, v8
	s_cselect_b32 s28, -1, 0
	s_cmp_gt_i32 s30, 0
	v_sub_co_ci_u32_e64 v33, null, 0, 0, s5
	v_or_b32_e32 v34, 0x1800, v9
	v_dual_mov_b32 v48, 1 :: v_dual_add_nc_u32 v37, 0x17f8, v9
	v_add_nc_u32_e32 v38, 0x17f0, v9
	v_add_nc_u32_e32 v39, 0x17e0, v9
	v_add_nc_u32_e32 v40, 0x17c0, v9
	v_cndmask_b32_e32 v9, v11, v13, vcc_lo
	v_add_co_u32 v15, s59, v8, -1
	s_cselect_b32 s57, -1, 0
	s_add_u32 s22, s42, s6
	v_cmp_eq_u32_e64 s5, 15, v6
	v_add_co_u32 v6, s6, s12, v4
	v_lshl_add_u32 v35, v15, 2, 0x1800
	v_add_co_ci_u32_e64 v15, s6, s13, v5, s6
	v_add_co_u32 v2, s6, s12, v2
	s_delay_alu instid0(VALU_DEP_1) | instskip(SKIP_1) | instid1(VALU_DEP_1)
	v_add_co_ci_u32_e64 v3, s6, s13, v3, s6
	v_add_co_u32 v6, s6, v6, v7
	v_add_co_ci_u32_e64 v15, s6, 0, v15, s6
	s_delay_alu instid0(VALU_DEP_4) | instskip(NEXT) | instid1(VALU_DEP_1)
	v_add_co_u32 v2, s6, v2, v10
	v_add_co_ci_u32_e64 v3, s6, 0, v3, s6
	s_delay_alu instid0(VALU_DEP_2)
	v_dual_cndmask_b32 v42, v6, v2 :: v_dual_lshlrev_b32 v27, 3, v0
	v_dual_mov_b32 v49, 0 :: v_dual_lshlrev_b32 v2, 7, v25
	s_addc_u32 s23, s43, s7
	s_and_b32 s60, s8, s9
	v_cmp_ne_u32_e64 s6, 0, v8
	v_cmp_lt_u32_e64 s7, 1, v8
	v_cmp_lt_u32_e64 s8, 3, v8
	;; [unrolled: 1-line block ×4, first 2 shown]
	v_dual_cndmask_b32 v8, v12, v14 :: v_dual_cndmask_b32 v41, v15, v3
	v_or3_b32 v43, v2, v7, 0x1000
	v_add_co_u32 v2, vcc_lo, v4, s38
	v_add_co_ci_u32_e32 v4, vcc_lo, s39, v5, vcc_lo
	v_add_co_u32 v5, s11, v10, s38
	s_delay_alu instid0(VALU_DEP_1) | instskip(NEXT) | instid1(VALU_DEP_4)
	v_add_co_ci_u32_e64 v6, null, 0, s39, s11
	v_add_co_u32 v3, vcc_lo, v2, 4
	s_delay_alu instid0(VALU_DEP_4) | instskip(NEXT) | instid1(VALU_DEP_4)
	v_add_co_ci_u32_e32 v4, vcc_lo, 0, v4, vcc_lo
	v_add_co_u32 v5, vcc_lo, v5, 4
	s_delay_alu instid0(VALU_DEP_4)
	v_add_co_ci_u32_e32 v6, vcc_lo, 0, v6, vcc_lo
	v_add_co_u32 v7, vcc_lo, v9, 4
	v_add_co_ci_u32_e32 v8, vcc_lo, 0, v8, vcc_lo
	s_movk_i32 s11, 0x7e0
	v_add_co_u32 v45, vcc_lo, v32, 16
	s_mov_b32 s45, 0
	v_mov_b32_e32 v9, s24
	v_cmp_gt_u32_e64 s0, 32, v0
	v_cmp_gt_u32_e64 s1, 0x200, v0
	v_cmp_eq_u32_e64 s2, 0, v0
	v_or_b32_e32 v28, 0x1000, v27
	v_dual_mov_b32 v50, 32 :: v_dual_and_b32 v31, 12, v0
	v_lshl_or_b32 v36, v0, 2, 0x1800
	s_add_u32 s61, s50, 8
	v_or_b32_e32 v0, 0xffffff00, v0
	v_and_or_b32 v44, v27, s11, 0x1000
	v_add_co_ci_u32_e32 v46, vcc_lo, 0, v33, vcc_lo
	v_lshl_or_b32 v47, v25, 2, 0x1800
	v_mov_b32_e32 v10, s25
	s_mul_i32 s44, s30, s30
	s_addc_u32 s62, s51, 0
	s_mov_b32 s31, s45
	s_add_u32 s63, s26, -4
	s_mov_b32 s56, s17
	s_mov_b32 s58, s19
	s_addc_u32 s64, s27, -1
	s_lshl_b64 s[38:39], s[44:45], 3
	s_lshl_b64 s[42:43], s[30:31], 3
	s_lshl_b64 s[48:49], s[44:45], 7
	s_branch .LBB217_20
.LBB217_19:                             ;   in Loop: Header=BB217_20 Depth=1
	s_set_inst_prefetch_distance 0x2
	s_or_b32 exec_lo, exec_lo, s11
	s_waitcnt_vscnt null, 0x0
	s_barrier
	buffer_gl0_inv
	ds_load_b32 v49, v1 offset:6272
	v_ashrrev_i32_e32 v11, 31, v2
	v_add_co_u32 v9, s11, v9, v2
	s_waitcnt lgkmcnt(0)
	s_barrier
	s_delay_alu instid0(VALU_DEP_2)
	v_add_co_ci_u32_e64 v10, s11, v10, v11, s11
	buffer_gl0_inv
	v_cmp_le_i32_e32 vcc_lo, s29, v49
	v_add_nc_u32_e32 v50, 32, v49
	s_cbranch_vccnz .LBB217_101
.LBB217_20:                             ; =>This Loop Header: Depth=1
                                        ;     Child Loop BB217_24 Depth 2
                                        ;     Child Loop BB217_30 Depth 2
                                        ;       Child Loop BB217_44 Depth 3
                                        ;         Child Loop BB217_53 Depth 4
                                        ;         Child Loop BB217_58 Depth 4
                                        ;     Child Loop BB217_69 Depth 2
                                        ;     Child Loop BB217_78 Depth 2
	;; [unrolled: 1-line block ×3, first 2 shown]
	s_and_saveexec_b32 s11, s0
	s_cbranch_execz .LBB217_22
; %bb.21:                               ;   in Loop: Header=BB217_20 Depth=1
	ds_store_b32 v36, v1
.LBB217_22:                             ;   in Loop: Header=BB217_20 Depth=1
	s_or_b32 exec_lo, exec_lo, s11
	s_and_saveexec_b32 s11, s1
	s_cbranch_execz .LBB217_25
; %bb.23:                               ;   in Loop: Header=BB217_20 Depth=1
	v_dual_mov_b32 v11, v27 :: v_dual_mov_b32 v12, v0
	s_mov_b32 s12, 0
.LBB217_24:                             ;   Parent Loop BB217_20 Depth=1
                                        ; =>  This Inner Loop Header: Depth=2
	v_mov_b32_e32 v2, v1
	s_delay_alu instid0(VALU_DEP_2) | instskip(NEXT) | instid1(VALU_DEP_1)
	v_add_co_u32 v12, s13, 0x100, v12
	s_xor_b32 s13, s13, -1
	s_delay_alu instid0(SALU_CYCLE_1) | instskip(SKIP_3) | instid1(SALU_CYCLE_1)
	s_and_b32 s13, exec_lo, s13
	ds_store_b64 v11, v[1:2]
	v_add_nc_u32_e32 v11, 0x800, v11
	s_or_b32 s12, s13, s12
	s_and_not1_b32 exec_lo, exec_lo, s12
	s_cbranch_execnz .LBB217_24
.LBB217_25:                             ;   in Loop: Header=BB217_20 Depth=1
	s_or_b32 exec_lo, exec_lo, s11
	s_and_saveexec_b32 s11, s2
	s_cbranch_execz .LBB217_27
; %bb.26:                               ;   in Loop: Header=BB217_20 Depth=1
	v_mov_b32_e32 v2, s29
	ds_store_b32 v1, v2 offset:6272
.LBB217_27:                             ;   in Loop: Header=BB217_20 Depth=1
	s_or_b32 exec_lo, exec_lo, s11
	v_mov_b32_e32 v51, s29
	s_and_not1_b32 vcc_lo, exec_lo, s60
	s_waitcnt lgkmcnt(0)
	s_barrier
	buffer_gl0_inv
	s_cbranch_vccnz .LBB217_64
; %bb.28:                               ;   in Loop: Header=BB217_20 Depth=1
	v_cmp_ne_u32_e64 s11, 0, v49
	v_mov_b32_e32 v51, s29
	s_mov_b64 s[24:25], s[40:41]
	s_branch .LBB217_30
.LBB217_29:                             ;   in Loop: Header=BB217_30 Depth=2
	s_or_b32 exec_lo, exec_lo, s13
	s_add_u32 s24, s24, 16
	s_addc_u32 s25, s25, 0
	s_delay_alu instid0(SALU_CYCLE_1) | instskip(NEXT) | instid1(VALU_DEP_1)
	v_cmp_lt_i64_e64 s12, s[24:25], s[52:53]
	s_and_b32 vcc_lo, exec_lo, s12
	s_cbranch_vccz .LBB217_64
.LBB217_30:                             ;   Parent Loop BB217_20 Depth=1
                                        ; =>  This Loop Header: Depth=2
                                        ;       Child Loop BB217_44 Depth 3
                                        ;         Child Loop BB217_53 Depth 4
                                        ;         Child Loop BB217_58 Depth 4
	v_add_co_u32 v11, s12, s24, v25
	s_delay_alu instid0(VALU_DEP_1) | instskip(NEXT) | instid1(VALU_DEP_1)
	v_add_co_ci_u32_e64 v12, null, s25, 0, s12
	s_waitcnt_vscnt null, 0x0
	s_barrier
	buffer_gl0_inv
	v_cmp_gt_i64_e64 s12, s[52:53], v[11:12]
	s_delay_alu instid0(VALU_DEP_1)
	s_and_saveexec_b32 s13, s12
	s_cbranch_execz .LBB217_35
; %bb.31:                               ;   in Loop: Header=BB217_30 Depth=2
	s_and_saveexec_b32 s26, s4
	s_delay_alu instid0(SALU_CYCLE_1)
	s_xor_b32 s26, exec_lo, s26
	s_cbranch_execz .LBB217_33
; %bb.32:                               ;   in Loop: Header=BB217_30 Depth=2
	v_mov_b32_e32 v2, v1
	ds_store_b64 v28, v[1:2]
.LBB217_33:                             ;   in Loop: Header=BB217_30 Depth=2
	s_and_not1_saveexec_b32 s26, s26
	s_cbranch_execz .LBB217_35
; %bb.34:                               ;   in Loop: Header=BB217_30 Depth=2
	v_mad_u64_u32 v[13:14], null, v11, s44, 0
	s_delay_alu instid0(VALU_DEP_1) | instskip(NEXT) | instid1(VALU_DEP_1)
	v_mov_b32_e32 v2, v14
	v_mad_u64_u32 v[14:15], null, v12, s44, v[2:3]
	s_delay_alu instid0(VALU_DEP_1) | instskip(NEXT) | instid1(VALU_DEP_1)
	v_lshlrev_b64 v[13:14], 3, v[13:14]
	v_add_co_u32 v13, vcc_lo, v29, v13
	s_delay_alu instid0(VALU_DEP_2)
	v_add_co_ci_u32_e32 v14, vcc_lo, v30, v14, vcc_lo
	global_load_b64 v[13:14], v[13:14], off
	s_waitcnt vmcnt(0)
	ds_store_b64 v28, v[13:14]
.LBB217_35:                             ;   in Loop: Header=BB217_30 Depth=2
	s_or_b32 exec_lo, exec_lo, s13
	v_mov_b32_e32 v13, 0
	v_mov_b32_e32 v14, 0
	s_waitcnt lgkmcnt(0)
	s_barrier
	buffer_gl0_inv
	s_and_saveexec_b32 s26, s12
	s_cbranch_execz .LBB217_61
; %bb.36:                               ;   in Loop: Header=BB217_30 Depth=2
	v_lshlrev_b64 v[13:14], 2, v[11:12]
	s_delay_alu instid0(VALU_DEP_1) | instskip(NEXT) | instid1(VALU_DEP_2)
	v_add_co_u32 v13, vcc_lo, s46, v13
	v_add_co_ci_u32_e32 v14, vcc_lo, s47, v14, vcc_lo
	s_and_b32 vcc_lo, exec_lo, s11
	global_load_b32 v2, v[13:14], off
	s_waitcnt vmcnt(0)
	v_subrev_nc_u32_e32 v15, s16, v2
	s_delay_alu instid0(VALU_DEP_1)
	v_ashrrev_i32_e32 v16, 31, v15
	s_cbranch_vccz .LBB217_63
; %bb.37:                               ;   in Loop: Header=BB217_30 Depth=2
	v_lshlrev_b64 v[13:14], 3, v[11:12]
	s_delay_alu instid0(VALU_DEP_1) | instskip(NEXT) | instid1(VALU_DEP_2)
	v_add_co_u32 v13, vcc_lo, s14, v13
	v_add_co_ci_u32_e32 v14, vcc_lo, s15, v14, vcc_lo
	global_load_b64 v[13:14], v[13:14], off
	s_cbranch_execnz .LBB217_39
.LBB217_38:                             ;   in Loop: Header=BB217_30 Depth=2
	s_waitcnt vmcnt(0)
	s_delay_alu instid0(VALU_DEP_1) | instskip(NEXT) | instid1(VALU_DEP_1)
	v_lshlrev_b64 v[13:14], 3, v[15:16]
	v_add_co_u32 v13, vcc_lo, s50, v13
	s_delay_alu instid0(VALU_DEP_2)
	v_add_co_ci_u32_e32 v14, vcc_lo, s51, v14, vcc_lo
	global_load_b64 v[13:14], v[13:14], off
	s_waitcnt vmcnt(0)
	v_sub_co_u32 v13, vcc_lo, v13, s56
	v_subrev_co_ci_u32_e32 v14, vcc_lo, 0, v14, vcc_lo
.LBB217_39:                             ;   in Loop: Header=BB217_30 Depth=2
	v_lshlrev_b64 v[15:16], 3, v[15:16]
	s_mov_b32 s27, exec_lo
	s_delay_alu instid0(VALU_DEP_1) | instskip(NEXT) | instid1(VALU_DEP_2)
	v_add_co_u32 v15, vcc_lo, s61, v15
	v_add_co_ci_u32_e32 v16, vcc_lo, s62, v16, vcc_lo
	global_load_b64 v[15:16], v[15:16], off
	s_waitcnt vmcnt(0)
	v_sub_co_u32 v15, vcc_lo, v15, s56
	v_subrev_co_ci_u32_e32 v16, vcc_lo, 0, v16, vcc_lo
	s_delay_alu instid0(VALU_DEP_1)
	v_cmpx_lt_i64_e64 v[13:14], v[15:16]
	s_cbranch_execz .LBB217_60
; %bb.40:                               ;   in Loop: Header=BB217_30 Depth=2
	v_mad_u64_u32 v[17:18], null, s38, v13, v[3:4]
	v_mul_lo_u32 v2, s38, v14
	v_mul_lo_u32 v21, s39, v13
	v_mad_u64_u32 v[19:20], null, s38, v13, v[5:6]
	s_mov_b32 s31, 0
	s_delay_alu instid0(VALU_DEP_2) | instskip(NEXT) | instid1(VALU_DEP_2)
	v_add3_u32 v18, v21, v18, v2
	v_add3_u32 v20, v21, v20, v2
	v_dual_mov_b32 v22, v14 :: v_dual_mov_b32 v21, v13
	s_branch .LBB217_44
.LBB217_41:                             ;   in Loop: Header=BB217_44 Depth=3
	s_delay_alu instid0(VALU_DEP_1) | instskip(SKIP_1) | instid1(VALU_DEP_2)
	v_mul_f32_e64 v23, v53, -s35
	v_lshlrev_b32_e32 v2, 4, v2
	v_dual_mul_f32 v24, s33, v53 :: v_dual_fmac_f32 v23, s33, v52
	s_delay_alu instid0(VALU_DEP_2) | instskip(NEXT) | instid1(VALU_DEP_2)
	v_or3_b32 v2, v2, v31, v26
	v_fmac_f32_e32 v24, s35, v52
	s_delay_alu instid0(VALU_DEP_2)
	v_lshlrev_b32_e32 v2, 3, v2
	ds_add_f32 v2, v23
	ds_add_f32 v2, v24 offset:4
.LBB217_42:                             ;   in Loop: Header=BB217_44 Depth=3
	s_or_b32 exec_lo, exec_lo, s66
	s_delay_alu instid0(SALU_CYCLE_1)
	s_or_b32 s45, s45, exec_lo
.LBB217_43:                             ;   in Loop: Header=BB217_44 Depth=3
	s_or_b32 exec_lo, exec_lo, s65
	v_add_co_u32 v21, vcc_lo, v21, 1
	v_add_co_ci_u32_e32 v22, vcc_lo, 0, v22, vcc_lo
	v_add_co_u32 v17, s13, v17, s38
	s_xor_b32 s45, s45, -1
	s_delay_alu instid0(VALU_DEP_2)
	v_cmp_ge_i64_e32 vcc_lo, v[21:22], v[15:16]
	v_add_co_ci_u32_e64 v18, s13, s39, v18, s13
	s_or_b32 s13, s45, vcc_lo
	v_add_co_u32 v19, vcc_lo, v19, s38
	v_add_co_ci_u32_e32 v20, vcc_lo, s39, v20, vcc_lo
	s_and_b32 s13, exec_lo, s13
	s_delay_alu instid0(SALU_CYCLE_1) | instskip(NEXT) | instid1(SALU_CYCLE_1)
	s_or_b32 s31, s13, s31
	s_and_not1_b32 exec_lo, exec_lo, s31
	s_cbranch_execz .LBB217_59
.LBB217_44:                             ;   Parent Loop BB217_20 Depth=1
                                        ;     Parent Loop BB217_30 Depth=2
                                        ; =>    This Loop Header: Depth=3
                                        ;         Child Loop BB217_53 Depth 4
                                        ;         Child Loop BB217_58 Depth 4
	s_delay_alu instid0(VALU_DEP_1) | instskip(NEXT) | instid1(VALU_DEP_1)
	v_lshlrev_b64 v[23:24], 2, v[21:22]
                                        ; implicit-def: $sgpr45
	v_add_co_u32 v23, vcc_lo, s36, v23
	s_delay_alu instid0(VALU_DEP_2) | instskip(SKIP_3) | instid1(VALU_DEP_1)
	v_add_co_ci_u32_e32 v24, vcc_lo, s37, v24, vcc_lo
	global_load_b32 v2, v[23:24], off
	s_waitcnt vmcnt(0)
	v_subrev_nc_u32_e32 v2, s17, v2
	v_cmp_lt_i32_e64 s13, v2, v49
	v_cmp_ge_i32_e32 vcc_lo, v2, v50
	s_delay_alu instid0(VALU_DEP_2) | instskip(NEXT) | instid1(SALU_CYCLE_1)
	s_or_b32 s13, s13, vcc_lo
	s_and_saveexec_b32 s65, s13
	s_delay_alu instid0(SALU_CYCLE_1)
	s_xor_b32 s13, exec_lo, s65
	s_cbranch_execz .LBB217_48
; %bb.45:                               ;   in Loop: Header=BB217_44 Depth=3
	s_mov_b32 s45, -1
	s_and_saveexec_b32 s65, vcc_lo
; %bb.46:                               ;   in Loop: Header=BB217_44 Depth=3
	v_min_i32_e32 v51, v2, v51
	v_dual_mov_b32 v13, v21 :: v_dual_mov_b32 v14, v22
	s_xor_b32 s45, exec_lo, -1
; %bb.47:                               ;   in Loop: Header=BB217_44 Depth=3
	s_or_b32 exec_lo, exec_lo, s65
	s_delay_alu instid0(SALU_CYCLE_1)
	s_and_b32 s45, s45, exec_lo
                                        ; implicit-def: $vgpr2
.LBB217_48:                             ;   in Loop: Header=BB217_44 Depth=3
	s_and_not1_saveexec_b32 s65, s13
	s_cbranch_execz .LBB217_43
; %bb.49:                               ;   in Loop: Header=BB217_44 Depth=3
	v_sub_nc_u32_e32 v2, v2, v49
	s_delay_alu instid0(VALU_DEP_1)
	v_lshlrev_b32_e32 v23, 2, v2
	ds_store_b32 v23, v48 offset:6144
	s_and_saveexec_b32 s66, s3
	s_cbranch_execz .LBB217_42
; %bb.50:                               ;   in Loop: Header=BB217_44 Depth=3
	v_cndmask_b32_e64 v23, 0, 1, s57
	s_and_not1_b32 vcc_lo, exec_lo, s28
	s_delay_alu instid0(VALU_DEP_1)
	v_cmp_ne_u32_e64 s13, 1, v23
	s_cbranch_vccnz .LBB217_55
; %bb.51:                               ;   in Loop: Header=BB217_44 Depth=3
	v_dual_mov_b32 v52, 0 :: v_dual_mov_b32 v53, 0
	s_delay_alu instid0(VALU_DEP_2)
	s_and_b32 vcc_lo, exec_lo, s13
	s_mov_b32 s13, 0
	s_cbranch_vccnz .LBB217_54
; %bb.52:                               ;   in Loop: Header=BB217_44 Depth=3
	v_dual_mov_b32 v24, v18 :: v_dual_mov_b32 v53, 0
	v_dual_mov_b32 v52, 0 :: v_dual_mov_b32 v23, v17
	v_mov_b32_e32 v54, v43
	s_mov_b32 s67, s30
.LBB217_53:                             ;   Parent Loop BB217_20 Depth=1
                                        ;     Parent Loop BB217_30 Depth=2
                                        ;       Parent Loop BB217_44 Depth=3
                                        ; =>      This Inner Loop Header: Depth=4
	global_load_b64 v[55:56], v[23:24], off offset:-4
	ds_load_b64 v[57:58], v54
	v_add_nc_u32_e32 v54, 32, v54
	v_add_co_u32 v23, vcc_lo, v23, 8
	v_add_co_ci_u32_e32 v24, vcc_lo, 0, v24, vcc_lo
	s_add_i32 s67, s67, -1
	s_delay_alu instid0(SALU_CYCLE_1) | instskip(SKIP_3) | instid1(VALU_DEP_2)
	s_cmp_lg_u32 s67, 0
	s_waitcnt vmcnt(0) lgkmcnt(0)
	v_fmac_f32_e32 v53, v58, v55
	v_fmac_f32_e32 v52, v57, v55
	;; [unrolled: 1-line block ×3, first 2 shown]
	s_delay_alu instid0(VALU_DEP_2)
	v_fma_f32 v52, -v58, v56, v52
	s_cbranch_scc1 .LBB217_53
.LBB217_54:                             ;   in Loop: Header=BB217_44 Depth=3
	s_and_not1_b32 vcc_lo, exec_lo, s13
	s_cbranch_vccnz .LBB217_41
	s_branch .LBB217_56
.LBB217_55:                             ;   in Loop: Header=BB217_44 Depth=3
                                        ; implicit-def: $vgpr52
                                        ; implicit-def: $vgpr53
.LBB217_56:                             ;   in Loop: Header=BB217_44 Depth=3
	v_dual_mov_b32 v52, 0 :: v_dual_mov_b32 v53, 0
	s_and_not1_b32 vcc_lo, exec_lo, s57
	s_cbranch_vccnz .LBB217_41
; %bb.57:                               ;   in Loop: Header=BB217_44 Depth=3
	v_mov_b32_e32 v24, v20
	v_dual_mov_b32 v52, 0 :: v_dual_mov_b32 v23, v19
	v_dual_mov_b32 v54, v44 :: v_dual_mov_b32 v53, 0
	s_mov_b32 s13, s30
	.p2align	6
.LBB217_58:                             ;   Parent Loop BB217_20 Depth=1
                                        ;     Parent Loop BB217_30 Depth=2
                                        ;       Parent Loop BB217_44 Depth=3
                                        ; =>      This Inner Loop Header: Depth=4
	global_load_b64 v[55:56], v[23:24], off offset:-4
	ds_load_b64 v[57:58], v54
	v_add_co_u32 v23, vcc_lo, v23, s42
	v_add_co_ci_u32_e32 v24, vcc_lo, s43, v24, vcc_lo
	s_add_i32 s13, s13, -1
	v_add_nc_u32_e32 v54, 8, v54
	s_cmp_eq_u32 s13, 0
	s_waitcnt vmcnt(0) lgkmcnt(0)
	v_fmac_f32_e32 v52, v57, v55
	v_fmac_f32_e32 v53, v58, v55
	s_delay_alu instid0(VALU_DEP_2) | instskip(NEXT) | instid1(VALU_DEP_2)
	v_fma_f32 v52, -v58, v56, v52
	v_fmac_f32_e32 v53, v57, v56
	s_cbranch_scc0 .LBB217_58
	s_branch .LBB217_41
.LBB217_59:                             ;   in Loop: Header=BB217_30 Depth=2
	s_or_b32 exec_lo, exec_lo, s31
.LBB217_60:                             ;   in Loop: Header=BB217_30 Depth=2
	s_delay_alu instid0(SALU_CYCLE_1)
	s_or_b32 exec_lo, exec_lo, s27
.LBB217_61:                             ;   in Loop: Header=BB217_30 Depth=2
	s_delay_alu instid0(SALU_CYCLE_1)
	s_or_b32 exec_lo, exec_lo, s26
	s_waitcnt lgkmcnt(0)
	s_barrier
	buffer_gl0_inv
	s_and_saveexec_b32 s13, s12
	s_cbranch_execz .LBB217_29
; %bb.62:                               ;   in Loop: Header=BB217_30 Depth=2
	v_lshlrev_b64 v[11:12], 3, v[11:12]
	s_delay_alu instid0(VALU_DEP_1) | instskip(NEXT) | instid1(VALU_DEP_2)
	v_add_co_u32 v11, vcc_lo, s14, v11
	v_add_co_ci_u32_e32 v12, vcc_lo, s15, v12, vcc_lo
	global_store_b64 v[11:12], v[13:14], off
	s_branch .LBB217_29
.LBB217_63:                             ;   in Loop: Header=BB217_30 Depth=2
                                        ; implicit-def: $vgpr13_vgpr14
	s_branch .LBB217_38
.LBB217_64:                             ;   in Loop: Header=BB217_20 Depth=1
	s_and_not1_b32 vcc_lo, exec_lo, s34
	s_cbranch_vccnz .LBB217_76
; %bb.65:                               ;   in Loop: Header=BB217_20 Depth=1
	s_load_b128 s[24:27], s[22:23], 0x0
	s_mov_b32 s13, exec_lo
	s_waitcnt lgkmcnt(0)
	v_add_co_u32 v13, vcc_lo, s24, v32
	v_add_co_ci_u32_e32 v14, vcc_lo, s25, v33, vcc_lo
	s_sub_u32 s26, s26, s58
	s_subb_u32 s27, s27, 0
	s_delay_alu instid0(VALU_DEP_1) | instid1(SALU_CYCLE_1)
	v_cmpx_gt_i64_e64 s[26:27], v[13:14]
	s_cbranch_execz .LBB217_75
; %bb.66:                               ;   in Loop: Header=BB217_20 Depth=1
	v_lshlrev_b64 v[15:16], 2, v[13:14]
	v_mad_u64_u32 v[11:12], null, s38, v13, v[7:8]
	v_mul_lo_u32 v2, s38, v14
	v_mul_lo_u32 v17, s39, v13
	s_delay_alu instid0(VALU_DEP_4) | instskip(SKIP_2) | instid1(VALU_DEP_4)
	v_add_co_u32 v13, vcc_lo, s20, v15
	v_add_co_ci_u32_e32 v14, vcc_lo, s21, v16, vcc_lo
	v_add_co_u32 v15, vcc_lo, v45, s24
	v_add3_u32 v12, v17, v12, v2
	v_add_co_ci_u32_e32 v16, vcc_lo, s25, v46, vcc_lo
	s_mov_b32 s24, 0
	s_branch .LBB217_69
.LBB217_67:                             ;   in Loop: Header=BB217_69 Depth=2
	s_or_b32 exec_lo, exec_lo, s25
	s_delay_alu instid0(SALU_CYCLE_1)
	s_or_b32 s11, s11, exec_lo
.LBB217_68:                             ;   in Loop: Header=BB217_69 Depth=2
	s_or_b32 exec_lo, exec_lo, s12
	v_cmp_le_i64_e32 vcc_lo, s[26:27], v[15:16]
	s_xor_b32 s12, s11, -1
	v_add_co_u32 v13, s11, v13, 64
	s_delay_alu instid0(VALU_DEP_1)
	v_add_co_ci_u32_e64 v14, s11, 0, v14, s11
	s_or_b32 s11, s12, vcc_lo
	v_add_co_u32 v11, vcc_lo, v11, s48
	v_add_co_ci_u32_e32 v12, vcc_lo, s49, v12, vcc_lo
	v_add_co_u32 v15, vcc_lo, v15, 16
	v_add_co_ci_u32_e32 v16, vcc_lo, 0, v16, vcc_lo
	s_and_b32 s11, exec_lo, s11
	s_delay_alu instid0(SALU_CYCLE_1) | instskip(NEXT) | instid1(SALU_CYCLE_1)
	s_or_b32 s24, s11, s24
	s_and_not1_b32 exec_lo, exec_lo, s24
	s_cbranch_execz .LBB217_74
.LBB217_69:                             ;   Parent Loop BB217_20 Depth=1
                                        ; =>  This Inner Loop Header: Depth=2
	global_load_b32 v2, v[13:14], off
	s_waitcnt vmcnt(0)
	v_subrev_nc_u32_e32 v2, s19, v2
	s_delay_alu instid0(VALU_DEP_1) | instskip(SKIP_2) | instid1(VALU_DEP_2)
	v_cmp_lt_i32_e64 s11, v2, v49
	v_cmp_ge_i32_e64 s12, v2, v50
	v_cmp_lt_i32_e32 vcc_lo, v2, v50
	s_or_b32 s12, s11, s12
                                        ; implicit-def: $sgpr11
	s_delay_alu instid0(SALU_CYCLE_1) | instskip(NEXT) | instid1(SALU_CYCLE_1)
	s_and_saveexec_b32 s25, s12
	s_xor_b32 s12, exec_lo, s25
; %bb.70:                               ;   in Loop: Header=BB217_69 Depth=2
	v_min_i32_e32 v2, v2, v51
	s_and_b32 s11, vcc_lo, exec_lo
	s_delay_alu instid0(VALU_DEP_1)
	v_cndmask_b32_e32 v51, v2, v51, vcc_lo
                                        ; implicit-def: $vgpr2
; %bb.71:                               ;   in Loop: Header=BB217_69 Depth=2
	s_and_not1_saveexec_b32 s12, s12
	s_cbranch_execz .LBB217_68
; %bb.72:                               ;   in Loop: Header=BB217_69 Depth=2
	v_sub_nc_u32_e32 v2, v2, v49
	s_delay_alu instid0(VALU_DEP_1)
	v_lshlrev_b32_e32 v17, 2, v2
	ds_store_b32 v17, v48 offset:6144
	s_and_saveexec_b32 s25, s3
	s_cbranch_execz .LBB217_67
; %bb.73:                               ;   in Loop: Header=BB217_69 Depth=2
	global_load_b64 v[17:18], v[11:12], off offset:-4
	s_waitcnt vmcnt(0)
	v_mul_f32_e64 v19, v18, -s55
	v_lshlrev_b32_e32 v2, 4, v2
	s_delay_alu instid0(VALU_DEP_2) | instskip(NEXT) | instid1(VALU_DEP_2)
	v_dual_mul_f32 v18, s54, v18 :: v_dual_fmac_f32 v19, s54, v17
	v_or3_b32 v2, v2, v31, v26
	s_delay_alu instid0(VALU_DEP_2) | instskip(NEXT) | instid1(VALU_DEP_2)
	v_fmac_f32_e32 v18, s55, v17
	v_lshlrev_b32_e32 v2, 3, v2
	ds_add_f32 v2, v19
	ds_add_f32 v2, v18 offset:4
	s_branch .LBB217_67
.LBB217_74:                             ;   in Loop: Header=BB217_20 Depth=1
	s_or_b32 exec_lo, exec_lo, s24
.LBB217_75:                             ;   in Loop: Header=BB217_20 Depth=1
	s_delay_alu instid0(SALU_CYCLE_1)
	s_or_b32 exec_lo, exec_lo, s13
.LBB217_76:                             ;   in Loop: Header=BB217_20 Depth=1
	s_and_saveexec_b32 s11, s5
	s_cbranch_execz .LBB217_81
; %bb.77:                               ;   in Loop: Header=BB217_20 Depth=1
	s_mov_b32 s13, exec_lo
	s_brev_b32 s12, -2
.LBB217_78:                             ;   Parent Loop BB217_20 Depth=1
                                        ; =>  This Inner Loop Header: Depth=2
	s_ctz_i32_b32 s24, s13
	s_delay_alu instid0(SALU_CYCLE_1) | instskip(SKIP_1) | instid1(SALU_CYCLE_1)
	v_readlane_b32 s25, v51, s24
	s_lshl_b32 s24, 1, s24
	s_and_not1_b32 s13, s13, s24
	s_delay_alu instid0(VALU_DEP_1)
	s_min_i32 s12, s12, s25
	s_cmp_lg_u32 s13, 0
	s_cbranch_scc1 .LBB217_78
; %bb.79:                               ;   in Loop: Header=BB217_20 Depth=1
	v_mbcnt_lo_u32_b32 v2, exec_lo, 0
	s_mov_b32 s13, exec_lo
	s_delay_alu instid0(VALU_DEP_1)
	v_cmpx_eq_u32_e32 0, v2
	s_xor_b32 s13, exec_lo, s13
	s_cbranch_execz .LBB217_81
; %bb.80:                               ;   in Loop: Header=BB217_20 Depth=1
	v_mov_b32_e32 v2, s12
	ds_min_i32 v1, v2 offset:6272
.LBB217_81:                             ;   in Loop: Header=BB217_20 Depth=1
	s_or_b32 exec_lo, exec_lo, s11
	s_waitcnt lgkmcnt(0)
	s_waitcnt_vscnt null, 0x0
	s_barrier
	buffer_gl0_inv
	ds_load_b32 v11, v34
	s_waitcnt lgkmcnt(0)
	s_barrier
	buffer_gl0_inv
	s_and_saveexec_b32 s11, s6
	s_cbranch_execz .LBB217_83
; %bb.82:                               ;   in Loop: Header=BB217_20 Depth=1
	ds_load_b32 v2, v35
	s_waitcnt lgkmcnt(0)
	v_add_nc_u32_e32 v11, v2, v11
.LBB217_83:                             ;   in Loop: Header=BB217_20 Depth=1
	s_or_b32 exec_lo, exec_lo, s11
	s_barrier
	buffer_gl0_inv
	ds_store_b32 v34, v11
	s_waitcnt lgkmcnt(0)
	s_barrier
	buffer_gl0_inv
	s_and_saveexec_b32 s11, s7
	s_cbranch_execz .LBB217_85
; %bb.84:                               ;   in Loop: Header=BB217_20 Depth=1
	ds_load_b32 v2, v37
	s_waitcnt lgkmcnt(0)
	v_add_nc_u32_e32 v11, v2, v11
.LBB217_85:                             ;   in Loop: Header=BB217_20 Depth=1
	s_or_b32 exec_lo, exec_lo, s11
	s_barrier
	buffer_gl0_inv
	ds_store_b32 v34, v11
	;; [unrolled: 14-line block ×5, first 2 shown]
	s_waitcnt lgkmcnt(0)
	s_barrier
	buffer_gl0_inv
	ds_load_b32 v2, v1 offset:6268
	v_mov_b32_e32 v12, 0
	s_and_saveexec_b32 s11, s59
	s_cbranch_execz .LBB217_93
; %bb.92:                               ;   in Loop: Header=BB217_20 Depth=1
	ds_load_b32 v12, v35
.LBB217_93:                             ;   in Loop: Header=BB217_20 Depth=1
	s_or_b32 exec_lo, exec_lo, s11
	s_waitcnt lgkmcnt(0)
	v_cmp_eq_u32_e32 vcc_lo, v11, v12
	s_barrier
	buffer_gl0_inv
	s_and_b32 s12, s59, vcc_lo
	s_delay_alu instid0(SALU_CYCLE_1)
	s_and_saveexec_b32 s11, s12
	s_cbranch_execz .LBB217_95
; %bb.94:                               ;   in Loop: Header=BB217_20 Depth=1
	ds_store_b32 v34, v1
.LBB217_95:                             ;   in Loop: Header=BB217_20 Depth=1
	s_or_b32 exec_lo, exec_lo, s11
	s_waitcnt lgkmcnt(0)
	s_barrier
	buffer_gl0_inv
	s_and_saveexec_b32 s11, s1
	s_cbranch_execz .LBB217_19
; %bb.96:                               ;   in Loop: Header=BB217_20 Depth=1
	v_add_co_u32 v11, vcc_lo, v9, -1
	v_add_co_ci_u32_e32 v12, vcc_lo, -1, v10, vcc_lo
	v_dual_mov_b32 v14, v47 :: v_dual_add_nc_u32 v13, s18, v49
	v_dual_mov_b32 v15, v27 :: v_dual_mov_b32 v16, v25
	s_mov_b32 s12, 0
	s_set_inst_prefetch_distance 0x1
	s_branch .LBB217_98
	.p2align	6
.LBB217_97:                             ;   in Loop: Header=BB217_98 Depth=2
	s_or_b32 exec_lo, exec_lo, s13
	v_add_nc_u32_e32 v17, 16, v16
	v_cmp_lt_u32_e32 vcc_lo, 15, v16
	v_add_nc_u32_e32 v15, 0x800, v15
	v_add_nc_u32_e32 v14, 64, v14
	s_delay_alu instid0(VALU_DEP_4) | instskip(SKIP_1) | instid1(SALU_CYCLE_1)
	v_mov_b32_e32 v16, v17
	s_or_b32 s12, vcc_lo, s12
	s_and_not1_b32 exec_lo, exec_lo, s12
	s_cbranch_execz .LBB217_19
.LBB217_98:                             ;   Parent Loop BB217_20 Depth=1
                                        ; =>  This Inner Loop Header: Depth=2
	ds_load_b32 v17, v14
	s_mov_b32 s13, exec_lo
	s_waitcnt lgkmcnt(0)
	v_cmpx_ne_u32_e32 0, v17
	s_cbranch_execz .LBB217_97
; %bb.99:                               ;   in Loop: Header=BB217_98 Depth=2
	v_ashrrev_i32_e32 v18, 31, v17
	v_add_co_u32 v19, vcc_lo, v9, v17
	v_add_nc_u32_e32 v21, v13, v16
	s_delay_alu instid0(VALU_DEP_3) | instskip(NEXT) | instid1(VALU_DEP_1)
	v_add_co_ci_u32_e32 v20, vcc_lo, v10, v18, vcc_lo
	v_lshlrev_b64 v[19:20], 2, v[19:20]
	s_delay_alu instid0(VALU_DEP_1) | instskip(NEXT) | instid1(VALU_DEP_2)
	v_add_co_u32 v19, vcc_lo, s63, v19
	v_add_co_ci_u32_e32 v20, vcc_lo, s64, v20, vcc_lo
	global_store_b32 v[19:20], v21, off
	s_and_b32 exec_lo, exec_lo, s3
	s_cbranch_execz .LBB217_97
; %bb.100:                              ;   in Loop: Header=BB217_98 Depth=2
	v_add_co_u32 v19, vcc_lo, v11, v17
	v_add_co_ci_u32_e32 v21, vcc_lo, v12, v18, vcc_lo
	s_delay_alu instid0(VALU_DEP_2) | instskip(NEXT) | instid1(VALU_DEP_1)
	v_mad_u64_u32 v[17:18], null, v19, s44, 0
	v_mad_u64_u32 v[19:20], null, v21, s44, v[18:19]
	ds_load_b64 v[20:21], v15
	v_mov_b32_e32 v18, v19
	s_delay_alu instid0(VALU_DEP_1) | instskip(NEXT) | instid1(VALU_DEP_1)
	v_lshlrev_b64 v[17:18], 3, v[17:18]
	v_add_co_u32 v17, vcc_lo, v42, v17
	s_delay_alu instid0(VALU_DEP_2)
	v_add_co_ci_u32_e32 v18, vcc_lo, v41, v18, vcc_lo
	s_waitcnt lgkmcnt(0)
	global_store_b64 v[17:18], v[20:21], off
	s_branch .LBB217_97
.LBB217_101:
	s_endpgm
	.section	.rodata,"a",@progbits
	.p2align	6, 0x0
	.amdhsa_kernel _ZN9rocsparseL38bsrgemm_block_per_row_atomic_multipassILj256ELj32ELj4Eli21rocsparse_complex_numIfEEEv20rocsparse_direction_T3_S4_PKS4_S6_NS_24const_host_device_scalarIT4_EEPKT2_S6_PKS8_SC_S6_SE_S9_SC_S6_SE_SC_PS4_PS8_PSA_21rocsparse_index_base_SI_SI_SI_bbb
		.amdhsa_group_segment_fixed_size 6276
		.amdhsa_private_segment_fixed_size 0
		.amdhsa_kernarg_size 172
		.amdhsa_user_sgpr_count 15
		.amdhsa_user_sgpr_dispatch_ptr 0
		.amdhsa_user_sgpr_queue_ptr 0
		.amdhsa_user_sgpr_kernarg_segment_ptr 1
		.amdhsa_user_sgpr_dispatch_id 0
		.amdhsa_user_sgpr_private_segment_size 0
		.amdhsa_wavefront_size32 1
		.amdhsa_uses_dynamic_stack 0
		.amdhsa_enable_private_segment 0
		.amdhsa_system_sgpr_workgroup_id_x 1
		.amdhsa_system_sgpr_workgroup_id_y 0
		.amdhsa_system_sgpr_workgroup_id_z 0
		.amdhsa_system_sgpr_workgroup_info 0
		.amdhsa_system_vgpr_workitem_id 0
		.amdhsa_next_free_vgpr 59
		.amdhsa_next_free_sgpr 68
		.amdhsa_reserve_vcc 1
		.amdhsa_float_round_mode_32 0
		.amdhsa_float_round_mode_16_64 0
		.amdhsa_float_denorm_mode_32 3
		.amdhsa_float_denorm_mode_16_64 3
		.amdhsa_dx10_clamp 1
		.amdhsa_ieee_mode 1
		.amdhsa_fp16_overflow 0
		.amdhsa_workgroup_processor_mode 1
		.amdhsa_memory_ordered 1
		.amdhsa_forward_progress 0
		.amdhsa_shared_vgpr_count 0
		.amdhsa_exception_fp_ieee_invalid_op 0
		.amdhsa_exception_fp_denorm_src 0
		.amdhsa_exception_fp_ieee_div_zero 0
		.amdhsa_exception_fp_ieee_overflow 0
		.amdhsa_exception_fp_ieee_underflow 0
		.amdhsa_exception_fp_ieee_inexact 0
		.amdhsa_exception_int_div_zero 0
	.end_amdhsa_kernel
	.section	.text._ZN9rocsparseL38bsrgemm_block_per_row_atomic_multipassILj256ELj32ELj4Eli21rocsparse_complex_numIfEEEv20rocsparse_direction_T3_S4_PKS4_S6_NS_24const_host_device_scalarIT4_EEPKT2_S6_PKS8_SC_S6_SE_S9_SC_S6_SE_SC_PS4_PS8_PSA_21rocsparse_index_base_SI_SI_SI_bbb,"axG",@progbits,_ZN9rocsparseL38bsrgemm_block_per_row_atomic_multipassILj256ELj32ELj4Eli21rocsparse_complex_numIfEEEv20rocsparse_direction_T3_S4_PKS4_S6_NS_24const_host_device_scalarIT4_EEPKT2_S6_PKS8_SC_S6_SE_S9_SC_S6_SE_SC_PS4_PS8_PSA_21rocsparse_index_base_SI_SI_SI_bbb,comdat
.Lfunc_end217:
	.size	_ZN9rocsparseL38bsrgemm_block_per_row_atomic_multipassILj256ELj32ELj4Eli21rocsparse_complex_numIfEEEv20rocsparse_direction_T3_S4_PKS4_S6_NS_24const_host_device_scalarIT4_EEPKT2_S6_PKS8_SC_S6_SE_S9_SC_S6_SE_SC_PS4_PS8_PSA_21rocsparse_index_base_SI_SI_SI_bbb, .Lfunc_end217-_ZN9rocsparseL38bsrgemm_block_per_row_atomic_multipassILj256ELj32ELj4Eli21rocsparse_complex_numIfEEEv20rocsparse_direction_T3_S4_PKS4_S6_NS_24const_host_device_scalarIT4_EEPKT2_S6_PKS8_SC_S6_SE_S9_SC_S6_SE_SC_PS4_PS8_PSA_21rocsparse_index_base_SI_SI_SI_bbb
                                        ; -- End function
	.section	.AMDGPU.csdata,"",@progbits
; Kernel info:
; codeLenInByte = 3912
; NumSgprs: 70
; NumVgprs: 59
; ScratchSize: 0
; MemoryBound: 0
; FloatMode: 240
; IeeeMode: 1
; LDSByteSize: 6276 bytes/workgroup (compile time only)
; SGPRBlocks: 8
; VGPRBlocks: 7
; NumSGPRsForWavesPerEU: 70
; NumVGPRsForWavesPerEU: 59
; Occupancy: 16
; WaveLimiterHint : 1
; COMPUTE_PGM_RSRC2:SCRATCH_EN: 0
; COMPUTE_PGM_RSRC2:USER_SGPR: 15
; COMPUTE_PGM_RSRC2:TRAP_HANDLER: 0
; COMPUTE_PGM_RSRC2:TGID_X_EN: 1
; COMPUTE_PGM_RSRC2:TGID_Y_EN: 0
; COMPUTE_PGM_RSRC2:TGID_Z_EN: 0
; COMPUTE_PGM_RSRC2:TIDIG_COMP_CNT: 0
	.section	.text._ZN9rocsparseL38bsrgemm_block_per_row_atomic_multipassILj256ELj64ELj4Eli21rocsparse_complex_numIfEEEv20rocsparse_direction_T3_S4_PKS4_S6_NS_24const_host_device_scalarIT4_EEPKT2_S6_PKS8_SC_S6_SE_S9_SC_S6_SE_SC_PS4_PS8_PSA_21rocsparse_index_base_SI_SI_SI_bbb,"axG",@progbits,_ZN9rocsparseL38bsrgemm_block_per_row_atomic_multipassILj256ELj64ELj4Eli21rocsparse_complex_numIfEEEv20rocsparse_direction_T3_S4_PKS4_S6_NS_24const_host_device_scalarIT4_EEPKT2_S6_PKS8_SC_S6_SE_S9_SC_S6_SE_SC_PS4_PS8_PSA_21rocsparse_index_base_SI_SI_SI_bbb,comdat
	.globl	_ZN9rocsparseL38bsrgemm_block_per_row_atomic_multipassILj256ELj64ELj4Eli21rocsparse_complex_numIfEEEv20rocsparse_direction_T3_S4_PKS4_S6_NS_24const_host_device_scalarIT4_EEPKT2_S6_PKS8_SC_S6_SE_S9_SC_S6_SE_SC_PS4_PS8_PSA_21rocsparse_index_base_SI_SI_SI_bbb ; -- Begin function _ZN9rocsparseL38bsrgemm_block_per_row_atomic_multipassILj256ELj64ELj4Eli21rocsparse_complex_numIfEEEv20rocsparse_direction_T3_S4_PKS4_S6_NS_24const_host_device_scalarIT4_EEPKT2_S6_PKS8_SC_S6_SE_S9_SC_S6_SE_SC_PS4_PS8_PSA_21rocsparse_index_base_SI_SI_SI_bbb
	.p2align	8
	.type	_ZN9rocsparseL38bsrgemm_block_per_row_atomic_multipassILj256ELj64ELj4Eli21rocsparse_complex_numIfEEEv20rocsparse_direction_T3_S4_PKS4_S6_NS_24const_host_device_scalarIT4_EEPKT2_S6_PKS8_SC_S6_SE_S9_SC_S6_SE_SC_PS4_PS8_PSA_21rocsparse_index_base_SI_SI_SI_bbb,@function
_ZN9rocsparseL38bsrgemm_block_per_row_atomic_multipassILj256ELj64ELj4Eli21rocsparse_complex_numIfEEEv20rocsparse_direction_T3_S4_PKS4_S6_NS_24const_host_device_scalarIT4_EEPKT2_S6_PKS8_SC_S6_SE_S9_SC_S6_SE_SC_PS4_PS8_PSA_21rocsparse_index_base_SI_SI_SI_bbb: ; @_ZN9rocsparseL38bsrgemm_block_per_row_atomic_multipassILj256ELj64ELj4Eli21rocsparse_complex_numIfEEEv20rocsparse_direction_T3_S4_PKS4_S6_NS_24const_host_device_scalarIT4_EEPKT2_S6_PKS8_SC_S6_SE_S9_SC_S6_SE_SC_PS4_PS8_PSA_21rocsparse_index_base_SI_SI_SI_bbb
; %bb.0:
	s_mov_b32 s2, s15
	s_clause 0x5
	s_load_b32 s3, s[0:1], 0xa8
	s_load_b256 s[12:19], s[0:1], 0x88
	s_load_b256 s[20:27], s[0:1], 0x68
	;; [unrolled: 1-line block ×3, first 2 shown]
	s_load_b128 s[4:7], s[0:1], 0x10
	s_load_b256 s[44:51], s[0:1], 0x28
	s_mov_b32 s35, 0
	s_mov_b32 s33, 0
	s_waitcnt lgkmcnt(0)
	s_bitcmp1_b32 s3, 0
	s_cselect_b32 s8, -1, 0
	s_bitcmp1_b32 s3, 16
	s_cselect_b32 s9, -1, 0
	s_delay_alu instid0(SALU_CYCLE_1) | instskip(SKIP_2) | instid1(VALU_DEP_1)
	s_xor_b32 s9, s9, -1
	s_bitcmp0_b32 s3, 0
	v_cndmask_b32_e64 v1, 0, 1, s9
	v_cmp_ne_u32_e32 vcc_lo, 1, v1
	s_cbranch_scc1 .LBB218_5
; %bb.1:
	s_load_b64 s[34:35], s[0:1], 0x20
	s_and_b32 vcc_lo, exec_lo, vcc_lo
	s_waitcnt lgkmcnt(0)
	s_mov_b32 s33, s34
	s_cbranch_vccnz .LBB218_3
; %bb.2:
	s_load_b32 s33, s[34:35], 0x0
.LBB218_3:
	s_and_not1_b32 vcc_lo, exec_lo, s9
	s_cbranch_vccnz .LBB218_5
; %bb.4:
	s_load_b32 s35, s[34:35], 0x4
.LBB218_5:
	s_bitcmp1_b32 s3, 8
	s_mov_b32 s55, 0
	s_cselect_b32 s34, -1, 0
	s_bfe_u32 s3, s3, 0x10008
	s_mov_b32 s54, 0
	s_cmp_eq_u32 s3, 0
	s_cbranch_scc1 .LBB218_11
; %bb.6:
	v_cmp_ne_u32_e32 vcc_lo, 1, v1
	s_mov_b32 s54, s40
	s_cbranch_vccnz .LBB218_8
; %bb.7:
	s_load_b32 s54, s[40:41], 0x0
.LBB218_8:
	v_cmp_ne_u32_e32 vcc_lo, 1, v1
	s_cbranch_vccnz .LBB218_10
; %bb.9:
	s_load_b32 s41, s[40:41], 0x4
.LBB218_10:
	s_waitcnt lgkmcnt(0)
	s_mov_b32 s55, s41
.LBB218_11:
	s_cmp_eq_u64 s[6:7], 0
	s_mov_b64 s[40:41], 0
	s_cbranch_scc1 .LBB218_13
; %bb.12:
	s_load_b32 s3, s[4:5], 0x0
	s_waitcnt lgkmcnt(0)
	s_add_i32 s2, s3, s2
	s_mov_b32 s3, 0
	s_delay_alu instid0(SALU_CYCLE_1) | instskip(NEXT) | instid1(SALU_CYCLE_1)
	s_lshl_b64 s[2:3], s[2:3], 2
	s_add_u32 s2, s6, s2
	s_addc_u32 s3, s7, s3
	s_load_b32 s2, s[2:3], 0x0
.LBB218_13:
	s_and_not1_b32 vcc_lo, exec_lo, s8
	s_cbranch_vccz .LBB218_16
; %bb.14:
	s_and_not1_b32 vcc_lo, exec_lo, s8
	s_mov_b64 s[52:53], 0
	s_cbranch_vccz .LBB218_17
.LBB218_15:
	s_load_b128 s[28:31], s[0:1], 0x0
	s_waitcnt lgkmcnt(0)
	s_cmp_lt_i32 s29, 1
	s_cbranch_scc0 .LBB218_18
	s_branch .LBB218_101
.LBB218_16:
	s_waitcnt lgkmcnt(0)
	s_ashr_i32 s3, s2, 31
	s_delay_alu instid0(SALU_CYCLE_1) | instskip(NEXT) | instid1(SALU_CYCLE_1)
	s_lshl_b64 s[4:5], s[2:3], 3
	s_add_u32 s4, s44, s4
	s_addc_u32 s5, s45, s5
	s_load_b64 s[4:5], s[4:5], 0x0
	s_waitcnt lgkmcnt(0)
	s_sub_u32 s40, s4, s16
	s_subb_u32 s41, s5, 0
	s_and_not1_b32 vcc_lo, exec_lo, s8
	s_mov_b64 s[52:53], 0
	s_cbranch_vccnz .LBB218_15
.LBB218_17:
	s_waitcnt lgkmcnt(0)
	s_ashr_i32 s3, s2, 31
	s_delay_alu instid0(SALU_CYCLE_1) | instskip(NEXT) | instid1(SALU_CYCLE_1)
	s_lshl_b64 s[4:5], s[2:3], 3
	s_add_u32 s4, s44, s4
	s_addc_u32 s5, s45, s5
	s_load_b64 s[4:5], s[4:5], 0x8
	s_waitcnt lgkmcnt(0)
	s_sub_u32 s52, s4, s16
	s_subb_u32 s53, s5, 0
	s_load_b128 s[28:31], s[0:1], 0x0
	s_waitcnt lgkmcnt(0)
	s_cmp_lt_i32 s29, 1
	s_cbranch_scc1 .LBB218_101
.LBB218_18:
	s_ashr_i32 s3, s2, 31
	v_bfe_u32 v7, v0, 2, 2
	s_lshl_b64 s[6:7], s[2:3], 3
	v_dual_mov_b32 v1, 0 :: v_dual_and_b32 v6, 15, v0
	s_add_u32 s0, s24, s6
	s_addc_u32 s1, s25, s7
	v_mul_lo_u32 v2, v7, s30
	s_load_b64 s[4:5], s[0:1], 0x0
	v_dual_mov_b32 v3, v1 :: v_dual_and_b32 v26, 3, v0
	v_mov_b32_e32 v5, v1
	v_lshrrev_b32_e32 v25, 4, v0
	v_and_b32_e32 v15, 63, v0
	s_delay_alu instid0(VALU_DEP_4)
	v_mul_lo_u32 v4, v26, s30
	v_lshlrev_b64 v[2:3], 3, v[2:3]
	v_max_i32_e32 v8, v26, v7
	v_lshlrev_b32_e32 v10, 3, v26
	v_lshlrev_b32_e32 v7, 3, v7
	v_cmp_lt_i64_e64 s9, s[40:41], s[52:53]
	s_mov_b32 s45, 0
	v_cmp_gt_i32_e64 s2, s30, v8
	v_cmp_le_i32_e64 s3, s30, v8
	v_add_co_u32 v8, vcc_lo, s48, v2
	v_lshlrev_b64 v[4:5], 3, v[4:5]
	v_add_co_ci_u32_e32 v9, vcc_lo, s49, v3, vcc_lo
	s_waitcnt lgkmcnt(0)
	s_sub_u32 s24, s4, s18
	v_add_co_u32 v29, s4, v8, v10
	s_delay_alu instid0(VALU_DEP_1) | instskip(SKIP_1) | instid1(VALU_DEP_1)
	v_add_co_ci_u32_e64 v30, s4, 0, v9, s4
	v_add_co_u32 v8, s4, s22, v4
	v_add_co_ci_u32_e64 v9, s4, s23, v5, s4
	v_sub_co_u32 v32, s4, v25, s19
	v_add_co_u32 v11, vcc_lo, s12, v4
	v_sub_co_ci_u32_e64 v33, null, 0, 0, s4
	v_add_co_u32 v8, s4, v8, v7
	v_add_co_ci_u32_e32 v12, vcc_lo, s13, v5, vcc_lo
	v_add_co_ci_u32_e64 v9, s4, 0, v9, s4
	v_add_co_u32 v13, vcc_lo, s12, v2
	v_add_co_u32 v2, s4, s22, v2
	v_add_co_ci_u32_e32 v14, vcc_lo, s13, v3, vcc_lo
	v_add_co_ci_u32_e64 v3, s4, s23, v3, s4
	v_add_co_u32 v11, vcc_lo, v11, v7
	s_delay_alu instid0(VALU_DEP_4)
	v_add_co_u32 v2, s4, v2, v10
	v_add_co_ci_u32_e32 v12, vcc_lo, 0, v12, vcc_lo
	s_subb_u32 s25, s5, 0
	v_add_co_u32 v13, vcc_lo, v13, v10
	v_add_co_ci_u32_e64 v3, s4, 0, v3, s4
	s_cmp_eq_u32 s28, 0
	v_add_co_ci_u32_e32 v14, vcc_lo, 0, v14, vcc_lo
	s_cselect_b32 vcc_lo, -1, 0
	v_lshlrev_b32_e32 v27, 3, v0
	s_delay_alu instid0(VALU_DEP_2) | instskip(SKIP_4) | instid1(VALU_DEP_3)
	v_dual_cndmask_b32 v9, v9, v3 :: v_dual_cndmask_b32 v42, v12, v14
	v_lshlrev_b32_e32 v3, 7, v25
	v_dual_cndmask_b32 v43, v11, v13 :: v_dual_cndmask_b32 v2, v8, v2
	v_cmp_eq_u32_e64 s4, 15, v6
	s_cmp_lg_u32 s28, 0
	v_or3_b32 v44, v3, v7, 0x2000
	v_add_co_u32 v3, vcc_lo, v4, s38
	v_add_co_ci_u32_e32 v4, vcc_lo, s39, v5, vcc_lo
	v_add_co_u32 v5, s11, v10, s38
	s_delay_alu instid0(VALU_DEP_1) | instskip(NEXT) | instid1(VALU_DEP_4)
	v_add_co_ci_u32_e64 v6, null, 0, s39, s11
	v_add_co_u32 v3, vcc_lo, v3, 4
	s_delay_alu instid0(VALU_DEP_4) | instskip(NEXT) | instid1(VALU_DEP_4)
	v_add_co_ci_u32_e32 v4, vcc_lo, 0, v4, vcc_lo
	v_add_co_u32 v5, vcc_lo, v5, 4
	s_delay_alu instid0(VALU_DEP_4)
	v_add_co_ci_u32_e32 v6, vcc_lo, 0, v6, vcc_lo
	v_add_co_u32 v7, vcc_lo, v2, 4
	v_mov_b32_e32 v2, v1
	v_dual_mov_b32 v51, 64 :: v_dual_lshlrev_b32 v16, 2, v15
	v_add_co_u32 v17, s59, v15, -1
	s_cselect_b32 s28, -1, 0
	s_cmp_gt_i32 s30, 0
	v_add_co_ci_u32_e32 v8, vcc_lo, 0, v9, vcc_lo
	s_cselect_b32 s57, -1, 0
	s_add_u32 s42, s42, s6
	s_movk_i32 s11, 0x7e0
	v_add_co_u32 v46, vcc_lo, v32, 16
	s_addc_u32 s43, s43, s7
	s_and_b32 s60, s8, s9
	v_dual_mov_b32 v9, s24 :: v_dual_add_nc_u32 v38, 0x27f0, v16
	v_cmp_gt_u32_e64 s0, 64, v0
	v_cmp_eq_u32_e64 s1, 0, v0
	v_or_b32_e32 v28, 0x2000, v27
	v_dual_mov_b32 v10, s25 :: v_dual_and_b32 v31, 12, v0
	v_or_b32_e32 v34, 0x2800, v16
	v_lshl_add_u32 v35, v17, 2, 0x2800
	v_lshl_or_b32 v36, v0, 2, 0x2800
	v_cmp_ne_u32_e64 s5, 0, v15
	v_cmp_lt_u32_e64 s6, 1, v15
	v_dual_mov_b32 v50, v1 :: v_dual_add_nc_u32 v37, 0x27f8, v16
	v_cmp_lt_u32_e64 s7, 3, v15
	v_cmp_lt_u32_e64 s8, 7, v15
	v_add_nc_u32_e32 v39, 0x27e0, v16
	v_cmp_lt_u32_e64 s9, 15, v15
	v_dual_mov_b32 v49, 1 :: v_dual_add_nc_u32 v40, 0x27c0, v16
	v_cmp_lt_u32_e64 s10, 31, v15
	v_add_nc_u32_e32 v41, 0x2780, v16
	s_add_u32 s61, s50, 8
	v_or_b32_e32 v0, 0xffffff00, v0
	v_and_or_b32 v45, v27, s11, 0x2000
	v_add_co_ci_u32_e32 v47, vcc_lo, 0, v33, vcc_lo
	v_lshl_or_b32 v48, v25, 2, 0x2800
	s_mul_i32 s44, s30, s30
	s_addc_u32 s62, s51, 0
	s_mov_b32 s31, s45
	s_add_u32 s63, s26, -4
	s_mov_b32 s56, s17
	s_mov_b32 s58, s19
	s_addc_u32 s64, s27, -1
	s_lshl_b64 s[22:23], s[44:45], 3
	s_lshl_b64 s[38:39], s[30:31], 3
	;; [unrolled: 1-line block ×3, first 2 shown]
	s_branch .LBB218_20
.LBB218_19:                             ;   in Loop: Header=BB218_20 Depth=1
	s_set_inst_prefetch_distance 0x2
	s_or_b32 exec_lo, exec_lo, s11
	s_waitcnt_vscnt null, 0x0
	s_barrier
	buffer_gl0_inv
	ds_load_b32 v50, v1 offset:10496
	v_ashrrev_i32_e32 v11, 31, v12
	v_add_co_u32 v9, s11, v9, v12
	s_waitcnt lgkmcnt(0)
	s_barrier
	s_delay_alu instid0(VALU_DEP_2)
	v_add_co_ci_u32_e64 v10, s11, v10, v11, s11
	buffer_gl0_inv
	v_cmp_le_i32_e32 vcc_lo, s29, v50
	v_add_nc_u32_e32 v51, 64, v50
	s_cbranch_vccnz .LBB218_101
.LBB218_20:                             ; =>This Loop Header: Depth=1
                                        ;     Child Loop BB218_23 Depth 2
                                        ;     Child Loop BB218_29 Depth 2
                                        ;       Child Loop BB218_43 Depth 3
                                        ;         Child Loop BB218_52 Depth 4
                                        ;         Child Loop BB218_57 Depth 4
                                        ;     Child Loop BB218_68 Depth 2
                                        ;     Child Loop BB218_77 Depth 2
	;; [unrolled: 1-line block ×3, first 2 shown]
	s_and_saveexec_b32 s11, s0
	s_cbranch_execz .LBB218_22
; %bb.21:                               ;   in Loop: Header=BB218_20 Depth=1
	ds_store_b32 v36, v1
.LBB218_22:                             ;   in Loop: Header=BB218_20 Depth=1
	s_or_b32 exec_lo, exec_lo, s11
	v_dual_mov_b32 v11, v27 :: v_dual_mov_b32 v12, v0
	s_mov_b32 s11, 0
.LBB218_23:                             ;   Parent Loop BB218_20 Depth=1
                                        ; =>  This Inner Loop Header: Depth=2
	s_delay_alu instid0(VALU_DEP_1) | instskip(SKIP_4) | instid1(SALU_CYCLE_1)
	v_add_nc_u32_e32 v12, 0x100, v12
	ds_store_b64 v11, v[1:2]
	v_add_nc_u32_e32 v11, 0x800, v11
	v_cmp_lt_u32_e32 vcc_lo, 0x2ff, v12
	s_or_b32 s11, vcc_lo, s11
	s_and_not1_b32 exec_lo, exec_lo, s11
	s_cbranch_execnz .LBB218_23
; %bb.24:                               ;   in Loop: Header=BB218_20 Depth=1
	s_or_b32 exec_lo, exec_lo, s11
	s_and_saveexec_b32 s11, s1
	s_cbranch_execz .LBB218_26
; %bb.25:                               ;   in Loop: Header=BB218_20 Depth=1
	v_mov_b32_e32 v11, s29
	ds_store_b32 v1, v11 offset:10496
.LBB218_26:                             ;   in Loop: Header=BB218_20 Depth=1
	s_or_b32 exec_lo, exec_lo, s11
	v_mov_b32_e32 v52, s29
	s_and_not1_b32 vcc_lo, exec_lo, s60
	s_waitcnt lgkmcnt(0)
	s_barrier
	buffer_gl0_inv
	s_cbranch_vccnz .LBB218_63
; %bb.27:                               ;   in Loop: Header=BB218_20 Depth=1
	v_cmp_ne_u32_e64 s11, 0, v50
	v_mov_b32_e32 v52, s29
	s_mov_b64 s[24:25], s[40:41]
	s_branch .LBB218_29
.LBB218_28:                             ;   in Loop: Header=BB218_29 Depth=2
	s_or_b32 exec_lo, exec_lo, s13
	s_add_u32 s24, s24, 16
	s_addc_u32 s25, s25, 0
	s_delay_alu instid0(SALU_CYCLE_1) | instskip(NEXT) | instid1(VALU_DEP_1)
	v_cmp_lt_i64_e64 s12, s[24:25], s[52:53]
	s_and_b32 vcc_lo, exec_lo, s12
	s_cbranch_vccz .LBB218_63
.LBB218_29:                             ;   Parent Loop BB218_20 Depth=1
                                        ; =>  This Loop Header: Depth=2
                                        ;       Child Loop BB218_43 Depth 3
                                        ;         Child Loop BB218_52 Depth 4
                                        ;         Child Loop BB218_57 Depth 4
	v_add_co_u32 v11, s12, s24, v25
	s_delay_alu instid0(VALU_DEP_1) | instskip(NEXT) | instid1(VALU_DEP_1)
	v_add_co_ci_u32_e64 v12, null, s25, 0, s12
	s_waitcnt_vscnt null, 0x0
	s_barrier
	buffer_gl0_inv
	v_cmp_gt_i64_e64 s12, s[52:53], v[11:12]
	s_delay_alu instid0(VALU_DEP_1)
	s_and_saveexec_b32 s13, s12
	s_cbranch_execz .LBB218_34
; %bb.30:                               ;   in Loop: Header=BB218_29 Depth=2
	s_and_saveexec_b32 s26, s3
	s_delay_alu instid0(SALU_CYCLE_1)
	s_xor_b32 s26, exec_lo, s26
	s_cbranch_execz .LBB218_32
; %bb.31:                               ;   in Loop: Header=BB218_29 Depth=2
	ds_store_b64 v28, v[1:2]
.LBB218_32:                             ;   in Loop: Header=BB218_29 Depth=2
	s_and_not1_saveexec_b32 s26, s26
	s_cbranch_execz .LBB218_34
; %bb.33:                               ;   in Loop: Header=BB218_29 Depth=2
	v_mad_u64_u32 v[13:14], null, v11, s44, 0
	s_delay_alu instid0(VALU_DEP_1) | instskip(NEXT) | instid1(VALU_DEP_1)
	v_mad_u64_u32 v[15:16], null, v12, s44, v[14:15]
	v_mov_b32_e32 v14, v15
	s_delay_alu instid0(VALU_DEP_1) | instskip(NEXT) | instid1(VALU_DEP_1)
	v_lshlrev_b64 v[13:14], 3, v[13:14]
	v_add_co_u32 v13, vcc_lo, v29, v13
	s_delay_alu instid0(VALU_DEP_2)
	v_add_co_ci_u32_e32 v14, vcc_lo, v30, v14, vcc_lo
	global_load_b64 v[13:14], v[13:14], off
	s_waitcnt vmcnt(0)
	ds_store_b64 v28, v[13:14]
.LBB218_34:                             ;   in Loop: Header=BB218_29 Depth=2
	s_or_b32 exec_lo, exec_lo, s13
	v_mov_b32_e32 v13, 0
	v_mov_b32_e32 v14, 0
	s_waitcnt lgkmcnt(0)
	s_barrier
	buffer_gl0_inv
	s_and_saveexec_b32 s26, s12
	s_cbranch_execz .LBB218_60
; %bb.35:                               ;   in Loop: Header=BB218_29 Depth=2
	v_lshlrev_b64 v[13:14], 2, v[11:12]
	s_delay_alu instid0(VALU_DEP_1) | instskip(NEXT) | instid1(VALU_DEP_2)
	v_add_co_u32 v13, vcc_lo, s46, v13
	v_add_co_ci_u32_e32 v14, vcc_lo, s47, v14, vcc_lo
	s_and_b32 vcc_lo, exec_lo, s11
	global_load_b32 v13, v[13:14], off
	s_waitcnt vmcnt(0)
	v_subrev_nc_u32_e32 v15, s16, v13
	s_delay_alu instid0(VALU_DEP_1)
	v_ashrrev_i32_e32 v16, 31, v15
	s_cbranch_vccz .LBB218_62
; %bb.36:                               ;   in Loop: Header=BB218_29 Depth=2
	v_lshlrev_b64 v[13:14], 3, v[11:12]
	s_delay_alu instid0(VALU_DEP_1) | instskip(NEXT) | instid1(VALU_DEP_2)
	v_add_co_u32 v13, vcc_lo, s14, v13
	v_add_co_ci_u32_e32 v14, vcc_lo, s15, v14, vcc_lo
	global_load_b64 v[13:14], v[13:14], off
	s_cbranch_execnz .LBB218_38
.LBB218_37:                             ;   in Loop: Header=BB218_29 Depth=2
	s_waitcnt vmcnt(0)
	s_delay_alu instid0(VALU_DEP_1) | instskip(NEXT) | instid1(VALU_DEP_1)
	v_lshlrev_b64 v[13:14], 3, v[15:16]
	v_add_co_u32 v13, vcc_lo, s50, v13
	s_delay_alu instid0(VALU_DEP_2)
	v_add_co_ci_u32_e32 v14, vcc_lo, s51, v14, vcc_lo
	global_load_b64 v[13:14], v[13:14], off
	s_waitcnt vmcnt(0)
	v_sub_co_u32 v13, vcc_lo, v13, s56
	v_subrev_co_ci_u32_e32 v14, vcc_lo, 0, v14, vcc_lo
.LBB218_38:                             ;   in Loop: Header=BB218_29 Depth=2
	v_lshlrev_b64 v[15:16], 3, v[15:16]
	s_mov_b32 s27, exec_lo
	s_delay_alu instid0(VALU_DEP_1) | instskip(NEXT) | instid1(VALU_DEP_2)
	v_add_co_u32 v15, vcc_lo, s61, v15
	v_add_co_ci_u32_e32 v16, vcc_lo, s62, v16, vcc_lo
	global_load_b64 v[15:16], v[15:16], off
	s_waitcnt vmcnt(0)
	v_sub_co_u32 v15, vcc_lo, v15, s56
	v_subrev_co_ci_u32_e32 v16, vcc_lo, 0, v16, vcc_lo
	s_delay_alu instid0(VALU_DEP_1)
	v_cmpx_lt_i64_e64 v[13:14], v[15:16]
	s_cbranch_execz .LBB218_59
; %bb.39:                               ;   in Loop: Header=BB218_29 Depth=2
	v_mad_u64_u32 v[17:18], null, s22, v13, v[3:4]
	v_mul_lo_u32 v21, s22, v14
	v_mul_lo_u32 v22, s23, v13
	v_mad_u64_u32 v[19:20], null, s22, v13, v[5:6]
	s_mov_b32 s31, 0
	s_delay_alu instid0(VALU_DEP_2) | instskip(NEXT) | instid1(VALU_DEP_2)
	v_add3_u32 v18, v22, v18, v21
	v_add3_u32 v20, v22, v20, v21
	v_dual_mov_b32 v22, v14 :: v_dual_mov_b32 v21, v13
	s_branch .LBB218_43
.LBB218_40:                             ;   in Loop: Header=BB218_43 Depth=3
	s_delay_alu instid0(VALU_DEP_1) | instskip(SKIP_1) | instid1(VALU_DEP_2)
	v_mul_f32_e64 v24, v55, -s35
	v_lshlrev_b32_e32 v23, 4, v53
	v_dual_mul_f32 v53, s33, v55 :: v_dual_fmac_f32 v24, s33, v54
	s_delay_alu instid0(VALU_DEP_2) | instskip(NEXT) | instid1(VALU_DEP_2)
	v_or3_b32 v23, v23, v31, v26
	v_fmac_f32_e32 v53, s35, v54
	s_delay_alu instid0(VALU_DEP_2)
	v_lshlrev_b32_e32 v23, 3, v23
	ds_add_f32 v23, v24
	ds_add_f32 v23, v53 offset:4
.LBB218_41:                             ;   in Loop: Header=BB218_43 Depth=3
	s_or_b32 exec_lo, exec_lo, s66
	s_delay_alu instid0(SALU_CYCLE_1)
	s_or_b32 s45, s45, exec_lo
.LBB218_42:                             ;   in Loop: Header=BB218_43 Depth=3
	s_or_b32 exec_lo, exec_lo, s65
	v_add_co_u32 v21, vcc_lo, v21, 1
	v_add_co_ci_u32_e32 v22, vcc_lo, 0, v22, vcc_lo
	v_add_co_u32 v17, s13, v17, s22
	s_xor_b32 s45, s45, -1
	s_delay_alu instid0(VALU_DEP_2)
	v_cmp_ge_i64_e32 vcc_lo, v[21:22], v[15:16]
	v_add_co_ci_u32_e64 v18, s13, s23, v18, s13
	s_or_b32 s13, s45, vcc_lo
	v_add_co_u32 v19, vcc_lo, v19, s22
	v_add_co_ci_u32_e32 v20, vcc_lo, s23, v20, vcc_lo
	s_and_b32 s13, exec_lo, s13
	s_delay_alu instid0(SALU_CYCLE_1) | instskip(NEXT) | instid1(SALU_CYCLE_1)
	s_or_b32 s31, s13, s31
	s_and_not1_b32 exec_lo, exec_lo, s31
	s_cbranch_execz .LBB218_58
.LBB218_43:                             ;   Parent Loop BB218_20 Depth=1
                                        ;     Parent Loop BB218_29 Depth=2
                                        ; =>    This Loop Header: Depth=3
                                        ;         Child Loop BB218_52 Depth 4
                                        ;         Child Loop BB218_57 Depth 4
	s_delay_alu instid0(VALU_DEP_1) | instskip(NEXT) | instid1(VALU_DEP_1)
	v_lshlrev_b64 v[23:24], 2, v[21:22]
                                        ; implicit-def: $sgpr45
	v_add_co_u32 v23, vcc_lo, s36, v23
	s_delay_alu instid0(VALU_DEP_2) | instskip(SKIP_3) | instid1(VALU_DEP_1)
	v_add_co_ci_u32_e32 v24, vcc_lo, s37, v24, vcc_lo
	global_load_b32 v23, v[23:24], off
	s_waitcnt vmcnt(0)
	v_subrev_nc_u32_e32 v23, s17, v23
	v_cmp_lt_i32_e64 s13, v23, v50
	v_cmp_ge_i32_e32 vcc_lo, v23, v51
	s_delay_alu instid0(VALU_DEP_2) | instskip(NEXT) | instid1(SALU_CYCLE_1)
	s_or_b32 s13, s13, vcc_lo
	s_and_saveexec_b32 s65, s13
	s_delay_alu instid0(SALU_CYCLE_1)
	s_xor_b32 s13, exec_lo, s65
	s_cbranch_execz .LBB218_47
; %bb.44:                               ;   in Loop: Header=BB218_43 Depth=3
	s_mov_b32 s45, -1
	s_and_saveexec_b32 s65, vcc_lo
; %bb.45:                               ;   in Loop: Header=BB218_43 Depth=3
	v_min_i32_e32 v52, v23, v52
	v_dual_mov_b32 v13, v21 :: v_dual_mov_b32 v14, v22
	s_xor_b32 s45, exec_lo, -1
; %bb.46:                               ;   in Loop: Header=BB218_43 Depth=3
	s_or_b32 exec_lo, exec_lo, s65
	s_delay_alu instid0(SALU_CYCLE_1)
	s_and_b32 s45, s45, exec_lo
                                        ; implicit-def: $vgpr23
.LBB218_47:                             ;   in Loop: Header=BB218_43 Depth=3
	s_and_not1_saveexec_b32 s65, s13
	s_cbranch_execz .LBB218_42
; %bb.48:                               ;   in Loop: Header=BB218_43 Depth=3
	v_sub_nc_u32_e32 v53, v23, v50
	s_delay_alu instid0(VALU_DEP_1)
	v_lshlrev_b32_e32 v23, 2, v53
	ds_store_b32 v23, v49 offset:10240
	s_and_saveexec_b32 s66, s2
	s_cbranch_execz .LBB218_41
; %bb.49:                               ;   in Loop: Header=BB218_43 Depth=3
	v_cndmask_b32_e64 v23, 0, 1, s57
	s_and_not1_b32 vcc_lo, exec_lo, s28
	s_delay_alu instid0(VALU_DEP_1)
	v_cmp_ne_u32_e64 s13, 1, v23
	s_cbranch_vccnz .LBB218_54
; %bb.50:                               ;   in Loop: Header=BB218_43 Depth=3
	v_dual_mov_b32 v54, 0 :: v_dual_mov_b32 v55, 0
	s_delay_alu instid0(VALU_DEP_2)
	s_and_b32 vcc_lo, exec_lo, s13
	s_mov_b32 s13, 0
	s_cbranch_vccnz .LBB218_53
; %bb.51:                               ;   in Loop: Header=BB218_43 Depth=3
	v_dual_mov_b32 v24, v18 :: v_dual_mov_b32 v55, 0
	v_dual_mov_b32 v54, 0 :: v_dual_mov_b32 v23, v17
	v_mov_b32_e32 v56, v44
	s_mov_b32 s67, s30
.LBB218_52:                             ;   Parent Loop BB218_20 Depth=1
                                        ;     Parent Loop BB218_29 Depth=2
                                        ;       Parent Loop BB218_43 Depth=3
                                        ; =>      This Inner Loop Header: Depth=4
	global_load_b64 v[57:58], v[23:24], off offset:-4
	ds_load_b64 v[59:60], v56
	v_add_nc_u32_e32 v56, 32, v56
	v_add_co_u32 v23, vcc_lo, v23, 8
	v_add_co_ci_u32_e32 v24, vcc_lo, 0, v24, vcc_lo
	s_add_i32 s67, s67, -1
	s_delay_alu instid0(SALU_CYCLE_1) | instskip(SKIP_3) | instid1(VALU_DEP_2)
	s_cmp_lg_u32 s67, 0
	s_waitcnt vmcnt(0) lgkmcnt(0)
	v_fmac_f32_e32 v55, v60, v57
	v_fmac_f32_e32 v54, v59, v57
	;; [unrolled: 1-line block ×3, first 2 shown]
	s_delay_alu instid0(VALU_DEP_2)
	v_fma_f32 v54, -v60, v58, v54
	s_cbranch_scc1 .LBB218_52
.LBB218_53:                             ;   in Loop: Header=BB218_43 Depth=3
	s_and_not1_b32 vcc_lo, exec_lo, s13
	s_cbranch_vccnz .LBB218_40
	s_branch .LBB218_55
.LBB218_54:                             ;   in Loop: Header=BB218_43 Depth=3
                                        ; implicit-def: $vgpr54
                                        ; implicit-def: $vgpr55
.LBB218_55:                             ;   in Loop: Header=BB218_43 Depth=3
	v_dual_mov_b32 v54, 0 :: v_dual_mov_b32 v55, 0
	s_and_not1_b32 vcc_lo, exec_lo, s57
	s_cbranch_vccnz .LBB218_40
; %bb.56:                               ;   in Loop: Header=BB218_43 Depth=3
	v_mov_b32_e32 v24, v20
	v_dual_mov_b32 v54, 0 :: v_dual_mov_b32 v23, v19
	v_dual_mov_b32 v56, v45 :: v_dual_mov_b32 v55, 0
	s_mov_b32 s13, s30
	.p2align	6
.LBB218_57:                             ;   Parent Loop BB218_20 Depth=1
                                        ;     Parent Loop BB218_29 Depth=2
                                        ;       Parent Loop BB218_43 Depth=3
                                        ; =>      This Inner Loop Header: Depth=4
	global_load_b64 v[57:58], v[23:24], off offset:-4
	ds_load_b64 v[59:60], v56
	v_add_co_u32 v23, vcc_lo, v23, s38
	v_add_co_ci_u32_e32 v24, vcc_lo, s39, v24, vcc_lo
	s_add_i32 s13, s13, -1
	v_add_nc_u32_e32 v56, 8, v56
	s_cmp_eq_u32 s13, 0
	s_waitcnt vmcnt(0) lgkmcnt(0)
	v_fmac_f32_e32 v54, v59, v57
	v_fmac_f32_e32 v55, v60, v57
	s_delay_alu instid0(VALU_DEP_2) | instskip(NEXT) | instid1(VALU_DEP_2)
	v_fma_f32 v54, -v60, v58, v54
	v_fmac_f32_e32 v55, v59, v58
	s_cbranch_scc0 .LBB218_57
	s_branch .LBB218_40
.LBB218_58:                             ;   in Loop: Header=BB218_29 Depth=2
	s_or_b32 exec_lo, exec_lo, s31
.LBB218_59:                             ;   in Loop: Header=BB218_29 Depth=2
	s_delay_alu instid0(SALU_CYCLE_1)
	s_or_b32 exec_lo, exec_lo, s27
.LBB218_60:                             ;   in Loop: Header=BB218_29 Depth=2
	s_delay_alu instid0(SALU_CYCLE_1)
	s_or_b32 exec_lo, exec_lo, s26
	s_waitcnt lgkmcnt(0)
	s_barrier
	buffer_gl0_inv
	s_and_saveexec_b32 s13, s12
	s_cbranch_execz .LBB218_28
; %bb.61:                               ;   in Loop: Header=BB218_29 Depth=2
	v_lshlrev_b64 v[11:12], 3, v[11:12]
	s_delay_alu instid0(VALU_DEP_1) | instskip(NEXT) | instid1(VALU_DEP_2)
	v_add_co_u32 v11, vcc_lo, s14, v11
	v_add_co_ci_u32_e32 v12, vcc_lo, s15, v12, vcc_lo
	global_store_b64 v[11:12], v[13:14], off
	s_branch .LBB218_28
.LBB218_62:                             ;   in Loop: Header=BB218_29 Depth=2
                                        ; implicit-def: $vgpr13_vgpr14
	s_branch .LBB218_37
.LBB218_63:                             ;   in Loop: Header=BB218_20 Depth=1
	s_and_not1_b32 vcc_lo, exec_lo, s34
	s_cbranch_vccnz .LBB218_75
; %bb.64:                               ;   in Loop: Header=BB218_20 Depth=1
	s_load_b128 s[24:27], s[42:43], 0x0
	s_mov_b32 s13, exec_lo
	s_waitcnt lgkmcnt(0)
	v_add_co_u32 v13, vcc_lo, s24, v32
	v_add_co_ci_u32_e32 v14, vcc_lo, s25, v33, vcc_lo
	s_sub_u32 s26, s26, s58
	s_subb_u32 s27, s27, 0
	s_delay_alu instid0(VALU_DEP_1) | instid1(SALU_CYCLE_1)
	v_cmpx_gt_i64_e64 s[26:27], v[13:14]
	s_cbranch_execz .LBB218_74
; %bb.65:                               ;   in Loop: Header=BB218_20 Depth=1
	v_lshlrev_b64 v[15:16], 2, v[13:14]
	v_mad_u64_u32 v[11:12], null, s22, v13, v[7:8]
	v_mul_lo_u32 v17, s22, v14
	v_mul_lo_u32 v18, s23, v13
	s_delay_alu instid0(VALU_DEP_4) | instskip(SKIP_2) | instid1(VALU_DEP_4)
	v_add_co_u32 v13, vcc_lo, s20, v15
	v_add_co_ci_u32_e32 v14, vcc_lo, s21, v16, vcc_lo
	v_add_co_u32 v15, vcc_lo, v46, s24
	v_add3_u32 v12, v18, v12, v17
	v_add_co_ci_u32_e32 v16, vcc_lo, s25, v47, vcc_lo
	s_mov_b32 s24, 0
	s_branch .LBB218_68
.LBB218_66:                             ;   in Loop: Header=BB218_68 Depth=2
	s_or_b32 exec_lo, exec_lo, s25
	s_delay_alu instid0(SALU_CYCLE_1)
	s_or_b32 s11, s11, exec_lo
.LBB218_67:                             ;   in Loop: Header=BB218_68 Depth=2
	s_or_b32 exec_lo, exec_lo, s12
	v_cmp_le_i64_e32 vcc_lo, s[26:27], v[15:16]
	s_xor_b32 s12, s11, -1
	v_add_co_u32 v13, s11, v13, 64
	s_delay_alu instid0(VALU_DEP_1)
	v_add_co_ci_u32_e64 v14, s11, 0, v14, s11
	s_or_b32 s11, s12, vcc_lo
	v_add_co_u32 v11, vcc_lo, v11, s48
	v_add_co_ci_u32_e32 v12, vcc_lo, s49, v12, vcc_lo
	v_add_co_u32 v15, vcc_lo, v15, 16
	v_add_co_ci_u32_e32 v16, vcc_lo, 0, v16, vcc_lo
	s_and_b32 s11, exec_lo, s11
	s_delay_alu instid0(SALU_CYCLE_1) | instskip(NEXT) | instid1(SALU_CYCLE_1)
	s_or_b32 s24, s11, s24
	s_and_not1_b32 exec_lo, exec_lo, s24
	s_cbranch_execz .LBB218_73
.LBB218_68:                             ;   Parent Loop BB218_20 Depth=1
                                        ; =>  This Inner Loop Header: Depth=2
	global_load_b32 v17, v[13:14], off
	s_waitcnt vmcnt(0)
	v_subrev_nc_u32_e32 v17, s19, v17
	s_delay_alu instid0(VALU_DEP_1) | instskip(SKIP_2) | instid1(VALU_DEP_2)
	v_cmp_lt_i32_e64 s11, v17, v50
	v_cmp_ge_i32_e64 s12, v17, v51
	v_cmp_lt_i32_e32 vcc_lo, v17, v51
	s_or_b32 s12, s11, s12
                                        ; implicit-def: $sgpr11
	s_delay_alu instid0(SALU_CYCLE_1) | instskip(NEXT) | instid1(SALU_CYCLE_1)
	s_and_saveexec_b32 s25, s12
	s_xor_b32 s12, exec_lo, s25
; %bb.69:                               ;   in Loop: Header=BB218_68 Depth=2
	v_min_i32_e32 v17, v17, v52
	s_and_b32 s11, vcc_lo, exec_lo
	s_delay_alu instid0(VALU_DEP_1)
	v_cndmask_b32_e32 v52, v17, v52, vcc_lo
                                        ; implicit-def: $vgpr17
; %bb.70:                               ;   in Loop: Header=BB218_68 Depth=2
	s_and_not1_saveexec_b32 s12, s12
	s_cbranch_execz .LBB218_67
; %bb.71:                               ;   in Loop: Header=BB218_68 Depth=2
	v_sub_nc_u32_e32 v17, v17, v50
	s_delay_alu instid0(VALU_DEP_1)
	v_lshlrev_b32_e32 v18, 2, v17
	ds_store_b32 v18, v49 offset:10240
	s_and_saveexec_b32 s25, s2
	s_cbranch_execz .LBB218_66
; %bb.72:                               ;   in Loop: Header=BB218_68 Depth=2
	global_load_b64 v[18:19], v[11:12], off offset:-4
	s_waitcnt vmcnt(0)
	v_mul_f32_e64 v20, v19, -s55
	v_lshlrev_b32_e32 v17, 4, v17
	s_delay_alu instid0(VALU_DEP_2) | instskip(NEXT) | instid1(VALU_DEP_2)
	v_dual_mul_f32 v19, s54, v19 :: v_dual_fmac_f32 v20, s54, v18
	v_or3_b32 v17, v17, v31, v26
	s_delay_alu instid0(VALU_DEP_2) | instskip(NEXT) | instid1(VALU_DEP_2)
	v_fmac_f32_e32 v19, s55, v18
	v_lshlrev_b32_e32 v17, 3, v17
	ds_add_f32 v17, v20
	ds_add_f32 v17, v19 offset:4
	s_branch .LBB218_66
.LBB218_73:                             ;   in Loop: Header=BB218_20 Depth=1
	s_or_b32 exec_lo, exec_lo, s24
.LBB218_74:                             ;   in Loop: Header=BB218_20 Depth=1
	s_delay_alu instid0(SALU_CYCLE_1)
	s_or_b32 exec_lo, exec_lo, s13
.LBB218_75:                             ;   in Loop: Header=BB218_20 Depth=1
	s_and_saveexec_b32 s11, s4
	s_cbranch_execz .LBB218_80
; %bb.76:                               ;   in Loop: Header=BB218_20 Depth=1
	s_mov_b32 s13, exec_lo
	s_brev_b32 s12, -2
.LBB218_77:                             ;   Parent Loop BB218_20 Depth=1
                                        ; =>  This Inner Loop Header: Depth=2
	s_ctz_i32_b32 s24, s13
	s_delay_alu instid0(SALU_CYCLE_1) | instskip(SKIP_1) | instid1(SALU_CYCLE_1)
	v_readlane_b32 s25, v52, s24
	s_lshl_b32 s24, 1, s24
	s_and_not1_b32 s13, s13, s24
	s_delay_alu instid0(VALU_DEP_1)
	s_min_i32 s12, s12, s25
	s_cmp_lg_u32 s13, 0
	s_cbranch_scc1 .LBB218_77
; %bb.78:                               ;   in Loop: Header=BB218_20 Depth=1
	v_mbcnt_lo_u32_b32 v11, exec_lo, 0
	s_mov_b32 s13, exec_lo
	s_delay_alu instid0(VALU_DEP_1)
	v_cmpx_eq_u32_e32 0, v11
	s_xor_b32 s13, exec_lo, s13
	s_cbranch_execz .LBB218_80
; %bb.79:                               ;   in Loop: Header=BB218_20 Depth=1
	v_mov_b32_e32 v11, s12
	ds_min_i32 v1, v11 offset:10496
.LBB218_80:                             ;   in Loop: Header=BB218_20 Depth=1
	s_or_b32 exec_lo, exec_lo, s11
	s_waitcnt lgkmcnt(0)
	s_waitcnt_vscnt null, 0x0
	s_barrier
	buffer_gl0_inv
	ds_load_b32 v11, v34
	s_waitcnt lgkmcnt(0)
	s_barrier
	buffer_gl0_inv
	s_and_saveexec_b32 s11, s5
	s_cbranch_execz .LBB218_82
; %bb.81:                               ;   in Loop: Header=BB218_20 Depth=1
	ds_load_b32 v12, v35
	s_waitcnt lgkmcnt(0)
	v_add_nc_u32_e32 v11, v12, v11
.LBB218_82:                             ;   in Loop: Header=BB218_20 Depth=1
	s_or_b32 exec_lo, exec_lo, s11
	s_barrier
	buffer_gl0_inv
	ds_store_b32 v34, v11
	s_waitcnt lgkmcnt(0)
	s_barrier
	buffer_gl0_inv
	s_and_saveexec_b32 s11, s6
	s_cbranch_execz .LBB218_84
; %bb.83:                               ;   in Loop: Header=BB218_20 Depth=1
	ds_load_b32 v12, v37
	s_waitcnt lgkmcnt(0)
	v_add_nc_u32_e32 v11, v12, v11
.LBB218_84:                             ;   in Loop: Header=BB218_20 Depth=1
	s_or_b32 exec_lo, exec_lo, s11
	s_barrier
	buffer_gl0_inv
	ds_store_b32 v34, v11
	;; [unrolled: 14-line block ×6, first 2 shown]
	s_waitcnt lgkmcnt(0)
	s_barrier
	buffer_gl0_inv
	ds_load_b32 v12, v1 offset:10492
	v_mov_b32_e32 v13, 0
	s_and_saveexec_b32 s11, s59
	s_cbranch_execz .LBB218_94
; %bb.93:                               ;   in Loop: Header=BB218_20 Depth=1
	ds_load_b32 v13, v35
.LBB218_94:                             ;   in Loop: Header=BB218_20 Depth=1
	s_or_b32 exec_lo, exec_lo, s11
	s_waitcnt lgkmcnt(0)
	v_cmp_eq_u32_e32 vcc_lo, v11, v13
	s_barrier
	buffer_gl0_inv
	s_and_b32 s12, s59, vcc_lo
	s_delay_alu instid0(SALU_CYCLE_1)
	s_and_saveexec_b32 s11, s12
	s_cbranch_execz .LBB218_96
; %bb.95:                               ;   in Loop: Header=BB218_20 Depth=1
	ds_store_b32 v34, v1
.LBB218_96:                             ;   in Loop: Header=BB218_20 Depth=1
	s_or_b32 exec_lo, exec_lo, s11
	v_add_co_u32 v11, vcc_lo, v9, -1
	v_add_co_ci_u32_e32 v13, vcc_lo, -1, v10, vcc_lo
	v_dual_mov_b32 v15, v48 :: v_dual_add_nc_u32 v14, s18, v50
	v_dual_mov_b32 v16, v27 :: v_dual_mov_b32 v17, v25
	s_mov_b32 s11, 0
	s_waitcnt lgkmcnt(0)
	s_barrier
	buffer_gl0_inv
	s_set_inst_prefetch_distance 0x1
	s_branch .LBB218_98
	.p2align	6
.LBB218_97:                             ;   in Loop: Header=BB218_98 Depth=2
	s_or_b32 exec_lo, exec_lo, s12
	v_add_nc_u32_e32 v18, 16, v17
	v_cmp_lt_u32_e32 vcc_lo, 47, v17
	v_add_nc_u32_e32 v16, 0x800, v16
	v_add_nc_u32_e32 v15, 64, v15
	s_delay_alu instid0(VALU_DEP_4) | instskip(SKIP_1) | instid1(SALU_CYCLE_1)
	v_mov_b32_e32 v17, v18
	s_or_b32 s11, vcc_lo, s11
	s_and_not1_b32 exec_lo, exec_lo, s11
	s_cbranch_execz .LBB218_19
.LBB218_98:                             ;   Parent Loop BB218_20 Depth=1
                                        ; =>  This Inner Loop Header: Depth=2
	ds_load_b32 v18, v15
	s_mov_b32 s12, exec_lo
	s_waitcnt lgkmcnt(0)
	v_cmpx_ne_u32_e32 0, v18
	s_cbranch_execz .LBB218_97
; %bb.99:                               ;   in Loop: Header=BB218_98 Depth=2
	v_ashrrev_i32_e32 v19, 31, v18
	v_add_co_u32 v20, vcc_lo, v9, v18
	v_add_nc_u32_e32 v22, v14, v17
	s_delay_alu instid0(VALU_DEP_3) | instskip(NEXT) | instid1(VALU_DEP_1)
	v_add_co_ci_u32_e32 v21, vcc_lo, v10, v19, vcc_lo
	v_lshlrev_b64 v[20:21], 2, v[20:21]
	s_delay_alu instid0(VALU_DEP_1) | instskip(NEXT) | instid1(VALU_DEP_2)
	v_add_co_u32 v20, vcc_lo, s63, v20
	v_add_co_ci_u32_e32 v21, vcc_lo, s64, v21, vcc_lo
	global_store_b32 v[20:21], v22, off
	s_and_b32 exec_lo, exec_lo, s2
	s_cbranch_execz .LBB218_97
; %bb.100:                              ;   in Loop: Header=BB218_98 Depth=2
	v_add_co_u32 v20, vcc_lo, v11, v18
	v_add_co_ci_u32_e32 v22, vcc_lo, v13, v19, vcc_lo
	s_delay_alu instid0(VALU_DEP_2) | instskip(NEXT) | instid1(VALU_DEP_1)
	v_mad_u64_u32 v[18:19], null, v20, s44, 0
	v_mad_u64_u32 v[20:21], null, v22, s44, v[19:20]
	ds_load_b64 v[21:22], v16
	v_mov_b32_e32 v19, v20
	s_delay_alu instid0(VALU_DEP_1) | instskip(NEXT) | instid1(VALU_DEP_1)
	v_lshlrev_b64 v[18:19], 3, v[18:19]
	v_add_co_u32 v18, vcc_lo, v43, v18
	s_delay_alu instid0(VALU_DEP_2)
	v_add_co_ci_u32_e32 v19, vcc_lo, v42, v19, vcc_lo
	s_waitcnt lgkmcnt(0)
	global_store_b64 v[18:19], v[21:22], off
	s_branch .LBB218_97
.LBB218_101:
	s_endpgm
	.section	.rodata,"a",@progbits
	.p2align	6, 0x0
	.amdhsa_kernel _ZN9rocsparseL38bsrgemm_block_per_row_atomic_multipassILj256ELj64ELj4Eli21rocsparse_complex_numIfEEEv20rocsparse_direction_T3_S4_PKS4_S6_NS_24const_host_device_scalarIT4_EEPKT2_S6_PKS8_SC_S6_SE_S9_SC_S6_SE_SC_PS4_PS8_PSA_21rocsparse_index_base_SI_SI_SI_bbb
		.amdhsa_group_segment_fixed_size 10500
		.amdhsa_private_segment_fixed_size 0
		.amdhsa_kernarg_size 172
		.amdhsa_user_sgpr_count 15
		.amdhsa_user_sgpr_dispatch_ptr 0
		.amdhsa_user_sgpr_queue_ptr 0
		.amdhsa_user_sgpr_kernarg_segment_ptr 1
		.amdhsa_user_sgpr_dispatch_id 0
		.amdhsa_user_sgpr_private_segment_size 0
		.amdhsa_wavefront_size32 1
		.amdhsa_uses_dynamic_stack 0
		.amdhsa_enable_private_segment 0
		.amdhsa_system_sgpr_workgroup_id_x 1
		.amdhsa_system_sgpr_workgroup_id_y 0
		.amdhsa_system_sgpr_workgroup_id_z 0
		.amdhsa_system_sgpr_workgroup_info 0
		.amdhsa_system_vgpr_workitem_id 0
		.amdhsa_next_free_vgpr 61
		.amdhsa_next_free_sgpr 68
		.amdhsa_reserve_vcc 1
		.amdhsa_float_round_mode_32 0
		.amdhsa_float_round_mode_16_64 0
		.amdhsa_float_denorm_mode_32 3
		.amdhsa_float_denorm_mode_16_64 3
		.amdhsa_dx10_clamp 1
		.amdhsa_ieee_mode 1
		.amdhsa_fp16_overflow 0
		.amdhsa_workgroup_processor_mode 1
		.amdhsa_memory_ordered 1
		.amdhsa_forward_progress 0
		.amdhsa_shared_vgpr_count 0
		.amdhsa_exception_fp_ieee_invalid_op 0
		.amdhsa_exception_fp_denorm_src 0
		.amdhsa_exception_fp_ieee_div_zero 0
		.amdhsa_exception_fp_ieee_overflow 0
		.amdhsa_exception_fp_ieee_underflow 0
		.amdhsa_exception_fp_ieee_inexact 0
		.amdhsa_exception_int_div_zero 0
	.end_amdhsa_kernel
	.section	.text._ZN9rocsparseL38bsrgemm_block_per_row_atomic_multipassILj256ELj64ELj4Eli21rocsparse_complex_numIfEEEv20rocsparse_direction_T3_S4_PKS4_S6_NS_24const_host_device_scalarIT4_EEPKT2_S6_PKS8_SC_S6_SE_S9_SC_S6_SE_SC_PS4_PS8_PSA_21rocsparse_index_base_SI_SI_SI_bbb,"axG",@progbits,_ZN9rocsparseL38bsrgemm_block_per_row_atomic_multipassILj256ELj64ELj4Eli21rocsparse_complex_numIfEEEv20rocsparse_direction_T3_S4_PKS4_S6_NS_24const_host_device_scalarIT4_EEPKT2_S6_PKS8_SC_S6_SE_S9_SC_S6_SE_SC_PS4_PS8_PSA_21rocsparse_index_base_SI_SI_SI_bbb,comdat
.Lfunc_end218:
	.size	_ZN9rocsparseL38bsrgemm_block_per_row_atomic_multipassILj256ELj64ELj4Eli21rocsparse_complex_numIfEEEv20rocsparse_direction_T3_S4_PKS4_S6_NS_24const_host_device_scalarIT4_EEPKT2_S6_PKS8_SC_S6_SE_S9_SC_S6_SE_SC_PS4_PS8_PSA_21rocsparse_index_base_SI_SI_SI_bbb, .Lfunc_end218-_ZN9rocsparseL38bsrgemm_block_per_row_atomic_multipassILj256ELj64ELj4Eli21rocsparse_complex_numIfEEEv20rocsparse_direction_T3_S4_PKS4_S6_NS_24const_host_device_scalarIT4_EEPKT2_S6_PKS8_SC_S6_SE_S9_SC_S6_SE_SC_PS4_PS8_PSA_21rocsparse_index_base_SI_SI_SI_bbb
                                        ; -- End function
	.section	.AMDGPU.csdata,"",@progbits
; Kernel info:
; codeLenInByte = 3944
; NumSgprs: 70
; NumVgprs: 61
; ScratchSize: 0
; MemoryBound: 0
; FloatMode: 240
; IeeeMode: 1
; LDSByteSize: 10500 bytes/workgroup (compile time only)
; SGPRBlocks: 8
; VGPRBlocks: 7
; NumSGPRsForWavesPerEU: 70
; NumVGPRsForWavesPerEU: 61
; Occupancy: 16
; WaveLimiterHint : 1
; COMPUTE_PGM_RSRC2:SCRATCH_EN: 0
; COMPUTE_PGM_RSRC2:USER_SGPR: 15
; COMPUTE_PGM_RSRC2:TRAP_HANDLER: 0
; COMPUTE_PGM_RSRC2:TGID_X_EN: 1
; COMPUTE_PGM_RSRC2:TGID_Y_EN: 0
; COMPUTE_PGM_RSRC2:TGID_Z_EN: 0
; COMPUTE_PGM_RSRC2:TIDIG_COMP_CNT: 0
	.section	.text._ZN9rocsparseL38bsrgemm_block_per_row_atomic_multipassILj256ELj128ELj4Eli21rocsparse_complex_numIfEEEv20rocsparse_direction_T3_S4_PKS4_S6_NS_24const_host_device_scalarIT4_EEPKT2_S6_PKS8_SC_S6_SE_S9_SC_S6_SE_SC_PS4_PS8_PSA_21rocsparse_index_base_SI_SI_SI_bbb,"axG",@progbits,_ZN9rocsparseL38bsrgemm_block_per_row_atomic_multipassILj256ELj128ELj4Eli21rocsparse_complex_numIfEEEv20rocsparse_direction_T3_S4_PKS4_S6_NS_24const_host_device_scalarIT4_EEPKT2_S6_PKS8_SC_S6_SE_S9_SC_S6_SE_SC_PS4_PS8_PSA_21rocsparse_index_base_SI_SI_SI_bbb,comdat
	.globl	_ZN9rocsparseL38bsrgemm_block_per_row_atomic_multipassILj256ELj128ELj4Eli21rocsparse_complex_numIfEEEv20rocsparse_direction_T3_S4_PKS4_S6_NS_24const_host_device_scalarIT4_EEPKT2_S6_PKS8_SC_S6_SE_S9_SC_S6_SE_SC_PS4_PS8_PSA_21rocsparse_index_base_SI_SI_SI_bbb ; -- Begin function _ZN9rocsparseL38bsrgemm_block_per_row_atomic_multipassILj256ELj128ELj4Eli21rocsparse_complex_numIfEEEv20rocsparse_direction_T3_S4_PKS4_S6_NS_24const_host_device_scalarIT4_EEPKT2_S6_PKS8_SC_S6_SE_S9_SC_S6_SE_SC_PS4_PS8_PSA_21rocsparse_index_base_SI_SI_SI_bbb
	.p2align	8
	.type	_ZN9rocsparseL38bsrgemm_block_per_row_atomic_multipassILj256ELj128ELj4Eli21rocsparse_complex_numIfEEEv20rocsparse_direction_T3_S4_PKS4_S6_NS_24const_host_device_scalarIT4_EEPKT2_S6_PKS8_SC_S6_SE_S9_SC_S6_SE_SC_PS4_PS8_PSA_21rocsparse_index_base_SI_SI_SI_bbb,@function
_ZN9rocsparseL38bsrgemm_block_per_row_atomic_multipassILj256ELj128ELj4Eli21rocsparse_complex_numIfEEEv20rocsparse_direction_T3_S4_PKS4_S6_NS_24const_host_device_scalarIT4_EEPKT2_S6_PKS8_SC_S6_SE_S9_SC_S6_SE_SC_PS4_PS8_PSA_21rocsparse_index_base_SI_SI_SI_bbb: ; @_ZN9rocsparseL38bsrgemm_block_per_row_atomic_multipassILj256ELj128ELj4Eli21rocsparse_complex_numIfEEEv20rocsparse_direction_T3_S4_PKS4_S6_NS_24const_host_device_scalarIT4_EEPKT2_S6_PKS8_SC_S6_SE_S9_SC_S6_SE_SC_PS4_PS8_PSA_21rocsparse_index_base_SI_SI_SI_bbb
; %bb.0:
	s_clause 0x5
	s_load_b32 s3, s[0:1], 0xa8
	s_load_b256 s[16:23], s[0:1], 0x88
	s_load_b256 s[24:31], s[0:1], 0x68
	;; [unrolled: 1-line block ×3, first 2 shown]
	s_load_b128 s[4:7], s[0:1], 0x10
	s_load_b256 s[44:51], s[0:1], 0x28
	s_mov_b32 s2, s15
	s_mov_b32 s35, 0
	;; [unrolled: 1-line block ×3, first 2 shown]
	s_waitcnt lgkmcnt(0)
	s_bitcmp1_b32 s3, 0
	s_cselect_b32 s8, -1, 0
	s_bitcmp1_b32 s3, 16
	s_cselect_b32 s9, -1, 0
	s_delay_alu instid0(SALU_CYCLE_1) | instskip(SKIP_2) | instid1(VALU_DEP_1)
	s_xor_b32 s9, s9, -1
	s_bitcmp0_b32 s3, 0
	v_cndmask_b32_e64 v1, 0, 1, s9
	v_cmp_ne_u32_e32 vcc_lo, 1, v1
	s_cbranch_scc1 .LBB219_5
; %bb.1:
	s_load_b64 s[34:35], s[0:1], 0x20
	s_and_b32 vcc_lo, exec_lo, vcc_lo
	s_waitcnt lgkmcnt(0)
	s_mov_b32 s33, s34
	s_cbranch_vccnz .LBB219_3
; %bb.2:
	s_load_b32 s33, s[34:35], 0x0
.LBB219_3:
	s_and_not1_b32 vcc_lo, exec_lo, s9
	s_cbranch_vccnz .LBB219_5
; %bb.4:
	s_load_b32 s35, s[34:35], 0x4
.LBB219_5:
	s_bitcmp1_b32 s3, 8
	s_mov_b32 s59, 0
	s_cselect_b32 s34, -1, 0
	s_bfe_u32 s3, s3, 0x10008
	s_mov_b32 s58, 0
	s_cmp_eq_u32 s3, 0
	s_cbranch_scc1 .LBB219_11
; %bb.6:
	v_cmp_ne_u32_e32 vcc_lo, 1, v1
	s_mov_b32 s58, s40
	s_cbranch_vccnz .LBB219_8
; %bb.7:
	s_load_b32 s58, s[40:41], 0x0
.LBB219_8:
	v_cmp_ne_u32_e32 vcc_lo, 1, v1
	s_cbranch_vccnz .LBB219_10
; %bb.9:
	s_load_b32 s41, s[40:41], 0x4
.LBB219_10:
	s_waitcnt lgkmcnt(0)
	s_mov_b32 s59, s41
.LBB219_11:
	s_cmp_eq_u64 s[6:7], 0
	s_mov_b64 s[40:41], 0
	s_cbranch_scc1 .LBB219_13
; %bb.12:
	s_load_b32 s3, s[4:5], 0x0
	s_waitcnt lgkmcnt(0)
	s_add_i32 s2, s3, s2
	s_mov_b32 s3, 0
	s_delay_alu instid0(SALU_CYCLE_1) | instskip(NEXT) | instid1(SALU_CYCLE_1)
	s_lshl_b64 s[2:3], s[2:3], 2
	s_add_u32 s2, s6, s2
	s_addc_u32 s3, s7, s3
	s_load_b32 s2, s[2:3], 0x0
.LBB219_13:
	s_and_not1_b32 vcc_lo, exec_lo, s8
	s_cbranch_vccz .LBB219_16
; %bb.14:
	s_and_not1_b32 vcc_lo, exec_lo, s8
	s_mov_b64 s[56:57], 0
	s_cbranch_vccz .LBB219_17
.LBB219_15:
	s_load_b128 s[52:55], s[0:1], 0x0
	s_waitcnt lgkmcnt(0)
	s_cmp_lt_i32 s53, 1
	s_cbranch_scc0 .LBB219_18
	s_branch .LBB219_107
.LBB219_16:
	s_waitcnt lgkmcnt(0)
	s_ashr_i32 s3, s2, 31
	s_delay_alu instid0(SALU_CYCLE_1) | instskip(NEXT) | instid1(SALU_CYCLE_1)
	s_lshl_b64 s[4:5], s[2:3], 3
	s_add_u32 s4, s44, s4
	s_addc_u32 s5, s45, s5
	s_load_b64 s[4:5], s[4:5], 0x0
	s_waitcnt lgkmcnt(0)
	s_sub_u32 s40, s4, s20
	s_subb_u32 s41, s5, 0
	s_and_not1_b32 vcc_lo, exec_lo, s8
	s_mov_b64 s[56:57], 0
	s_cbranch_vccnz .LBB219_15
.LBB219_17:
	s_waitcnt lgkmcnt(0)
	s_ashr_i32 s3, s2, 31
	s_delay_alu instid0(SALU_CYCLE_1) | instskip(NEXT) | instid1(SALU_CYCLE_1)
	s_lshl_b64 s[4:5], s[2:3], 3
	s_add_u32 s4, s44, s4
	s_addc_u32 s5, s45, s5
	s_load_b64 s[4:5], s[4:5], 0x8
	s_waitcnt lgkmcnt(0)
	s_sub_u32 s56, s4, s20
	s_subb_u32 s57, s5, 0
	s_load_b128 s[52:55], s[0:1], 0x0
	s_waitcnt lgkmcnt(0)
	s_cmp_lt_i32 s53, 1
	s_cbranch_scc1 .LBB219_107
.LBB219_18:
	s_ashr_i32 s3, s2, 31
	v_bfe_u32 v7, v0, 2, 2
	s_lshl_b64 s[6:7], s[2:3], 3
	v_dual_mov_b32 v1, 0 :: v_dual_and_b32 v6, 15, v0
	s_add_u32 s0, s28, s6
	s_addc_u32 s1, s29, s7
	v_mul_lo_u32 v2, v7, s54
	s_load_b64 s[4:5], s[0:1], 0x0
	v_dual_mov_b32 v3, v1 :: v_dual_and_b32 v28, 3, v0
	v_mov_b32_e32 v5, v1
	v_lshrrev_b32_e32 v27, 4, v0
	s_mov_b32 s45, 0
	s_delay_alu instid0(VALU_DEP_3)
	v_lshlrev_b32_e32 v10, 3, v28
	v_mul_lo_u32 v4, v28, s54
	v_lshlrev_b64 v[2:3], 3, v[2:3]
	v_max_i32_e32 v8, v28, v7
	v_lshlrev_b32_e32 v7, 3, v7
	v_cmp_gt_u32_e64 s0, 0x80, v0
	v_cmp_eq_u32_e64 s1, 0, v0
	v_lshl_or_b32 v38, v0, 2, 0x4800
	v_cmp_gt_i32_e64 s2, s54, v8
	v_cmp_le_i32_e64 s3, s54, v8
	v_lshlrev_b64 v[4:5], 3, v[4:5]
	v_add_co_u32 v8, vcc_lo, s48, v2
	v_add_co_ci_u32_e32 v9, vcc_lo, s49, v3, vcc_lo
	s_waitcnt lgkmcnt(0)
	s_sub_u32 s28, s4, s22
	s_delay_alu instid0(VALU_DEP_2)
	v_add_co_u32 v31, s4, v8, v10
	v_add_co_u32 v11, vcc_lo, s16, v4
	v_add_co_ci_u32_e64 v32, s4, 0, v9, s4
	v_add_co_ci_u32_e32 v12, vcc_lo, s17, v5, vcc_lo
	v_add_co_u32 v8, s4, s26, v4
	v_add_co_u32 v13, vcc_lo, s16, v2
	v_add_co_ci_u32_e64 v9, s4, s27, v5, s4
	v_add_co_ci_u32_e32 v14, vcc_lo, s17, v3, vcc_lo
	v_sub_co_u32 v34, s4, v27, s23
	v_add_co_u32 v11, vcc_lo, v11, v7
	v_sub_co_ci_u32_e64 v35, null, 0, 0, s4
	v_add_co_u32 v8, s4, v8, v7
	v_add_co_ci_u32_e32 v12, vcc_lo, 0, v12, vcc_lo
	v_add_co_u32 v13, vcc_lo, v13, v10
	v_add_co_ci_u32_e64 v9, s4, 0, v9, s4
	v_add_co_u32 v2, s4, s26, v2
	s_subb_u32 s29, s5, 0
	v_add_co_ci_u32_e32 v14, vcc_lo, 0, v14, vcc_lo
	s_cmp_eq_u32 s52, 0
	v_add_co_ci_u32_e64 v3, s4, s27, v3, s4
	s_mov_b32 s16, s45
	s_mov_b32 s17, s45
	v_and_b32_e32 v15, 0x7f, v0
	s_cselect_b32 vcc_lo, -1, 0
	v_add_co_u32 v2, s4, v2, v10
	v_dual_cndmask_b32 v46, v11, v13 :: v_dual_lshlrev_b32 v29, 3, v0
	v_cndmask_b32_e32 v45, v12, v14, vcc_lo
	v_mov_b32_e32 v11, s16
	v_add_co_ci_u32_e64 v3, s4, 0, v3, s4
	v_mov_b32_e32 v12, s17
	v_dual_mov_b32 v53, 0x80 :: v_dual_lshlrev_b32 v16, 2, v15
	v_cmp_eq_u32_e64 s4, 15, v6
	v_or_b32_e32 v6, 0x400, v0
	s_delay_alu instid0(VALU_DEP_3)
	v_dual_cndmask_b32 v9, v9, v3 :: v_dual_add_nc_u32 v40, 0x47f0, v16
	v_cndmask_b32_e32 v2, v8, v2, vcc_lo
	v_add_co_u32 v3, vcc_lo, v4, s38
	v_add_co_ci_u32_e32 v4, vcc_lo, s39, v5, vcc_lo
	v_add_co_u32 v5, s15, v10, s38
	v_cmp_gt_u32_e64 s12, 0x700, v6
	v_add_co_ci_u32_e64 v6, null, 0, s39, s15
	v_add_co_u32 v3, vcc_lo, v3, 4
	v_and_b32_e32 v33, 12, v0
	v_cmp_gt_u32_e64 s13, 0x200, v0
	v_cmp_gt_u32_e64 s14, 0x100, v0
	v_lshlrev_b32_e32 v0, 7, v27
	v_add_co_ci_u32_e32 v4, vcc_lo, 0, v4, vcc_lo
	v_add_co_u32 v5, vcc_lo, v5, 4
	v_cmp_lt_i64_e64 s9, s[40:41], s[56:57]
	s_cmp_lg_u32 s52, 0
	v_add_co_ci_u32_e32 v6, vcc_lo, 0, v6, vcc_lo
	v_add_co_u32 v17, s63, v15, -1
	v_or3_b32 v0, v0, v7, 0x4000
	v_add_co_u32 v7, vcc_lo, v2, 4
	s_cselect_b32 s52, -1, 0
	s_cmp_gt_i32 s54, 0
	v_add_co_ci_u32_e32 v8, vcc_lo, 0, v9, vcc_lo
	s_cselect_b32 s61, -1, 0
	s_add_u32 s42, s42, s6
	s_movk_i32 s15, 0x7e0
	v_add_co_u32 v48, vcc_lo, v34, 16
	s_addc_u32 s43, s43, s7
	s_and_b32 s64, s8, s9
	v_dual_mov_b32 v9, s28 :: v_dual_add_nc_u32 v42, 0x47c0, v16
	v_or_b32_e32 v30, 0x4000, v29
	v_or_b32_e32 v36, 0x4800, v16
	v_lshl_add_u32 v37, v17, 2, 0x4800
	v_cmp_ne_u32_e64 s5, 0, v15
	v_cmp_lt_u32_e64 s6, 1, v15
	v_dual_mov_b32 v52, 0 :: v_dual_add_nc_u32 v39, 0x47f8, v16
	v_cmp_lt_u32_e64 s7, 3, v15
	v_cmp_lt_u32_e64 s8, 7, v15
	v_add_nc_u32_e32 v41, 0x47e0, v16
	v_cmp_lt_u32_e64 s9, 15, v15
	v_cmp_lt_u32_e64 s10, 31, v15
	v_add_nc_u32_e32 v43, 0x4780, v16
	v_cmp_lt_u32_e64 s11, 63, v15
	v_dual_mov_b32 v51, 1 :: v_dual_add_nc_u32 v44, 0x4700, v16
	s_add_u32 s65, s50, 8
	v_and_or_b32 v47, v29, s15, 0x4000
	v_add_co_ci_u32_e32 v49, vcc_lo, 0, v35, vcc_lo
	v_lshl_or_b32 v50, v27, 2, 0x4800
	v_mov_b32_e32 v10, s29
	s_mul_i32 s44, s54, s54
	s_addc_u32 s66, s51, 0
	s_mov_b32 s55, s45
	s_add_u32 s67, s30, -4
	s_mov_b32 s60, s21
	s_mov_b32 s62, s23
	s_addc_u32 s68, s31, -1
	s_lshl_b64 s[26:27], s[44:45], 3
	s_lshl_b64 s[38:39], s[54:55], 3
	;; [unrolled: 1-line block ×3, first 2 shown]
	s_branch .LBB219_20
.LBB219_19:                             ;   in Loop: Header=BB219_20 Depth=1
	s_set_inst_prefetch_distance 0x2
	s_or_b32 exec_lo, exec_lo, s15
	s_waitcnt_vscnt null, 0x0
	s_barrier
	buffer_gl0_inv
	ds_load_b32 v52, v1 offset:18944
	v_ashrrev_i32_e32 v2, 31, v13
	v_add_co_u32 v9, s15, v9, v13
	s_waitcnt lgkmcnt(0)
	s_barrier
	s_delay_alu instid0(VALU_DEP_2)
	v_add_co_ci_u32_e64 v10, s15, v10, v2, s15
	buffer_gl0_inv
	v_cmp_le_i32_e32 vcc_lo, s53, v52
	v_add_nc_u32_e32 v53, 0x80, v52
	s_cbranch_vccnz .LBB219_107
.LBB219_20:                             ; =>This Loop Header: Depth=1
                                        ;     Child Loop BB219_33 Depth 2
                                        ;       Child Loop BB219_47 Depth 3
                                        ;         Child Loop BB219_56 Depth 4
                                        ;         Child Loop BB219_61 Depth 4
                                        ;     Child Loop BB219_72 Depth 2
                                        ;     Child Loop BB219_81 Depth 2
	;; [unrolled: 1-line block ×3, first 2 shown]
	s_and_saveexec_b32 s15, s0
	s_cbranch_execz .LBB219_22
; %bb.21:                               ;   in Loop: Header=BB219_20 Depth=1
	ds_store_b32 v38, v1
.LBB219_22:                             ;   in Loop: Header=BB219_20 Depth=1
	s_or_b32 exec_lo, exec_lo, s15
	ds_store_2addr_stride64_b64 v29, v[11:12], v[11:12] offset1:4
	ds_store_2addr_stride64_b64 v29, v[11:12], v[11:12] offset0:8 offset1:12
	ds_store_b64 v29, v[11:12] offset:8192
	s_and_saveexec_b32 s15, s12
	s_delay_alu instid0(SALU_CYCLE_1)
	s_xor_b32 s15, exec_lo, s15
	s_cbranch_execz .LBB219_28
; %bb.23:                               ;   in Loop: Header=BB219_20 Depth=1
	v_mov_b32_e32 v2, v1
	ds_store_b64 v29, v[1:2] offset:10240
	s_and_saveexec_b32 s16, s13
	s_delay_alu instid0(SALU_CYCLE_1)
	s_xor_b32 s16, exec_lo, s16
	s_cbranch_execz .LBB219_27
; %bb.24:                               ;   in Loop: Header=BB219_20 Depth=1
	ds_store_b64 v29, v[1:2] offset:12288
	s_and_saveexec_b32 s17, s14
	s_delay_alu instid0(SALU_CYCLE_1)
	s_xor_b32 s17, exec_lo, s17
	s_cbranch_execz .LBB219_26
; %bb.25:                               ;   in Loop: Header=BB219_20 Depth=1
	v_mov_b32_e32 v2, v1
	ds_store_b64 v29, v[1:2] offset:14336
.LBB219_26:                             ;   in Loop: Header=BB219_20 Depth=1
	s_or_b32 exec_lo, exec_lo, s17
.LBB219_27:                             ;   in Loop: Header=BB219_20 Depth=1
	s_delay_alu instid0(SALU_CYCLE_1)
	s_or_b32 exec_lo, exec_lo, s16
.LBB219_28:                             ;   in Loop: Header=BB219_20 Depth=1
	s_delay_alu instid0(SALU_CYCLE_1)
	s_or_b32 exec_lo, exec_lo, s15
	s_and_saveexec_b32 s15, s1
	s_cbranch_execz .LBB219_30
; %bb.29:                               ;   in Loop: Header=BB219_20 Depth=1
	v_mov_b32_e32 v2, s53
	ds_store_b32 v1, v2 offset:18944
.LBB219_30:                             ;   in Loop: Header=BB219_20 Depth=1
	s_or_b32 exec_lo, exec_lo, s15
	v_mov_b32_e32 v54, s53
	s_and_not1_b32 vcc_lo, exec_lo, s64
	s_waitcnt lgkmcnt(0)
	s_barrier
	buffer_gl0_inv
	s_cbranch_vccnz .LBB219_67
; %bb.31:                               ;   in Loop: Header=BB219_20 Depth=1
	v_cmp_ne_u32_e64 s15, 0, v52
	v_mov_b32_e32 v54, s53
	s_mov_b64 s[28:29], s[40:41]
	s_branch .LBB219_33
.LBB219_32:                             ;   in Loop: Header=BB219_33 Depth=2
	s_or_b32 exec_lo, exec_lo, s17
	s_add_u32 s28, s28, 16
	s_addc_u32 s29, s29, 0
	s_delay_alu instid0(SALU_CYCLE_1) | instskip(NEXT) | instid1(VALU_DEP_1)
	v_cmp_lt_i64_e64 s16, s[28:29], s[56:57]
	s_and_b32 vcc_lo, exec_lo, s16
	s_cbranch_vccz .LBB219_67
.LBB219_33:                             ;   Parent Loop BB219_20 Depth=1
                                        ; =>  This Loop Header: Depth=2
                                        ;       Child Loop BB219_47 Depth 3
                                        ;         Child Loop BB219_56 Depth 4
                                        ;         Child Loop BB219_61 Depth 4
	v_add_co_u32 v13, s16, s28, v27
	s_delay_alu instid0(VALU_DEP_1) | instskip(NEXT) | instid1(VALU_DEP_1)
	v_add_co_ci_u32_e64 v14, null, s29, 0, s16
	s_waitcnt_vscnt null, 0x0
	s_barrier
	buffer_gl0_inv
	v_cmp_gt_i64_e64 s16, s[56:57], v[13:14]
	s_delay_alu instid0(VALU_DEP_1)
	s_and_saveexec_b32 s17, s16
	s_cbranch_execz .LBB219_38
; %bb.34:                               ;   in Loop: Header=BB219_33 Depth=2
	s_and_saveexec_b32 s30, s3
	s_delay_alu instid0(SALU_CYCLE_1)
	s_xor_b32 s30, exec_lo, s30
	s_cbranch_execz .LBB219_36
; %bb.35:                               ;   in Loop: Header=BB219_33 Depth=2
	v_mov_b32_e32 v2, v1
	ds_store_b64 v30, v[1:2]
.LBB219_36:                             ;   in Loop: Header=BB219_33 Depth=2
	s_and_not1_saveexec_b32 s30, s30
	s_cbranch_execz .LBB219_38
; %bb.37:                               ;   in Loop: Header=BB219_33 Depth=2
	v_mad_u64_u32 v[15:16], null, v13, s44, 0
	s_delay_alu instid0(VALU_DEP_1) | instskip(NEXT) | instid1(VALU_DEP_1)
	v_mov_b32_e32 v2, v16
	v_mad_u64_u32 v[16:17], null, v14, s44, v[2:3]
	s_delay_alu instid0(VALU_DEP_1) | instskip(NEXT) | instid1(VALU_DEP_1)
	v_lshlrev_b64 v[15:16], 3, v[15:16]
	v_add_co_u32 v15, vcc_lo, v31, v15
	s_delay_alu instid0(VALU_DEP_2)
	v_add_co_ci_u32_e32 v16, vcc_lo, v32, v16, vcc_lo
	global_load_b64 v[15:16], v[15:16], off
	s_waitcnt vmcnt(0)
	ds_store_b64 v30, v[15:16]
.LBB219_38:                             ;   in Loop: Header=BB219_33 Depth=2
	s_or_b32 exec_lo, exec_lo, s17
	v_mov_b32_e32 v15, 0
	v_mov_b32_e32 v16, 0
	s_waitcnt lgkmcnt(0)
	s_barrier
	buffer_gl0_inv
	s_and_saveexec_b32 s30, s16
	s_cbranch_execz .LBB219_64
; %bb.39:                               ;   in Loop: Header=BB219_33 Depth=2
	v_lshlrev_b64 v[15:16], 2, v[13:14]
	s_delay_alu instid0(VALU_DEP_1) | instskip(NEXT) | instid1(VALU_DEP_2)
	v_add_co_u32 v15, vcc_lo, s46, v15
	v_add_co_ci_u32_e32 v16, vcc_lo, s47, v16, vcc_lo
	s_and_b32 vcc_lo, exec_lo, s15
	global_load_b32 v2, v[15:16], off
	s_waitcnt vmcnt(0)
	v_subrev_nc_u32_e32 v17, s20, v2
	s_delay_alu instid0(VALU_DEP_1)
	v_ashrrev_i32_e32 v18, 31, v17
	s_cbranch_vccz .LBB219_66
; %bb.40:                               ;   in Loop: Header=BB219_33 Depth=2
	v_lshlrev_b64 v[15:16], 3, v[13:14]
	s_delay_alu instid0(VALU_DEP_1) | instskip(NEXT) | instid1(VALU_DEP_2)
	v_add_co_u32 v15, vcc_lo, s18, v15
	v_add_co_ci_u32_e32 v16, vcc_lo, s19, v16, vcc_lo
	global_load_b64 v[15:16], v[15:16], off
	s_cbranch_execnz .LBB219_42
.LBB219_41:                             ;   in Loop: Header=BB219_33 Depth=2
	s_waitcnt vmcnt(0)
	s_delay_alu instid0(VALU_DEP_1) | instskip(NEXT) | instid1(VALU_DEP_1)
	v_lshlrev_b64 v[15:16], 3, v[17:18]
	v_add_co_u32 v15, vcc_lo, s50, v15
	s_delay_alu instid0(VALU_DEP_2)
	v_add_co_ci_u32_e32 v16, vcc_lo, s51, v16, vcc_lo
	global_load_b64 v[15:16], v[15:16], off
	s_waitcnt vmcnt(0)
	v_sub_co_u32 v15, vcc_lo, v15, s60
	v_subrev_co_ci_u32_e32 v16, vcc_lo, 0, v16, vcc_lo
.LBB219_42:                             ;   in Loop: Header=BB219_33 Depth=2
	v_lshlrev_b64 v[17:18], 3, v[17:18]
	s_mov_b32 s31, exec_lo
	s_delay_alu instid0(VALU_DEP_1) | instskip(NEXT) | instid1(VALU_DEP_2)
	v_add_co_u32 v17, vcc_lo, s65, v17
	v_add_co_ci_u32_e32 v18, vcc_lo, s66, v18, vcc_lo
	global_load_b64 v[17:18], v[17:18], off
	s_waitcnt vmcnt(0)
	v_sub_co_u32 v17, vcc_lo, v17, s60
	v_subrev_co_ci_u32_e32 v18, vcc_lo, 0, v18, vcc_lo
	s_delay_alu instid0(VALU_DEP_1)
	v_cmpx_lt_i64_e64 v[15:16], v[17:18]
	s_cbranch_execz .LBB219_63
; %bb.43:                               ;   in Loop: Header=BB219_33 Depth=2
	v_mad_u64_u32 v[19:20], null, s26, v15, v[3:4]
	v_mul_lo_u32 v2, s26, v16
	v_mul_lo_u32 v23, s27, v15
	v_mad_u64_u32 v[21:22], null, s26, v15, v[5:6]
	s_mov_b32 s45, 0
	s_delay_alu instid0(VALU_DEP_2) | instskip(NEXT) | instid1(VALU_DEP_2)
	v_add3_u32 v20, v23, v20, v2
	v_add3_u32 v22, v23, v22, v2
	v_dual_mov_b32 v24, v16 :: v_dual_mov_b32 v23, v15
	s_branch .LBB219_47
.LBB219_44:                             ;   in Loop: Header=BB219_47 Depth=3
	s_delay_alu instid0(VALU_DEP_1) | instskip(SKIP_1) | instid1(VALU_DEP_2)
	v_mul_f32_e64 v25, v56, -s35
	v_lshlrev_b32_e32 v2, 4, v2
	v_dual_mul_f32 v26, s33, v56 :: v_dual_fmac_f32 v25, s33, v55
	s_delay_alu instid0(VALU_DEP_2) | instskip(NEXT) | instid1(VALU_DEP_2)
	v_or3_b32 v2, v2, v33, v28
	v_fmac_f32_e32 v26, s35, v55
	s_delay_alu instid0(VALU_DEP_2)
	v_lshlrev_b32_e32 v2, 3, v2
	ds_add_f32 v2, v25
	ds_add_f32 v2, v26 offset:4
.LBB219_45:                             ;   in Loop: Header=BB219_47 Depth=3
	s_or_b32 exec_lo, exec_lo, s70
	s_delay_alu instid0(SALU_CYCLE_1)
	s_or_b32 s55, s55, exec_lo
.LBB219_46:                             ;   in Loop: Header=BB219_47 Depth=3
	s_or_b32 exec_lo, exec_lo, s69
	v_add_co_u32 v23, vcc_lo, v23, 1
	v_add_co_ci_u32_e32 v24, vcc_lo, 0, v24, vcc_lo
	v_add_co_u32 v19, s17, v19, s26
	s_xor_b32 s55, s55, -1
	s_delay_alu instid0(VALU_DEP_2)
	v_cmp_ge_i64_e32 vcc_lo, v[23:24], v[17:18]
	v_add_co_ci_u32_e64 v20, s17, s27, v20, s17
	s_or_b32 s17, s55, vcc_lo
	v_add_co_u32 v21, vcc_lo, v21, s26
	v_add_co_ci_u32_e32 v22, vcc_lo, s27, v22, vcc_lo
	s_and_b32 s17, exec_lo, s17
	s_delay_alu instid0(SALU_CYCLE_1) | instskip(NEXT) | instid1(SALU_CYCLE_1)
	s_or_b32 s45, s17, s45
	s_and_not1_b32 exec_lo, exec_lo, s45
	s_cbranch_execz .LBB219_62
.LBB219_47:                             ;   Parent Loop BB219_20 Depth=1
                                        ;     Parent Loop BB219_33 Depth=2
                                        ; =>    This Loop Header: Depth=3
                                        ;         Child Loop BB219_56 Depth 4
                                        ;         Child Loop BB219_61 Depth 4
	s_delay_alu instid0(VALU_DEP_1) | instskip(NEXT) | instid1(VALU_DEP_1)
	v_lshlrev_b64 v[25:26], 2, v[23:24]
                                        ; implicit-def: $sgpr55
	v_add_co_u32 v25, vcc_lo, s36, v25
	s_delay_alu instid0(VALU_DEP_2) | instskip(SKIP_3) | instid1(VALU_DEP_1)
	v_add_co_ci_u32_e32 v26, vcc_lo, s37, v26, vcc_lo
	global_load_b32 v2, v[25:26], off
	s_waitcnt vmcnt(0)
	v_subrev_nc_u32_e32 v2, s21, v2
	v_cmp_lt_i32_e64 s17, v2, v52
	v_cmp_ge_i32_e32 vcc_lo, v2, v53
	s_delay_alu instid0(VALU_DEP_2) | instskip(NEXT) | instid1(SALU_CYCLE_1)
	s_or_b32 s17, s17, vcc_lo
	s_and_saveexec_b32 s69, s17
	s_delay_alu instid0(SALU_CYCLE_1)
	s_xor_b32 s17, exec_lo, s69
	s_cbranch_execz .LBB219_51
; %bb.48:                               ;   in Loop: Header=BB219_47 Depth=3
	s_mov_b32 s55, -1
	s_and_saveexec_b32 s69, vcc_lo
; %bb.49:                               ;   in Loop: Header=BB219_47 Depth=3
	v_min_i32_e32 v54, v2, v54
	v_dual_mov_b32 v15, v23 :: v_dual_mov_b32 v16, v24
	s_xor_b32 s55, exec_lo, -1
; %bb.50:                               ;   in Loop: Header=BB219_47 Depth=3
	s_or_b32 exec_lo, exec_lo, s69
	s_delay_alu instid0(SALU_CYCLE_1)
	s_and_b32 s55, s55, exec_lo
                                        ; implicit-def: $vgpr2
.LBB219_51:                             ;   in Loop: Header=BB219_47 Depth=3
	s_and_not1_saveexec_b32 s69, s17
	s_cbranch_execz .LBB219_46
; %bb.52:                               ;   in Loop: Header=BB219_47 Depth=3
	v_sub_nc_u32_e32 v2, v2, v52
	s_delay_alu instid0(VALU_DEP_1)
	v_lshlrev_b32_e32 v25, 2, v2
	ds_store_b32 v25, v51 offset:18432
	s_and_saveexec_b32 s70, s2
	s_cbranch_execz .LBB219_45
; %bb.53:                               ;   in Loop: Header=BB219_47 Depth=3
	v_cndmask_b32_e64 v25, 0, 1, s61
	s_and_not1_b32 vcc_lo, exec_lo, s52
	s_delay_alu instid0(VALU_DEP_1)
	v_cmp_ne_u32_e64 s17, 1, v25
	s_cbranch_vccnz .LBB219_58
; %bb.54:                               ;   in Loop: Header=BB219_47 Depth=3
	v_dual_mov_b32 v55, 0 :: v_dual_mov_b32 v56, 0
	s_delay_alu instid0(VALU_DEP_2)
	s_and_b32 vcc_lo, exec_lo, s17
	s_mov_b32 s17, 0
	s_cbranch_vccnz .LBB219_57
; %bb.55:                               ;   in Loop: Header=BB219_47 Depth=3
	v_dual_mov_b32 v55, 0 :: v_dual_mov_b32 v26, v20
	v_dual_mov_b32 v25, v19 :: v_dual_mov_b32 v56, 0
	v_mov_b32_e32 v57, v0
	s_mov_b32 s71, s54
.LBB219_56:                             ;   Parent Loop BB219_20 Depth=1
                                        ;     Parent Loop BB219_33 Depth=2
                                        ;       Parent Loop BB219_47 Depth=3
                                        ; =>      This Inner Loop Header: Depth=4
	global_load_b64 v[58:59], v[25:26], off offset:-4
	ds_load_b64 v[60:61], v57
	v_add_nc_u32_e32 v57, 32, v57
	v_add_co_u32 v25, vcc_lo, v25, 8
	v_add_co_ci_u32_e32 v26, vcc_lo, 0, v26, vcc_lo
	s_add_i32 s71, s71, -1
	s_delay_alu instid0(SALU_CYCLE_1) | instskip(SKIP_3) | instid1(VALU_DEP_2)
	s_cmp_lg_u32 s71, 0
	s_waitcnt vmcnt(0) lgkmcnt(0)
	v_fmac_f32_e32 v56, v61, v58
	v_fmac_f32_e32 v55, v60, v58
	;; [unrolled: 1-line block ×3, first 2 shown]
	s_delay_alu instid0(VALU_DEP_2)
	v_fma_f32 v55, -v61, v59, v55
	s_cbranch_scc1 .LBB219_56
.LBB219_57:                             ;   in Loop: Header=BB219_47 Depth=3
	s_and_not1_b32 vcc_lo, exec_lo, s17
	s_cbranch_vccnz .LBB219_44
	s_branch .LBB219_59
.LBB219_58:                             ;   in Loop: Header=BB219_47 Depth=3
                                        ; implicit-def: $vgpr55
                                        ; implicit-def: $vgpr56
.LBB219_59:                             ;   in Loop: Header=BB219_47 Depth=3
	v_dual_mov_b32 v55, 0 :: v_dual_mov_b32 v56, 0
	s_and_not1_b32 vcc_lo, exec_lo, s61
	s_cbranch_vccnz .LBB219_44
; %bb.60:                               ;   in Loop: Header=BB219_47 Depth=3
	v_dual_mov_b32 v55, 0 :: v_dual_mov_b32 v26, v22
	v_dual_mov_b32 v57, v47 :: v_dual_mov_b32 v56, 0
	v_mov_b32_e32 v25, v21
	s_mov_b32 s17, s54
	.p2align	6
.LBB219_61:                             ;   Parent Loop BB219_20 Depth=1
                                        ;     Parent Loop BB219_33 Depth=2
                                        ;       Parent Loop BB219_47 Depth=3
                                        ; =>      This Inner Loop Header: Depth=4
	global_load_b64 v[58:59], v[25:26], off offset:-4
	ds_load_b64 v[60:61], v57
	v_add_co_u32 v25, vcc_lo, v25, s38
	v_add_co_ci_u32_e32 v26, vcc_lo, s39, v26, vcc_lo
	s_add_i32 s17, s17, -1
	v_add_nc_u32_e32 v57, 8, v57
	s_cmp_eq_u32 s17, 0
	s_waitcnt vmcnt(0) lgkmcnt(0)
	v_fmac_f32_e32 v55, v60, v58
	v_fmac_f32_e32 v56, v61, v58
	s_delay_alu instid0(VALU_DEP_2) | instskip(NEXT) | instid1(VALU_DEP_2)
	v_fma_f32 v55, -v61, v59, v55
	v_fmac_f32_e32 v56, v60, v59
	s_cbranch_scc0 .LBB219_61
	s_branch .LBB219_44
.LBB219_62:                             ;   in Loop: Header=BB219_33 Depth=2
	s_or_b32 exec_lo, exec_lo, s45
.LBB219_63:                             ;   in Loop: Header=BB219_33 Depth=2
	s_delay_alu instid0(SALU_CYCLE_1)
	s_or_b32 exec_lo, exec_lo, s31
.LBB219_64:                             ;   in Loop: Header=BB219_33 Depth=2
	s_delay_alu instid0(SALU_CYCLE_1)
	s_or_b32 exec_lo, exec_lo, s30
	s_waitcnt lgkmcnt(0)
	s_barrier
	buffer_gl0_inv
	s_and_saveexec_b32 s17, s16
	s_cbranch_execz .LBB219_32
; %bb.65:                               ;   in Loop: Header=BB219_33 Depth=2
	v_lshlrev_b64 v[13:14], 3, v[13:14]
	s_delay_alu instid0(VALU_DEP_1) | instskip(NEXT) | instid1(VALU_DEP_2)
	v_add_co_u32 v13, vcc_lo, s18, v13
	v_add_co_ci_u32_e32 v14, vcc_lo, s19, v14, vcc_lo
	global_store_b64 v[13:14], v[15:16], off
	s_branch .LBB219_32
.LBB219_66:                             ;   in Loop: Header=BB219_33 Depth=2
                                        ; implicit-def: $vgpr15_vgpr16
	s_branch .LBB219_41
.LBB219_67:                             ;   in Loop: Header=BB219_20 Depth=1
	s_and_not1_b32 vcc_lo, exec_lo, s34
	s_cbranch_vccnz .LBB219_79
; %bb.68:                               ;   in Loop: Header=BB219_20 Depth=1
	s_load_b128 s[28:31], s[42:43], 0x0
	s_mov_b32 s17, exec_lo
	s_waitcnt lgkmcnt(0)
	v_add_co_u32 v15, vcc_lo, s28, v34
	v_add_co_ci_u32_e32 v16, vcc_lo, s29, v35, vcc_lo
	s_sub_u32 s30, s30, s62
	s_subb_u32 s31, s31, 0
	s_delay_alu instid0(VALU_DEP_1) | instid1(SALU_CYCLE_1)
	v_cmpx_gt_i64_e64 s[30:31], v[15:16]
	s_cbranch_execz .LBB219_78
; %bb.69:                               ;   in Loop: Header=BB219_20 Depth=1
	v_lshlrev_b64 v[17:18], 2, v[15:16]
	v_mad_u64_u32 v[13:14], null, s26, v15, v[7:8]
	v_mul_lo_u32 v2, s26, v16
	v_mul_lo_u32 v19, s27, v15
	s_delay_alu instid0(VALU_DEP_4) | instskip(SKIP_2) | instid1(VALU_DEP_4)
	v_add_co_u32 v15, vcc_lo, s24, v17
	v_add_co_ci_u32_e32 v16, vcc_lo, s25, v18, vcc_lo
	v_add_co_u32 v17, vcc_lo, v48, s28
	v_add3_u32 v14, v19, v14, v2
	v_add_co_ci_u32_e32 v18, vcc_lo, s29, v49, vcc_lo
	s_mov_b32 s28, 0
	s_branch .LBB219_72
.LBB219_70:                             ;   in Loop: Header=BB219_72 Depth=2
	s_or_b32 exec_lo, exec_lo, s29
	s_delay_alu instid0(SALU_CYCLE_1)
	s_or_b32 s15, s15, exec_lo
.LBB219_71:                             ;   in Loop: Header=BB219_72 Depth=2
	s_or_b32 exec_lo, exec_lo, s16
	v_cmp_le_i64_e32 vcc_lo, s[30:31], v[17:18]
	s_xor_b32 s16, s15, -1
	v_add_co_u32 v15, s15, v15, 64
	s_delay_alu instid0(VALU_DEP_1)
	v_add_co_ci_u32_e64 v16, s15, 0, v16, s15
	s_or_b32 s15, s16, vcc_lo
	v_add_co_u32 v13, vcc_lo, v13, s48
	v_add_co_ci_u32_e32 v14, vcc_lo, s49, v14, vcc_lo
	v_add_co_u32 v17, vcc_lo, v17, 16
	v_add_co_ci_u32_e32 v18, vcc_lo, 0, v18, vcc_lo
	s_and_b32 s15, exec_lo, s15
	s_delay_alu instid0(SALU_CYCLE_1) | instskip(NEXT) | instid1(SALU_CYCLE_1)
	s_or_b32 s28, s15, s28
	s_and_not1_b32 exec_lo, exec_lo, s28
	s_cbranch_execz .LBB219_77
.LBB219_72:                             ;   Parent Loop BB219_20 Depth=1
                                        ; =>  This Inner Loop Header: Depth=2
	global_load_b32 v2, v[15:16], off
	s_waitcnt vmcnt(0)
	v_subrev_nc_u32_e32 v2, s23, v2
	s_delay_alu instid0(VALU_DEP_1) | instskip(SKIP_2) | instid1(VALU_DEP_2)
	v_cmp_lt_i32_e64 s15, v2, v52
	v_cmp_ge_i32_e64 s16, v2, v53
	v_cmp_lt_i32_e32 vcc_lo, v2, v53
	s_or_b32 s16, s15, s16
                                        ; implicit-def: $sgpr15
	s_delay_alu instid0(SALU_CYCLE_1) | instskip(NEXT) | instid1(SALU_CYCLE_1)
	s_and_saveexec_b32 s29, s16
	s_xor_b32 s16, exec_lo, s29
; %bb.73:                               ;   in Loop: Header=BB219_72 Depth=2
	v_min_i32_e32 v2, v2, v54
	s_and_b32 s15, vcc_lo, exec_lo
	s_delay_alu instid0(VALU_DEP_1)
	v_cndmask_b32_e32 v54, v2, v54, vcc_lo
                                        ; implicit-def: $vgpr2
; %bb.74:                               ;   in Loop: Header=BB219_72 Depth=2
	s_and_not1_saveexec_b32 s16, s16
	s_cbranch_execz .LBB219_71
; %bb.75:                               ;   in Loop: Header=BB219_72 Depth=2
	v_sub_nc_u32_e32 v2, v2, v52
	s_delay_alu instid0(VALU_DEP_1)
	v_lshlrev_b32_e32 v19, 2, v2
	ds_store_b32 v19, v51 offset:18432
	s_and_saveexec_b32 s29, s2
	s_cbranch_execz .LBB219_70
; %bb.76:                               ;   in Loop: Header=BB219_72 Depth=2
	global_load_b64 v[19:20], v[13:14], off offset:-4
	s_waitcnt vmcnt(0)
	v_mul_f32_e64 v21, v20, -s59
	v_lshlrev_b32_e32 v2, 4, v2
	s_delay_alu instid0(VALU_DEP_2) | instskip(NEXT) | instid1(VALU_DEP_2)
	v_dual_mul_f32 v20, s58, v20 :: v_dual_fmac_f32 v21, s58, v19
	v_or3_b32 v2, v2, v33, v28
	s_delay_alu instid0(VALU_DEP_2) | instskip(NEXT) | instid1(VALU_DEP_2)
	v_fmac_f32_e32 v20, s59, v19
	v_lshlrev_b32_e32 v2, 3, v2
	ds_add_f32 v2, v21
	ds_add_f32 v2, v20 offset:4
	s_branch .LBB219_70
.LBB219_77:                             ;   in Loop: Header=BB219_20 Depth=1
	s_or_b32 exec_lo, exec_lo, s28
.LBB219_78:                             ;   in Loop: Header=BB219_20 Depth=1
	s_delay_alu instid0(SALU_CYCLE_1)
	s_or_b32 exec_lo, exec_lo, s17
.LBB219_79:                             ;   in Loop: Header=BB219_20 Depth=1
	s_and_saveexec_b32 s15, s4
	s_cbranch_execz .LBB219_84
; %bb.80:                               ;   in Loop: Header=BB219_20 Depth=1
	s_mov_b32 s17, exec_lo
	s_brev_b32 s16, -2
.LBB219_81:                             ;   Parent Loop BB219_20 Depth=1
                                        ; =>  This Inner Loop Header: Depth=2
	s_ctz_i32_b32 s28, s17
	s_delay_alu instid0(SALU_CYCLE_1) | instskip(SKIP_1) | instid1(SALU_CYCLE_1)
	v_readlane_b32 s29, v54, s28
	s_lshl_b32 s28, 1, s28
	s_and_not1_b32 s17, s17, s28
	s_delay_alu instid0(VALU_DEP_1)
	s_min_i32 s16, s16, s29
	s_cmp_lg_u32 s17, 0
	s_cbranch_scc1 .LBB219_81
; %bb.82:                               ;   in Loop: Header=BB219_20 Depth=1
	v_mbcnt_lo_u32_b32 v2, exec_lo, 0
	s_mov_b32 s17, exec_lo
	s_delay_alu instid0(VALU_DEP_1)
	v_cmpx_eq_u32_e32 0, v2
	s_xor_b32 s17, exec_lo, s17
	s_cbranch_execz .LBB219_84
; %bb.83:                               ;   in Loop: Header=BB219_20 Depth=1
	v_mov_b32_e32 v2, s16
	ds_min_i32 v1, v2 offset:18944
.LBB219_84:                             ;   in Loop: Header=BB219_20 Depth=1
	s_or_b32 exec_lo, exec_lo, s15
	s_waitcnt lgkmcnt(0)
	s_waitcnt_vscnt null, 0x0
	s_barrier
	buffer_gl0_inv
	ds_load_b32 v2, v36
	s_waitcnt lgkmcnt(0)
	s_barrier
	buffer_gl0_inv
	s_and_saveexec_b32 s15, s5
	s_cbranch_execz .LBB219_86
; %bb.85:                               ;   in Loop: Header=BB219_20 Depth=1
	ds_load_b32 v13, v37
	s_waitcnt lgkmcnt(0)
	v_add_nc_u32_e32 v2, v13, v2
.LBB219_86:                             ;   in Loop: Header=BB219_20 Depth=1
	s_or_b32 exec_lo, exec_lo, s15
	s_barrier
	buffer_gl0_inv
	ds_store_b32 v36, v2
	s_waitcnt lgkmcnt(0)
	s_barrier
	buffer_gl0_inv
	s_and_saveexec_b32 s15, s6
	s_cbranch_execz .LBB219_88
; %bb.87:                               ;   in Loop: Header=BB219_20 Depth=1
	ds_load_b32 v13, v39
	s_waitcnt lgkmcnt(0)
	v_add_nc_u32_e32 v2, v13, v2
.LBB219_88:                             ;   in Loop: Header=BB219_20 Depth=1
	s_or_b32 exec_lo, exec_lo, s15
	s_barrier
	buffer_gl0_inv
	ds_store_b32 v36, v2
	;; [unrolled: 14-line block ×7, first 2 shown]
	s_waitcnt lgkmcnt(0)
	s_barrier
	buffer_gl0_inv
	ds_load_b32 v13, v1 offset:18940
	v_mov_b32_e32 v14, 0
	s_and_saveexec_b32 s15, s63
	s_cbranch_execz .LBB219_100
; %bb.99:                               ;   in Loop: Header=BB219_20 Depth=1
	ds_load_b32 v14, v37
.LBB219_100:                            ;   in Loop: Header=BB219_20 Depth=1
	s_or_b32 exec_lo, exec_lo, s15
	s_waitcnt lgkmcnt(0)
	v_cmp_eq_u32_e32 vcc_lo, v2, v14
	s_barrier
	buffer_gl0_inv
	s_and_b32 s16, s63, vcc_lo
	s_delay_alu instid0(SALU_CYCLE_1)
	s_and_saveexec_b32 s15, s16
	s_cbranch_execz .LBB219_102
; %bb.101:                              ;   in Loop: Header=BB219_20 Depth=1
	ds_store_b32 v36, v1
.LBB219_102:                            ;   in Loop: Header=BB219_20 Depth=1
	s_or_b32 exec_lo, exec_lo, s15
	v_add_co_u32 v2, vcc_lo, v9, -1
	v_add_co_ci_u32_e32 v14, vcc_lo, -1, v10, vcc_lo
	v_dual_mov_b32 v16, v50 :: v_dual_add_nc_u32 v15, s22, v52
	v_dual_mov_b32 v17, v29 :: v_dual_mov_b32 v18, v27
	s_mov_b32 s15, 0
	s_waitcnt lgkmcnt(0)
	s_barrier
	buffer_gl0_inv
	s_set_inst_prefetch_distance 0x1
	s_branch .LBB219_104
	.p2align	6
.LBB219_103:                            ;   in Loop: Header=BB219_104 Depth=2
	s_or_b32 exec_lo, exec_lo, s16
	v_add_nc_u32_e32 v19, 16, v18
	v_cmp_lt_u32_e32 vcc_lo, 0x6f, v18
	v_add_nc_u32_e32 v17, 0x800, v17
	v_add_nc_u32_e32 v16, 64, v16
	s_delay_alu instid0(VALU_DEP_4) | instskip(SKIP_1) | instid1(SALU_CYCLE_1)
	v_mov_b32_e32 v18, v19
	s_or_b32 s15, vcc_lo, s15
	s_and_not1_b32 exec_lo, exec_lo, s15
	s_cbranch_execz .LBB219_19
.LBB219_104:                            ;   Parent Loop BB219_20 Depth=1
                                        ; =>  This Inner Loop Header: Depth=2
	ds_load_b32 v19, v16
	s_mov_b32 s16, exec_lo
	s_waitcnt lgkmcnt(0)
	v_cmpx_ne_u32_e32 0, v19
	s_cbranch_execz .LBB219_103
; %bb.105:                              ;   in Loop: Header=BB219_104 Depth=2
	v_ashrrev_i32_e32 v20, 31, v19
	v_add_co_u32 v21, vcc_lo, v9, v19
	v_add_nc_u32_e32 v23, v15, v18
	s_delay_alu instid0(VALU_DEP_3) | instskip(NEXT) | instid1(VALU_DEP_1)
	v_add_co_ci_u32_e32 v22, vcc_lo, v10, v20, vcc_lo
	v_lshlrev_b64 v[21:22], 2, v[21:22]
	s_delay_alu instid0(VALU_DEP_1) | instskip(NEXT) | instid1(VALU_DEP_2)
	v_add_co_u32 v21, vcc_lo, s67, v21
	v_add_co_ci_u32_e32 v22, vcc_lo, s68, v22, vcc_lo
	global_store_b32 v[21:22], v23, off
	s_and_b32 exec_lo, exec_lo, s2
	s_cbranch_execz .LBB219_103
; %bb.106:                              ;   in Loop: Header=BB219_104 Depth=2
	v_add_co_u32 v21, vcc_lo, v2, v19
	v_add_co_ci_u32_e32 v23, vcc_lo, v14, v20, vcc_lo
	s_delay_alu instid0(VALU_DEP_2) | instskip(NEXT) | instid1(VALU_DEP_1)
	v_mad_u64_u32 v[19:20], null, v21, s44, 0
	v_mad_u64_u32 v[21:22], null, v23, s44, v[20:21]
	ds_load_b64 v[22:23], v17
	v_mov_b32_e32 v20, v21
	s_delay_alu instid0(VALU_DEP_1) | instskip(NEXT) | instid1(VALU_DEP_1)
	v_lshlrev_b64 v[19:20], 3, v[19:20]
	v_add_co_u32 v19, vcc_lo, v46, v19
	s_delay_alu instid0(VALU_DEP_2)
	v_add_co_ci_u32_e32 v20, vcc_lo, v45, v20, vcc_lo
	s_waitcnt lgkmcnt(0)
	global_store_b64 v[19:20], v[22:23], off
	s_branch .LBB219_103
.LBB219_107:
	s_endpgm
	.section	.rodata,"a",@progbits
	.p2align	6, 0x0
	.amdhsa_kernel _ZN9rocsparseL38bsrgemm_block_per_row_atomic_multipassILj256ELj128ELj4Eli21rocsparse_complex_numIfEEEv20rocsparse_direction_T3_S4_PKS4_S6_NS_24const_host_device_scalarIT4_EEPKT2_S6_PKS8_SC_S6_SE_S9_SC_S6_SE_SC_PS4_PS8_PSA_21rocsparse_index_base_SI_SI_SI_bbb
		.amdhsa_group_segment_fixed_size 18948
		.amdhsa_private_segment_fixed_size 0
		.amdhsa_kernarg_size 172
		.amdhsa_user_sgpr_count 15
		.amdhsa_user_sgpr_dispatch_ptr 0
		.amdhsa_user_sgpr_queue_ptr 0
		.amdhsa_user_sgpr_kernarg_segment_ptr 1
		.amdhsa_user_sgpr_dispatch_id 0
		.amdhsa_user_sgpr_private_segment_size 0
		.amdhsa_wavefront_size32 1
		.amdhsa_uses_dynamic_stack 0
		.amdhsa_enable_private_segment 0
		.amdhsa_system_sgpr_workgroup_id_x 1
		.amdhsa_system_sgpr_workgroup_id_y 0
		.amdhsa_system_sgpr_workgroup_id_z 0
		.amdhsa_system_sgpr_workgroup_info 0
		.amdhsa_system_vgpr_workitem_id 0
		.amdhsa_next_free_vgpr 62
		.amdhsa_next_free_sgpr 72
		.amdhsa_reserve_vcc 1
		.amdhsa_float_round_mode_32 0
		.amdhsa_float_round_mode_16_64 0
		.amdhsa_float_denorm_mode_32 3
		.amdhsa_float_denorm_mode_16_64 3
		.amdhsa_dx10_clamp 1
		.amdhsa_ieee_mode 1
		.amdhsa_fp16_overflow 0
		.amdhsa_workgroup_processor_mode 1
		.amdhsa_memory_ordered 1
		.amdhsa_forward_progress 0
		.amdhsa_shared_vgpr_count 0
		.amdhsa_exception_fp_ieee_invalid_op 0
		.amdhsa_exception_fp_denorm_src 0
		.amdhsa_exception_fp_ieee_div_zero 0
		.amdhsa_exception_fp_ieee_overflow 0
		.amdhsa_exception_fp_ieee_underflow 0
		.amdhsa_exception_fp_ieee_inexact 0
		.amdhsa_exception_int_div_zero 0
	.end_amdhsa_kernel
	.section	.text._ZN9rocsparseL38bsrgemm_block_per_row_atomic_multipassILj256ELj128ELj4Eli21rocsparse_complex_numIfEEEv20rocsparse_direction_T3_S4_PKS4_S6_NS_24const_host_device_scalarIT4_EEPKT2_S6_PKS8_SC_S6_SE_S9_SC_S6_SE_SC_PS4_PS8_PSA_21rocsparse_index_base_SI_SI_SI_bbb,"axG",@progbits,_ZN9rocsparseL38bsrgemm_block_per_row_atomic_multipassILj256ELj128ELj4Eli21rocsparse_complex_numIfEEEv20rocsparse_direction_T3_S4_PKS4_S6_NS_24const_host_device_scalarIT4_EEPKT2_S6_PKS8_SC_S6_SE_S9_SC_S6_SE_SC_PS4_PS8_PSA_21rocsparse_index_base_SI_SI_SI_bbb,comdat
.Lfunc_end219:
	.size	_ZN9rocsparseL38bsrgemm_block_per_row_atomic_multipassILj256ELj128ELj4Eli21rocsparse_complex_numIfEEEv20rocsparse_direction_T3_S4_PKS4_S6_NS_24const_host_device_scalarIT4_EEPKT2_S6_PKS8_SC_S6_SE_S9_SC_S6_SE_SC_PS4_PS8_PSA_21rocsparse_index_base_SI_SI_SI_bbb, .Lfunc_end219-_ZN9rocsparseL38bsrgemm_block_per_row_atomic_multipassILj256ELj128ELj4Eli21rocsparse_complex_numIfEEEv20rocsparse_direction_T3_S4_PKS4_S6_NS_24const_host_device_scalarIT4_EEPKT2_S6_PKS8_SC_S6_SE_S9_SC_S6_SE_SC_PS4_PS8_PSA_21rocsparse_index_base_SI_SI_SI_bbb
                                        ; -- End function
	.section	.AMDGPU.csdata,"",@progbits
; Kernel info:
; codeLenInByte = 4140
; NumSgprs: 74
; NumVgprs: 62
; ScratchSize: 0
; MemoryBound: 0
; FloatMode: 240
; IeeeMode: 1
; LDSByteSize: 18948 bytes/workgroup (compile time only)
; SGPRBlocks: 9
; VGPRBlocks: 7
; NumSGPRsForWavesPerEU: 74
; NumVGPRsForWavesPerEU: 62
; Occupancy: 12
; WaveLimiterHint : 1
; COMPUTE_PGM_RSRC2:SCRATCH_EN: 0
; COMPUTE_PGM_RSRC2:USER_SGPR: 15
; COMPUTE_PGM_RSRC2:TRAP_HANDLER: 0
; COMPUTE_PGM_RSRC2:TGID_X_EN: 1
; COMPUTE_PGM_RSRC2:TGID_Y_EN: 0
; COMPUTE_PGM_RSRC2:TGID_Z_EN: 0
; COMPUTE_PGM_RSRC2:TIDIG_COMP_CNT: 0
	.section	.text._ZN9rocsparseL23bsrgemm_fill_wf_per_rowILj256ELj64ELj8ELj137ELj8Eli21rocsparse_complex_numIfEEEv20rocsparse_direction_T5_S4_S4_PKS4_S6_NS_24const_host_device_scalarIT6_EEPKT4_S6_PKS8_SC_S6_SE_S9_SC_S6_SE_SC_PS4_PS8_21rocsparse_index_base_SH_SH_SH_bbb,"axG",@progbits,_ZN9rocsparseL23bsrgemm_fill_wf_per_rowILj256ELj64ELj8ELj137ELj8Eli21rocsparse_complex_numIfEEEv20rocsparse_direction_T5_S4_S4_PKS4_S6_NS_24const_host_device_scalarIT6_EEPKT4_S6_PKS8_SC_S6_SE_S9_SC_S6_SE_SC_PS4_PS8_21rocsparse_index_base_SH_SH_SH_bbb,comdat
	.globl	_ZN9rocsparseL23bsrgemm_fill_wf_per_rowILj256ELj64ELj8ELj137ELj8Eli21rocsparse_complex_numIfEEEv20rocsparse_direction_T5_S4_S4_PKS4_S6_NS_24const_host_device_scalarIT6_EEPKT4_S6_PKS8_SC_S6_SE_S9_SC_S6_SE_SC_PS4_PS8_21rocsparse_index_base_SH_SH_SH_bbb ; -- Begin function _ZN9rocsparseL23bsrgemm_fill_wf_per_rowILj256ELj64ELj8ELj137ELj8Eli21rocsparse_complex_numIfEEEv20rocsparse_direction_T5_S4_S4_PKS4_S6_NS_24const_host_device_scalarIT6_EEPKT4_S6_PKS8_SC_S6_SE_S9_SC_S6_SE_SC_PS4_PS8_21rocsparse_index_base_SH_SH_SH_bbb
	.p2align	8
	.type	_ZN9rocsparseL23bsrgemm_fill_wf_per_rowILj256ELj64ELj8ELj137ELj8Eli21rocsparse_complex_numIfEEEv20rocsparse_direction_T5_S4_S4_PKS4_S6_NS_24const_host_device_scalarIT6_EEPKT4_S6_PKS8_SC_S6_SE_S9_SC_S6_SE_SC_PS4_PS8_21rocsparse_index_base_SH_SH_SH_bbb,@function
_ZN9rocsparseL23bsrgemm_fill_wf_per_rowILj256ELj64ELj8ELj137ELj8Eli21rocsparse_complex_numIfEEEv20rocsparse_direction_T5_S4_S4_PKS4_S6_NS_24const_host_device_scalarIT6_EEPKT4_S6_PKS8_SC_S6_SE_S9_SC_S6_SE_SC_PS4_PS8_21rocsparse_index_base_SH_SH_SH_bbb: ; @_ZN9rocsparseL23bsrgemm_fill_wf_per_rowILj256ELj64ELj8ELj137ELj8Eli21rocsparse_complex_numIfEEEv20rocsparse_direction_T5_S4_S4_PKS4_S6_NS_24const_host_device_scalarIT6_EEPKT4_S6_PKS8_SC_S6_SE_S9_SC_S6_SE_SC_PS4_PS8_21rocsparse_index_base_SH_SH_SH_bbb
; %bb.0:
	s_clause 0x6
	s_load_b32 s13, s[0:1], 0xa0
	s_load_b256 s[4:11], s[0:1], 0x68
	s_load_b256 s[16:23], s[0:1], 0x48
	s_load_b128 s[44:47], s[0:1], 0x10
	s_load_b256 s[24:31], s[0:1], 0x28
	s_load_b64 s[2:3], s[0:1], 0x88
	s_load_b128 s[36:39], s[0:1], 0x90
	s_mov_b32 s35, 0
	s_mov_b32 s48, 0
	s_waitcnt lgkmcnt(0)
	s_bitcmp1_b32 s13, 0
	s_cselect_b32 s12, -1, 0
	s_bitcmp1_b32 s13, 16
	s_cselect_b32 s14, -1, 0
	s_delay_alu instid0(SALU_CYCLE_1) | instskip(SKIP_2) | instid1(VALU_DEP_1)
	s_xor_b32 s14, s14, -1
	s_bitcmp0_b32 s13, 0
	v_cndmask_b32_e64 v1, 0, 1, s14
	v_cmp_ne_u32_e32 vcc_lo, 1, v1
	s_cbranch_scc1 .LBB220_5
; %bb.1:
	s_load_b64 s[34:35], s[0:1], 0x20
	s_and_b32 vcc_lo, exec_lo, vcc_lo
	s_waitcnt lgkmcnt(0)
	s_mov_b32 s48, s34
	s_cbranch_vccnz .LBB220_3
; %bb.2:
	s_load_b32 s48, s[34:35], 0x0
.LBB220_3:
	s_and_not1_b32 vcc_lo, exec_lo, s14
	s_cbranch_vccnz .LBB220_5
; %bb.4:
	s_load_b32 s35, s[34:35], 0x4
.LBB220_5:
	s_bitcmp1_b32 s13, 8
	s_mov_b32 s34, 0
	s_cselect_b32 s49, -1, 0
	s_bfe_u32 s13, s13, 0x10008
	s_mov_b32 s33, 0
	s_cmp_eq_u32 s13, 0
	s_cbranch_scc1 .LBB220_11
; %bb.6:
	v_cmp_ne_u32_e32 vcc_lo, 1, v1
	s_mov_b32 s33, s20
	s_cbranch_vccnz .LBB220_8
; %bb.7:
	s_load_b32 s33, s[20:21], 0x0
.LBB220_8:
	v_cmp_ne_u32_e32 vcc_lo, 1, v1
	s_cbranch_vccnz .LBB220_10
; %bb.9:
	s_load_b32 s21, s[20:21], 0x4
.LBB220_10:
	s_waitcnt lgkmcnt(0)
	s_mov_b32 s34, s21
.LBB220_11:
	s_load_b128 s[40:43], s[0:1], 0x0
	v_lshrrev_b32_e32 v3, 6, v0
	v_and_b32_e32 v32, 63, v0
	s_mov_b32 s0, exec_lo
	s_delay_alu instid0(VALU_DEP_2) | instskip(NEXT) | instid1(VALU_DEP_2)
	v_lshl_or_b32 v27, v3, 5, 0x4000
	v_cmpx_gt_u32_e32 8, v32
	s_cbranch_execz .LBB220_13
; %bb.12:
	s_delay_alu instid0(VALU_DEP_2)
	v_lshl_add_u32 v1, v32, 2, v27
	s_waitcnt lgkmcnt(0)
	v_mov_b32_e32 v2, s42
	ds_store_b32 v1, v2
.LBB220_13:
	s_or_b32 exec_lo, exec_lo, s0
	v_dual_mov_b32 v1, 0 :: v_dual_lshlrev_b32 v28, 12, v3
	v_or_b32_e32 v4, 0xffffffc0, v32
	s_mov_b32 s0, 0
	s_delay_alu instid0(VALU_DEP_2) | instskip(NEXT) | instid1(VALU_DEP_3)
	v_lshl_or_b32 v5, v32, 3, v28
	v_mov_b32_e32 v2, v1
.LBB220_14:                             ; =>This Inner Loop Header: Depth=1
	s_delay_alu instid0(VALU_DEP_3) | instskip(SKIP_4) | instid1(SALU_CYCLE_1)
	v_add_nc_u32_e32 v4, 64, v4
	ds_store_b64 v5, v[1:2]
	v_add_nc_u32_e32 v5, 0x200, v5
	v_cmp_lt_u32_e32 vcc_lo, 0x1bf, v4
	s_or_b32 s0, vcc_lo, s0
	s_and_not1_b32 exec_lo, exec_lo, s0
	s_cbranch_execnz .LBB220_14
; %bb.15:
	s_or_b32 exec_lo, exec_lo, s0
	v_lshl_or_b32 v1, s15, 2, v3
	s_waitcnt lgkmcnt(0)
	s_barrier
	buffer_gl0_inv
	s_mov_b32 s0, exec_lo
	v_cmpx_gt_i32_e64 s41, v1
	s_cbranch_execz .LBB220_71
; %bb.16:
	s_cmp_eq_u64 s[46:47], 0
	s_cbranch_scc1 .LBB220_18
; %bb.17:
	s_load_b32 s0, s[44:45], 0x0
	s_waitcnt lgkmcnt(0)
	v_add_nc_u32_e32 v1, s0, v1
	s_delay_alu instid0(VALU_DEP_1) | instskip(NEXT) | instid1(VALU_DEP_1)
	v_ashrrev_i32_e32 v2, 31, v1
	v_lshlrev_b64 v[1:2], 2, v[1:2]
	s_delay_alu instid0(VALU_DEP_1) | instskip(NEXT) | instid1(VALU_DEP_2)
	v_add_co_u32 v1, vcc_lo, s46, v1
	v_add_co_ci_u32_e32 v2, vcc_lo, s47, v2, vcc_lo
	global_load_b32 v1, v[1:2], off
.LBB220_18:
	s_waitcnt vmcnt(0)
	v_ashrrev_i32_e32 v2, 31, v1
	v_lshlrev_b32_e32 v3, 6, v0
	v_and_b32_e32 v29, 7, v0
	v_lshrrev_b32_e32 v30, 3, v32
	s_and_not1_b32 vcc_lo, exec_lo, s12
	v_lshlrev_b64 v[5:6], 3, v[1:2]
	v_and_b32_e32 v31, 0x3000, v3
	s_mul_i32 s12, s43, s43
	s_cbranch_vccnz .LBB220_48
; %bb.19:
	s_delay_alu instid0(VALU_DEP_2) | instskip(NEXT) | instid1(VALU_DEP_3)
	v_add_co_u32 v1, vcc_lo, s24, v5
	v_add_co_ci_u32_e32 v2, vcc_lo, s25, v6, vcc_lo
	s_mov_b32 s20, exec_lo
	global_load_b128 v[1:4], v[1:2], off
	s_waitcnt vmcnt(0)
	v_cmpx_lt_i64_e64 v[1:2], v[3:4]
	s_cbranch_execz .LBB220_47
; %bb.20:
	v_sub_co_u32 v7, vcc_lo, v1, s36
	v_subrev_co_ci_u32_e32 v8, vcc_lo, 0, v2, vcc_lo
	v_sub_co_u32 v9, vcc_lo, v3, s36
	s_delay_alu instid0(VALU_DEP_3)
	v_mad_u64_u32 v[1:2], null, v7, s12, 0
	v_subrev_co_ci_u32_e32 v10, vcc_lo, 0, v4, vcc_lo
	v_max_i32_e32 v13, v29, v30
	v_mov_b32_e32 v4, 0
	s_mov_b32 s13, 0
	s_cmp_lg_u32 s40, 0
	s_delay_alu instid0(VALU_DEP_4)
	v_mad_u64_u32 v[11:12], null, v8, s12, v[2:3]
	v_mul_lo_u32 v3, v29, s43
	v_cmp_gt_i32_e64 s0, s43, v13
	v_mul_lo_u32 v12, v30, s43
	s_mov_b32 s44, s43
	s_cselect_b32 s24, -1, 0
	s_cmp_gt_i32 s43, 0
	s_delay_alu instid0(VALU_DEP_4) | instskip(SKIP_3) | instid1(VALU_DEP_3)
	v_dual_mov_b32 v2, v11 :: v_dual_lshlrev_b32 v11, 3, v30
	v_mov_b32_e32 v13, v4
	v_lshlrev_b64 v[3:4], 3, v[3:4]
	s_mov_b32 s45, s13
	v_lshlrev_b64 v[1:2], 3, v[1:2]
	s_mov_b32 s21, s37
	v_lshlrev_b64 v[15:16], 3, v[12:13]
	s_cselect_b32 s25, -1, 0
	s_lshl_b64 s[14:15], s[12:13], 3
	s_delay_alu instid0(VALU_DEP_2) | instskip(SKIP_1) | instid1(VALU_DEP_2)
	v_add_co_u32 v11, vcc_lo, v1, v11
	v_add_co_ci_u32_e32 v14, vcc_lo, 0, v2, vcc_lo
	v_add_co_u32 v11, vcc_lo, v11, s28
	s_delay_alu instid0(VALU_DEP_2) | instskip(SKIP_2) | instid1(VALU_DEP_4)
	v_add_co_ci_u32_e32 v12, vcc_lo, s29, v14, vcc_lo
	v_add_co_u32 v3, vcc_lo, v3, s18
	v_add_co_ci_u32_e32 v4, vcc_lo, s19, v4, vcc_lo
	v_add_co_u32 v11, vcc_lo, v11, 4
	s_delay_alu instid0(VALU_DEP_4) | instskip(NEXT) | instid1(VALU_DEP_4)
	v_add_co_ci_u32_e32 v12, vcc_lo, 0, v12, vcc_lo
	v_add_co_u32 v13, vcc_lo, v3, 4
	s_delay_alu instid0(VALU_DEP_4) | instskip(SKIP_3) | instid1(VALU_DEP_3)
	v_add_co_ci_u32_e32 v14, vcc_lo, 0, v4, vcc_lo
	v_add_co_u32 v1, vcc_lo, v1, v15
	v_add_co_ci_u32_e32 v2, vcc_lo, v2, v16, vcc_lo
	v_lshlrev_b32_e32 v3, 3, v29
	v_add_co_u32 v1, vcc_lo, v1, s28
	s_delay_alu instid0(VALU_DEP_3) | instskip(NEXT) | instid1(VALU_DEP_3)
	v_add_co_ci_u32_e32 v2, vcc_lo, s29, v2, vcc_lo
	v_add_co_u32 v3, s1, v3, s18
	s_delay_alu instid0(VALU_DEP_1) | instskip(NEXT) | instid1(VALU_DEP_4)
	v_add_co_ci_u32_e64 v4, null, 0, s19, s1
	v_add_co_u32 v15, vcc_lo, v1, 4
	s_delay_alu instid0(VALU_DEP_4) | instskip(NEXT) | instid1(VALU_DEP_4)
	v_add_co_ci_u32_e32 v16, vcc_lo, 0, v2, vcc_lo
	v_add_co_u32 v17, vcc_lo, v3, 4
	s_delay_alu instid0(VALU_DEP_4)
	v_add_co_ci_u32_e32 v18, vcc_lo, 0, v4, vcc_lo
	s_lshl_b64 s[18:19], s[44:45], 3
	s_branch .LBB220_22
.LBB220_21:                             ;   in Loop: Header=BB220_22 Depth=1
	s_or_b32 exec_lo, exec_lo, s28
	v_add_co_u32 v7, vcc_lo, v7, 1
	v_add_co_ci_u32_e32 v8, vcc_lo, 0, v8, vcc_lo
	v_add_co_u32 v11, vcc_lo, v11, s14
	v_add_co_ci_u32_e32 v12, vcc_lo, s15, v12, vcc_lo
	s_delay_alu instid0(VALU_DEP_3) | instskip(SKIP_1) | instid1(VALU_DEP_1)
	v_cmp_ge_i64_e32 vcc_lo, v[7:8], v[9:10]
	v_add_co_u32 v15, s1, v15, s14
	v_add_co_ci_u32_e64 v16, s1, s15, v16, s1
	s_or_b32 s13, vcc_lo, s13
	s_delay_alu instid0(SALU_CYCLE_1)
	s_and_not1_b32 exec_lo, exec_lo, s13
	s_cbranch_execz .LBB220_47
.LBB220_22:                             ; =>This Loop Header: Depth=1
                                        ;     Child Loop BB220_25 Depth 2
                                        ;       Child Loop BB220_29 Depth 3
                                        ;       Child Loop BB220_34 Depth 3
	;; [unrolled: 1-line block ×3, first 2 shown]
	v_lshlrev_b64 v[1:2], 2, v[7:8]
	s_mov_b32 s28, exec_lo
	s_delay_alu instid0(VALU_DEP_1) | instskip(NEXT) | instid1(VALU_DEP_2)
	v_add_co_u32 v1, vcc_lo, s26, v1
	v_add_co_ci_u32_e32 v2, vcc_lo, s27, v2, vcc_lo
	global_load_b32 v1, v[1:2], off
	s_waitcnt vmcnt(0)
	v_subrev_nc_u32_e32 v1, s36, v1
	s_delay_alu instid0(VALU_DEP_1) | instskip(NEXT) | instid1(VALU_DEP_1)
	v_ashrrev_i32_e32 v2, 31, v1
	v_lshlrev_b64 v[1:2], 3, v[1:2]
	s_delay_alu instid0(VALU_DEP_1) | instskip(NEXT) | instid1(VALU_DEP_2)
	v_add_co_u32 v1, vcc_lo, s30, v1
	v_add_co_ci_u32_e32 v2, vcc_lo, s31, v2, vcc_lo
	global_load_b128 v[1:4], v[1:2], off
	s_waitcnt vmcnt(0)
	v_cmpx_lt_i64_e64 v[1:2], v[3:4]
	s_cbranch_execz .LBB220_21
; %bb.23:                               ;   in Loop: Header=BB220_22 Depth=1
	v_sub_co_u32 v1, vcc_lo, v1, s21
	v_subrev_co_ci_u32_e32 v2, vcc_lo, 0, v2, vcc_lo
	v_sub_co_u32 v3, vcc_lo, v3, s21
	s_delay_alu instid0(VALU_DEP_3) | instskip(NEXT) | instid1(VALU_DEP_3)
	v_mad_u64_u32 v[19:20], null, s14, v1, v[13:14]
	v_mul_lo_u32 v23, s14, v2
	v_mul_lo_u32 v24, s15, v1
	v_mad_u64_u32 v[21:22], null, s14, v1, v[17:18]
	v_subrev_co_ci_u32_e32 v4, vcc_lo, 0, v4, vcc_lo
	s_mov_b32 s29, 0
	s_delay_alu instid0(VALU_DEP_3) | instskip(NEXT) | instid1(VALU_DEP_3)
	v_add3_u32 v20, v24, v20, v23
	v_add3_u32 v22, v24, v22, v23
	s_branch .LBB220_25
.LBB220_24:                             ;   in Loop: Header=BB220_25 Depth=2
	s_or_b32 exec_lo, exec_lo, s41
	v_add_co_u32 v1, vcc_lo, v1, 1
	v_add_co_ci_u32_e32 v2, vcc_lo, 0, v2, vcc_lo
	v_add_co_u32 v19, vcc_lo, v19, s14
	v_add_co_ci_u32_e32 v20, vcc_lo, s15, v20, vcc_lo
	s_delay_alu instid0(VALU_DEP_3) | instskip(SKIP_1) | instid1(VALU_DEP_1)
	v_cmp_ge_i64_e32 vcc_lo, v[1:2], v[3:4]
	v_add_co_u32 v21, s1, v21, s14
	v_add_co_ci_u32_e64 v22, s1, s15, v22, s1
	s_or_b32 s29, vcc_lo, s29
	s_delay_alu instid0(SALU_CYCLE_1)
	s_and_not1_b32 exec_lo, exec_lo, s29
	s_cbranch_execz .LBB220_21
.LBB220_25:                             ;   Parent Loop BB220_22 Depth=1
                                        ; =>  This Loop Header: Depth=2
                                        ;       Child Loop BB220_29 Depth 3
                                        ;       Child Loop BB220_34 Depth 3
	;; [unrolled: 1-line block ×3, first 2 shown]
	s_and_saveexec_b32 s41, s0
	s_cbranch_execz .LBB220_24
; %bb.26:                               ;   in Loop: Header=BB220_25 Depth=2
	v_lshlrev_b64 v[23:24], 2, v[1:2]
	s_delay_alu instid0(VALU_DEP_1) | instskip(NEXT) | instid1(VALU_DEP_2)
	v_add_co_u32 v23, vcc_lo, s16, v23
	v_add_co_ci_u32_e32 v24, vcc_lo, s17, v24, vcc_lo
	s_and_not1_b32 vcc_lo, exec_lo, s24
	global_load_b32 v33, v[23:24], off
	v_cndmask_b32_e64 v23, 0, 1, s25
	s_delay_alu instid0(VALU_DEP_1)
	v_cmp_ne_u32_e64 s1, 1, v23
	s_cbranch_vccnz .LBB220_31
; %bb.27:                               ;   in Loop: Header=BB220_25 Depth=2
	v_dual_mov_b32 v34, 0 :: v_dual_mov_b32 v35, 0
	s_delay_alu instid0(VALU_DEP_2)
	s_and_b32 vcc_lo, exec_lo, s1
	s_mov_b32 s1, 0
	s_cbranch_vccnz .LBB220_30
; %bb.28:                               ;   in Loop: Header=BB220_25 Depth=2
	v_mov_b32_e32 v24, v20
	v_dual_mov_b32 v26, v12 :: v_dual_mov_b32 v35, 0
	v_dual_mov_b32 v34, 0 :: v_dual_mov_b32 v23, v19
	v_mov_b32_e32 v25, v11
	s_mov_b32 s44, s43
	.p2align	6
.LBB220_29:                             ;   Parent Loop BB220_22 Depth=1
                                        ;     Parent Loop BB220_25 Depth=2
                                        ; =>    This Inner Loop Header: Depth=3
	global_load_b64 v[36:37], v[25:26], off offset:-4
	global_load_b64 v[38:39], v[23:24], off offset:-4
	v_add_co_u32 v25, vcc_lo, v25, s18
	v_add_co_ci_u32_e32 v26, vcc_lo, s19, v26, vcc_lo
	v_add_co_u32 v23, vcc_lo, v23, 8
	v_add_co_ci_u32_e32 v24, vcc_lo, 0, v24, vcc_lo
	s_add_i32 s44, s44, -1
	s_delay_alu instid0(SALU_CYCLE_1) | instskip(SKIP_3) | instid1(VALU_DEP_2)
	s_cmp_lg_u32 s44, 0
	s_waitcnt vmcnt(0)
	v_fmac_f32_e32 v34, v36, v38
	v_fmac_f32_e32 v35, v37, v38
	v_fma_f32 v34, -v37, v39, v34
	s_delay_alu instid0(VALU_DEP_2)
	v_fmac_f32_e32 v35, v36, v39
	s_cbranch_scc1 .LBB220_29
.LBB220_30:                             ;   in Loop: Header=BB220_25 Depth=2
	s_and_not1_b32 vcc_lo, exec_lo, s1
	s_cbranch_vccz .LBB220_32
	s_branch .LBB220_35
.LBB220_31:                             ;   in Loop: Header=BB220_25 Depth=2
                                        ; implicit-def: $vgpr34
                                        ; implicit-def: $vgpr35
.LBB220_32:                             ;   in Loop: Header=BB220_25 Depth=2
	v_dual_mov_b32 v34, 0 :: v_dual_mov_b32 v35, 0
	s_and_not1_b32 vcc_lo, exec_lo, s25
	s_cbranch_vccnz .LBB220_35
; %bb.33:                               ;   in Loop: Header=BB220_25 Depth=2
	v_mov_b32_e32 v24, v22
	v_dual_mov_b32 v26, v16 :: v_dual_mov_b32 v35, 0
	v_dual_mov_b32 v34, 0 :: v_dual_mov_b32 v23, v21
	v_mov_b32_e32 v25, v15
	s_mov_b32 s1, s43
	.p2align	6
.LBB220_34:                             ;   Parent Loop BB220_22 Depth=1
                                        ;     Parent Loop BB220_25 Depth=2
                                        ; =>    This Inner Loop Header: Depth=3
	global_load_b64 v[36:37], v[25:26], off offset:-4
	global_load_b64 v[38:39], v[23:24], off offset:-4
	v_add_co_u32 v25, vcc_lo, v25, 8
	v_add_co_ci_u32_e32 v26, vcc_lo, 0, v26, vcc_lo
	v_add_co_u32 v23, vcc_lo, v23, s18
	v_add_co_ci_u32_e32 v24, vcc_lo, s19, v24, vcc_lo
	s_add_i32 s1, s1, -1
	s_delay_alu instid0(SALU_CYCLE_1) | instskip(SKIP_3) | instid1(VALU_DEP_2)
	s_cmp_eq_u32 s1, 0
	s_waitcnt vmcnt(0)
	v_fmac_f32_e32 v34, v36, v38
	v_fmac_f32_e32 v35, v37, v38
	v_fma_f32 v34, -v37, v39, v34
	s_delay_alu instid0(VALU_DEP_2)
	v_fmac_f32_e32 v35, v36, v39
	s_cbranch_scc0 .LBB220_34
.LBB220_35:                             ;   in Loop: Header=BB220_25 Depth=2
	s_delay_alu instid0(VALU_DEP_1)
	v_mul_f32_e64 v23, v35, -s35
	v_mul_f32_e32 v24, s48, v35
	s_waitcnt vmcnt(0)
	v_subrev_nc_u32_e32 v25, s37, v33
	s_mov_b32 s1, 0
	v_fmac_f32_e32 v23, s48, v34
	v_fmac_f32_e32 v24, s35, v34
	s_delay_alu instid0(VALU_DEP_3)
	v_and_b32_e32 v26, 7, v25
	s_branch .LBB220_37
.LBB220_36:                             ;   in Loop: Header=BB220_37 Depth=3
	s_or_b32 exec_lo, exec_lo, s44
	s_xor_b32 s44, s45, -1
	s_delay_alu instid0(SALU_CYCLE_1) | instskip(NEXT) | instid1(SALU_CYCLE_1)
	s_and_b32 s44, exec_lo, s44
	s_or_b32 s1, s44, s1
	s_delay_alu instid0(SALU_CYCLE_1)
	s_and_not1_b32 exec_lo, exec_lo, s1
	s_cbranch_execz .LBB220_24
.LBB220_37:                             ;   Parent Loop BB220_22 Depth=1
                                        ;     Parent Loop BB220_25 Depth=2
                                        ; =>    This Inner Loop Header: Depth=3
	s_delay_alu instid0(VALU_DEP_1)
	v_lshl_add_u32 v33, v26, 2, v27
	s_mov_b32 s44, exec_lo
                                        ; implicit-def: $sgpr45
	ds_load_b32 v34, v33
	s_waitcnt lgkmcnt(0)
	v_cmpx_ne_u32_e64 v34, v25
	s_xor_b32 s44, exec_lo, s44
	s_cbranch_execz .LBB220_45
; %bb.38:                               ;   in Loop: Header=BB220_37 Depth=3
	s_mov_b32 s46, exec_lo
                                        ; implicit-def: $sgpr45
	v_cmpx_ne_u32_e64 s42, v34
	s_xor_b32 s46, exec_lo, s46
; %bb.39:                               ;   in Loop: Header=BB220_37 Depth=3
	v_add_nc_u32_e32 v26, 1, v26
	s_mov_b32 s45, -1
                                        ; implicit-def: $vgpr33
	s_delay_alu instid0(VALU_DEP_1)
	v_and_b32_e32 v26, 7, v26
; %bb.40:                               ;   in Loop: Header=BB220_37 Depth=3
	s_and_not1_saveexec_b32 s46, s46
	s_cbranch_execz .LBB220_44
; %bb.41:                               ;   in Loop: Header=BB220_37 Depth=3
	v_mov_b32_e32 v34, s42
	s_mov_b32 s50, -1
	s_mov_b32 s47, exec_lo
	ds_cmpstore_rtn_b32 v33, v33, v25, v34
	s_waitcnt lgkmcnt(0)
	v_cmpx_eq_u32_e64 s42, v33
	s_cbranch_execz .LBB220_43
; %bb.42:                               ;   in Loop: Header=BB220_37 Depth=3
	v_lshlrev_b32_e32 v33, 3, v32
	s_xor_b32 s50, exec_lo, -1
	s_delay_alu instid0(VALU_DEP_1) | instskip(NEXT) | instid1(VALU_DEP_1)
	v_lshl_or_b32 v33, v26, 9, v33
	v_add_nc_u32_e32 v33, v31, v33
	ds_add_f32 v33, v23
	ds_add_f32 v33, v24 offset:4
.LBB220_43:                             ;   in Loop: Header=BB220_37 Depth=3
	s_or_b32 exec_lo, exec_lo, s47
	s_delay_alu instid0(SALU_CYCLE_1) | instskip(SKIP_1) | instid1(SALU_CYCLE_1)
	s_and_not1_b32 s45, s45, exec_lo
	s_and_b32 s47, s50, exec_lo
	s_or_b32 s45, s45, s47
.LBB220_44:                             ;   in Loop: Header=BB220_37 Depth=3
	s_or_b32 exec_lo, exec_lo, s46
	s_delay_alu instid0(SALU_CYCLE_1)
	s_and_b32 s45, s45, exec_lo
.LBB220_45:                             ;   in Loop: Header=BB220_37 Depth=3
	s_and_not1_saveexec_b32 s44, s44
	s_cbranch_execz .LBB220_36
; %bb.46:                               ;   in Loop: Header=BB220_37 Depth=3
	v_lshlrev_b32_e32 v33, 3, v32
	s_and_not1_b32 s45, s45, exec_lo
	s_delay_alu instid0(VALU_DEP_1) | instskip(NEXT) | instid1(VALU_DEP_1)
	v_lshl_or_b32 v33, v26, 9, v33
	v_add_nc_u32_e32 v33, v31, v33
	ds_add_f32 v33, v23
	ds_add_f32 v33, v24 offset:4
	s_branch .LBB220_36
.LBB220_47:
	s_or_b32 exec_lo, exec_lo, s20
.LBB220_48:
	s_delay_alu instid0(SALU_CYCLE_1)
	s_and_not1_b32 vcc_lo, exec_lo, s49
	s_waitcnt lgkmcnt(0)
	s_barrier
	buffer_gl0_inv
	s_cbranch_vccnz .LBB220_66
; %bb.49:
	v_add_co_u32 v1, vcc_lo, s22, v5
	v_add_co_ci_u32_e32 v2, vcc_lo, s23, v6, vcc_lo
	s_mov_b32 s1, exec_lo
	global_load_b128 v[1:4], v[1:2], off
	s_waitcnt vmcnt(0)
	v_cmpx_lt_i64_e64 v[1:2], v[3:4]
	s_cbranch_execz .LBB220_65
; %bb.50:
	v_mul_lo_u32 v7, v29, s43
	v_dual_mov_b32 v8, 0 :: v_dual_lshlrev_b32 v13, 3, v29
	v_sub_co_u32 v3, vcc_lo, v3, s39
	v_subrev_co_ci_u32_e32 v4, vcc_lo, 0, v4, vcc_lo
	v_lshlrev_b32_e32 v12, 3, v30
	s_delay_alu instid0(VALU_DEP_4) | instskip(SKIP_4) | instid1(VALU_DEP_3)
	v_lshlrev_b64 v[9:10], 3, v[7:8]
	v_mul_lo_u32 v7, v30, s43
	v_max_i32_e32 v11, v29, v30
	s_cmp_eq_u32 s40, 0
	s_cselect_b32 s0, -1, 0
	v_add_co_u32 v9, vcc_lo, s6, v9
	v_add_co_ci_u32_e32 v10, vcc_lo, s7, v10, vcc_lo
	s_delay_alu instid0(VALU_DEP_4) | instskip(NEXT) | instid1(VALU_DEP_1)
	v_lshlrev_b64 v[7:8], 3, v[7:8]
	v_add_co_u32 v7, vcc_lo, s6, v7
	s_delay_alu instid0(VALU_DEP_2) | instskip(SKIP_2) | instid1(VALU_DEP_4)
	v_add_co_ci_u32_e32 v8, vcc_lo, s7, v8, vcc_lo
	v_add_co_u32 v9, vcc_lo, v9, v12
	v_add_co_ci_u32_e32 v10, vcc_lo, 0, v10, vcc_lo
	v_add_co_u32 v12, vcc_lo, v7, v13
	s_delay_alu instid0(VALU_DEP_4) | instskip(SKIP_3) | instid1(VALU_DEP_4)
	v_add_co_ci_u32_e32 v7, vcc_lo, 0, v8, vcc_lo
	v_sub_co_u32 v1, vcc_lo, v1, s39
	v_subrev_co_ci_u32_e32 v2, vcc_lo, 0, v2, vcc_lo
	v_cmp_gt_i32_e32 vcc_lo, s43, v11
	v_cndmask_b32_e64 v7, v10, v7, s0
	v_cndmask_b32_e64 v8, v9, v12, s0
	v_lshlrev_b32_e32 v9, 3, v32
	s_mov_b32 s6, 0
	s_branch .LBB220_52
.LBB220_51:                             ;   in Loop: Header=BB220_52 Depth=1
	s_or_b32 exec_lo, exec_lo, s7
	v_add_co_u32 v1, s0, v1, 1
	s_delay_alu instid0(VALU_DEP_1) | instskip(NEXT) | instid1(VALU_DEP_1)
	v_add_co_ci_u32_e64 v2, s0, 0, v2, s0
	v_cmp_ge_i64_e64 s0, v[1:2], v[3:4]
	s_delay_alu instid0(VALU_DEP_1) | instskip(NEXT) | instid1(SALU_CYCLE_1)
	s_or_b32 s6, s0, s6
	s_and_not1_b32 exec_lo, exec_lo, s6
	s_cbranch_execz .LBB220_65
.LBB220_52:                             ; =>This Loop Header: Depth=1
                                        ;     Child Loop BB220_55 Depth 2
	s_and_saveexec_b32 s7, vcc_lo
	s_cbranch_execz .LBB220_51
; %bb.53:                               ;   in Loop: Header=BB220_52 Depth=1
	v_mad_u64_u32 v[10:11], null, v1, s12, 0
	s_mov_b32 s13, 0
	s_delay_alu instid0(VALU_DEP_1) | instskip(NEXT) | instid1(VALU_DEP_1)
	v_mad_u64_u32 v[12:13], null, v2, s12, v[11:12]
	v_mov_b32_e32 v11, v12
	v_lshlrev_b64 v[12:13], 2, v[1:2]
	s_delay_alu instid0(VALU_DEP_2) | instskip(NEXT) | instid1(VALU_DEP_1)
	v_lshlrev_b64 v[10:11], 3, v[10:11]
	v_add_co_u32 v10, s0, v8, v10
	s_delay_alu instid0(VALU_DEP_1) | instskip(NEXT) | instid1(VALU_DEP_4)
	v_add_co_ci_u32_e64 v11, s0, v7, v11, s0
	v_add_co_u32 v12, s0, s4, v12
	s_delay_alu instid0(VALU_DEP_1)
	v_add_co_ci_u32_e64 v13, s0, s5, v13, s0
	global_load_b64 v[14:15], v[10:11], off
	global_load_b32 v12, v[12:13], off
	s_waitcnt vmcnt(1)
	v_mul_f32_e64 v10, v15, -s34
	v_mul_f32_e32 v11, s33, v15
	s_waitcnt vmcnt(0)
	v_subrev_nc_u32_e32 v12, s39, v12
	s_delay_alu instid0(VALU_DEP_3) | instskip(NEXT) | instid1(VALU_DEP_3)
	v_fmac_f32_e32 v10, s33, v14
	v_fmac_f32_e32 v11, s34, v14
	s_delay_alu instid0(VALU_DEP_3)
	v_and_b32_e32 v13, 7, v12
	s_branch .LBB220_55
.LBB220_54:                             ;   in Loop: Header=BB220_55 Depth=2
	s_or_b32 exec_lo, exec_lo, s0
	s_xor_b32 s0, s15, -1
	s_delay_alu instid0(SALU_CYCLE_1) | instskip(NEXT) | instid1(SALU_CYCLE_1)
	s_and_b32 s0, exec_lo, s0
	s_or_b32 s13, s0, s13
	s_delay_alu instid0(SALU_CYCLE_1)
	s_and_not1_b32 exec_lo, exec_lo, s13
	s_cbranch_execz .LBB220_51
.LBB220_55:                             ;   Parent Loop BB220_52 Depth=1
                                        ; =>  This Inner Loop Header: Depth=2
	s_delay_alu instid0(VALU_DEP_1)
	v_lshl_add_u32 v14, v13, 2, v27
	s_mov_b32 s14, exec_lo
                                        ; implicit-def: $sgpr15
	ds_load_b32 v15, v14
	s_waitcnt lgkmcnt(0)
	v_cmpx_ne_u32_e64 v15, v12
	s_xor_b32 s14, exec_lo, s14
	s_cbranch_execz .LBB220_63
; %bb.56:                               ;   in Loop: Header=BB220_55 Depth=2
	v_cmp_ne_u32_e64 s0, s42, v15
                                        ; implicit-def: $sgpr15
	s_delay_alu instid0(VALU_DEP_1) | instskip(NEXT) | instid1(SALU_CYCLE_1)
	s_and_saveexec_b32 s16, s0
	s_xor_b32 s0, exec_lo, s16
; %bb.57:                               ;   in Loop: Header=BB220_55 Depth=2
	v_add_nc_u32_e32 v13, 1, v13
	s_mov_b32 s15, -1
                                        ; implicit-def: $vgpr14
	s_delay_alu instid0(VALU_DEP_1)
	v_and_b32_e32 v13, 7, v13
; %bb.58:                               ;   in Loop: Header=BB220_55 Depth=2
	s_and_not1_saveexec_b32 s16, s0
	s_cbranch_execz .LBB220_62
; %bb.59:                               ;   in Loop: Header=BB220_55 Depth=2
	v_mov_b32_e32 v15, s42
	s_mov_b32 s18, -1
	s_mov_b32 s17, exec_lo
	ds_cmpstore_rtn_b32 v14, v14, v12, v15
	s_waitcnt lgkmcnt(0)
	v_cmpx_eq_u32_e64 s42, v14
	s_cbranch_execz .LBB220_61
; %bb.60:                               ;   in Loop: Header=BB220_55 Depth=2
	v_lshl_or_b32 v14, v13, 9, v9
	s_xor_b32 s18, exec_lo, -1
	s_delay_alu instid0(VALU_DEP_1)
	v_add_nc_u32_e32 v14, v31, v14
	ds_add_f32 v14, v10
	ds_add_f32 v14, v11 offset:4
.LBB220_61:                             ;   in Loop: Header=BB220_55 Depth=2
	s_or_b32 exec_lo, exec_lo, s17
	s_delay_alu instid0(SALU_CYCLE_1) | instskip(SKIP_1) | instid1(SALU_CYCLE_1)
	s_and_not1_b32 s0, s15, exec_lo
	s_and_b32 s15, s18, exec_lo
	s_or_b32 s15, s0, s15
.LBB220_62:                             ;   in Loop: Header=BB220_55 Depth=2
	s_or_b32 exec_lo, exec_lo, s16
	s_delay_alu instid0(SALU_CYCLE_1)
	s_and_b32 s15, s15, exec_lo
.LBB220_63:                             ;   in Loop: Header=BB220_55 Depth=2
	s_and_not1_saveexec_b32 s0, s14
	s_cbranch_execz .LBB220_54
; %bb.64:                               ;   in Loop: Header=BB220_55 Depth=2
	v_lshl_or_b32 v14, v13, 9, v9
	s_and_not1_b32 s15, s15, exec_lo
	s_delay_alu instid0(VALU_DEP_1)
	v_add_nc_u32_e32 v14, v31, v14
	ds_add_f32 v14, v10
	ds_add_f32 v14, v11 offset:4
	s_branch .LBB220_54
.LBB220_65:
	s_or_b32 exec_lo, exec_lo, s1
.LBB220_66:
	v_add_co_u32 v1, vcc_lo, s8, v5
	v_add_co_ci_u32_e32 v2, vcc_lo, s9, v6, vcc_lo
	s_waitcnt lgkmcnt(0)
	s_barrier
	buffer_gl0_inv
	global_load_b64 v[4:5], v[1:2], off
	v_mul_lo_u32 v1, v30, s43
	v_dual_mov_b32 v2, 0 :: v_dual_and_b32 v7, 56, v0
	v_max_i32_e32 v3, v29, v30
	v_lshlrev_b32_e32 v6, 3, v29
	s_cmp_eq_u32 s40, 0
	s_mov_b32 s1, 0
	s_cselect_b32 s0, -1, 0
	s_delay_alu instid0(VALU_DEP_4) | instskip(SKIP_3) | instid1(VALU_DEP_4)
	v_lshlrev_b64 v[0:1], 3, v[1:2]
	v_cmp_gt_i32_e32 vcc_lo, s43, v3
	v_cndmask_b32_e64 v2, v6, v7, s0
	v_cndmask_b32_e64 v3, v30, v29, s0
	v_add_co_u32 v0, s0, s2, v0
	s_delay_alu instid0(VALU_DEP_1) | instskip(NEXT) | instid1(VALU_DEP_3)
	v_add_co_ci_u32_e64 v1, s0, s3, v1, s0
	v_or_b32_e32 v7, v3, v2
	s_delay_alu instid0(VALU_DEP_3) | instskip(NEXT) | instid1(VALU_DEP_1)
	v_add_co_u32 v2, s0, v0, v6
	v_add_co_ci_u32_e64 v3, s0, 0, v1, s0
	s_delay_alu instid0(VALU_DEP_3) | instskip(SKIP_2) | instid1(VALU_DEP_1)
	v_lshl_add_u32 v6, v7, 3, v28
	s_waitcnt vmcnt(0)
	v_sub_co_u32 v4, s0, v4, s38
	v_subrev_co_ci_u32_e64 v5, s0, 0, v5, s0
	s_branch .LBB220_68
.LBB220_67:                             ;   in Loop: Header=BB220_68 Depth=1
	s_or_b32 exec_lo, exec_lo, s2
	v_add_nc_u32_e32 v6, 0x200, v6
	s_add_i32 s1, s1, 4
	s_delay_alu instid0(SALU_CYCLE_1)
	s_cmp_lg_u32 s1, 32
	s_cbranch_scc0 .LBB220_71
.LBB220_68:                             ; =>This Inner Loop Header: Depth=1
	v_add_nc_u32_e32 v0, s1, v27
	s_mov_b32 s2, exec_lo
	ds_load_b32 v7, v0
	s_waitcnt lgkmcnt(0)
	v_cmpx_gt_i32_e64 s42, v7
	s_cbranch_execz .LBB220_67
; %bb.69:                               ;   in Loop: Header=BB220_68 Depth=1
	ds_load_b128 v[8:11], v27
	ds_load_b128 v[12:15], v27 offset:16
	s_waitcnt lgkmcnt(1)
	v_cmp_gt_i32_e64 s0, v7, v8
	s_delay_alu instid0(VALU_DEP_1) | instskip(SKIP_1) | instid1(VALU_DEP_1)
	v_cndmask_b32_e64 v0, 0, 1, s0
	v_cmp_gt_i32_e64 s0, v7, v9
	v_cndmask_b32_e64 v1, 0, 1, s0
	s_delay_alu instid0(VALU_DEP_3) | instskip(NEXT) | instid1(VALU_DEP_1)
	v_add_co_u32 v0, s0, v4, v0
	v_add_co_ci_u32_e64 v8, s0, 0, v5, s0
	v_cmp_gt_i32_e64 s0, v7, v10
	v_add_nc_u32_e32 v10, s38, v7
	s_delay_alu instid0(VALU_DEP_2) | instskip(SKIP_1) | instid1(VALU_DEP_1)
	v_cndmask_b32_e64 v9, 0, 1, s0
	v_add_co_u32 v0, s0, v0, v1
	v_add_co_ci_u32_e64 v1, s0, 0, v8, s0
	v_cmp_gt_i32_e64 s0, v7, v11
	s_delay_alu instid0(VALU_DEP_1) | instskip(NEXT) | instid1(VALU_DEP_4)
	v_cndmask_b32_e64 v8, 0, 1, s0
	v_add_co_u32 v0, s0, v0, v9
	s_delay_alu instid0(VALU_DEP_1) | instskip(SKIP_2) | instid1(VALU_DEP_1)
	v_add_co_ci_u32_e64 v1, s0, 0, v1, s0
	s_waitcnt lgkmcnt(0)
	v_cmp_gt_i32_e64 s0, v7, v12
	v_cndmask_b32_e64 v9, 0, 1, s0
	v_add_co_u32 v0, s0, v0, v8
	s_delay_alu instid0(VALU_DEP_1) | instskip(SKIP_1) | instid1(VALU_DEP_1)
	v_add_co_ci_u32_e64 v1, s0, 0, v1, s0
	v_cmp_gt_i32_e64 s0, v7, v13
	v_cndmask_b32_e64 v8, 0, 1, s0
	s_delay_alu instid0(VALU_DEP_4) | instskip(NEXT) | instid1(VALU_DEP_1)
	v_add_co_u32 v0, s0, v0, v9
	v_add_co_ci_u32_e64 v1, s0, 0, v1, s0
	v_cmp_gt_i32_e64 s0, v7, v14
	s_delay_alu instid0(VALU_DEP_1) | instskip(NEXT) | instid1(VALU_DEP_4)
	v_cndmask_b32_e64 v9, 0, 1, s0
	v_add_co_u32 v0, s0, v0, v8
	s_delay_alu instid0(VALU_DEP_1) | instskip(SKIP_1) | instid1(VALU_DEP_1)
	v_add_co_ci_u32_e64 v1, s0, 0, v1, s0
	v_cmp_gt_i32_e64 s0, v7, v15
	v_cndmask_b32_e64 v8, 0, 1, s0
	s_delay_alu instid0(VALU_DEP_4) | instskip(NEXT) | instid1(VALU_DEP_1)
	v_add_co_u32 v0, s0, v0, v9
	v_add_co_ci_u32_e64 v1, s0, 0, v1, s0
	s_delay_alu instid0(VALU_DEP_2) | instskip(NEXT) | instid1(VALU_DEP_1)
	v_add_co_u32 v0, s0, v0, v8
	v_add_co_ci_u32_e64 v1, s0, 0, v1, s0
	s_delay_alu instid0(VALU_DEP_1) | instskip(NEXT) | instid1(VALU_DEP_1)
	v_lshlrev_b64 v[8:9], 2, v[0:1]
	v_add_co_u32 v7, s0, s10, v8
	s_delay_alu instid0(VALU_DEP_1)
	v_add_co_ci_u32_e64 v8, s0, s11, v9, s0
	global_store_b32 v[7:8], v10, off
	s_and_b32 exec_lo, exec_lo, vcc_lo
	s_cbranch_execz .LBB220_67
; %bb.70:                               ;   in Loop: Header=BB220_68 Depth=1
	v_mad_u64_u32 v[7:8], null, v0, s12, 0
	s_delay_alu instid0(VALU_DEP_1) | instskip(NEXT) | instid1(VALU_DEP_1)
	v_mov_b32_e32 v0, v8
	v_mad_u64_u32 v[8:9], null, v1, s12, v[0:1]
	ds_load_b64 v[0:1], v6
	v_lshlrev_b64 v[7:8], 3, v[7:8]
	s_delay_alu instid0(VALU_DEP_1) | instskip(NEXT) | instid1(VALU_DEP_1)
	v_add_co_u32 v7, s0, v2, v7
	v_add_co_ci_u32_e64 v8, s0, v3, v8, s0
	s_waitcnt lgkmcnt(0)
	global_store_b64 v[7:8], v[0:1], off
	s_branch .LBB220_67
.LBB220_71:
	s_nop 0
	s_sendmsg sendmsg(MSG_DEALLOC_VGPRS)
	s_endpgm
	.section	.rodata,"a",@progbits
	.p2align	6, 0x0
	.amdhsa_kernel _ZN9rocsparseL23bsrgemm_fill_wf_per_rowILj256ELj64ELj8ELj137ELj8Eli21rocsparse_complex_numIfEEEv20rocsparse_direction_T5_S4_S4_PKS4_S6_NS_24const_host_device_scalarIT6_EEPKT4_S6_PKS8_SC_S6_SE_S9_SC_S6_SE_SC_PS4_PS8_21rocsparse_index_base_SH_SH_SH_bbb
		.amdhsa_group_segment_fixed_size 16512
		.amdhsa_private_segment_fixed_size 0
		.amdhsa_kernarg_size 164
		.amdhsa_user_sgpr_count 15
		.amdhsa_user_sgpr_dispatch_ptr 0
		.amdhsa_user_sgpr_queue_ptr 0
		.amdhsa_user_sgpr_kernarg_segment_ptr 1
		.amdhsa_user_sgpr_dispatch_id 0
		.amdhsa_user_sgpr_private_segment_size 0
		.amdhsa_wavefront_size32 1
		.amdhsa_uses_dynamic_stack 0
		.amdhsa_enable_private_segment 0
		.amdhsa_system_sgpr_workgroup_id_x 1
		.amdhsa_system_sgpr_workgroup_id_y 0
		.amdhsa_system_sgpr_workgroup_id_z 0
		.amdhsa_system_sgpr_workgroup_info 0
		.amdhsa_system_vgpr_workitem_id 0
		.amdhsa_next_free_vgpr 40
		.amdhsa_next_free_sgpr 51
		.amdhsa_reserve_vcc 1
		.amdhsa_float_round_mode_32 0
		.amdhsa_float_round_mode_16_64 0
		.amdhsa_float_denorm_mode_32 3
		.amdhsa_float_denorm_mode_16_64 3
		.amdhsa_dx10_clamp 1
		.amdhsa_ieee_mode 1
		.amdhsa_fp16_overflow 0
		.amdhsa_workgroup_processor_mode 1
		.amdhsa_memory_ordered 1
		.amdhsa_forward_progress 0
		.amdhsa_shared_vgpr_count 0
		.amdhsa_exception_fp_ieee_invalid_op 0
		.amdhsa_exception_fp_denorm_src 0
		.amdhsa_exception_fp_ieee_div_zero 0
		.amdhsa_exception_fp_ieee_overflow 0
		.amdhsa_exception_fp_ieee_underflow 0
		.amdhsa_exception_fp_ieee_inexact 0
		.amdhsa_exception_int_div_zero 0
	.end_amdhsa_kernel
	.section	.text._ZN9rocsparseL23bsrgemm_fill_wf_per_rowILj256ELj64ELj8ELj137ELj8Eli21rocsparse_complex_numIfEEEv20rocsparse_direction_T5_S4_S4_PKS4_S6_NS_24const_host_device_scalarIT6_EEPKT4_S6_PKS8_SC_S6_SE_S9_SC_S6_SE_SC_PS4_PS8_21rocsparse_index_base_SH_SH_SH_bbb,"axG",@progbits,_ZN9rocsparseL23bsrgemm_fill_wf_per_rowILj256ELj64ELj8ELj137ELj8Eli21rocsparse_complex_numIfEEEv20rocsparse_direction_T5_S4_S4_PKS4_S6_NS_24const_host_device_scalarIT6_EEPKT4_S6_PKS8_SC_S6_SE_S9_SC_S6_SE_SC_PS4_PS8_21rocsparse_index_base_SH_SH_SH_bbb,comdat
.Lfunc_end220:
	.size	_ZN9rocsparseL23bsrgemm_fill_wf_per_rowILj256ELj64ELj8ELj137ELj8Eli21rocsparse_complex_numIfEEEv20rocsparse_direction_T5_S4_S4_PKS4_S6_NS_24const_host_device_scalarIT6_EEPKT4_S6_PKS8_SC_S6_SE_S9_SC_S6_SE_SC_PS4_PS8_21rocsparse_index_base_SH_SH_SH_bbb, .Lfunc_end220-_ZN9rocsparseL23bsrgemm_fill_wf_per_rowILj256ELj64ELj8ELj137ELj8Eli21rocsparse_complex_numIfEEEv20rocsparse_direction_T5_S4_S4_PKS4_S6_NS_24const_host_device_scalarIT6_EEPKT4_S6_PKS8_SC_S6_SE_S9_SC_S6_SE_SC_PS4_PS8_21rocsparse_index_base_SH_SH_SH_bbb
                                        ; -- End function
	.section	.AMDGPU.csdata,"",@progbits
; Kernel info:
; codeLenInByte = 3352
; NumSgprs: 53
; NumVgprs: 40
; ScratchSize: 0
; MemoryBound: 0
; FloatMode: 240
; IeeeMode: 1
; LDSByteSize: 16512 bytes/workgroup (compile time only)
; SGPRBlocks: 6
; VGPRBlocks: 4
; NumSGPRsForWavesPerEU: 53
; NumVGPRsForWavesPerEU: 40
; Occupancy: 14
; WaveLimiterHint : 1
; COMPUTE_PGM_RSRC2:SCRATCH_EN: 0
; COMPUTE_PGM_RSRC2:USER_SGPR: 15
; COMPUTE_PGM_RSRC2:TRAP_HANDLER: 0
; COMPUTE_PGM_RSRC2:TGID_X_EN: 1
; COMPUTE_PGM_RSRC2:TGID_Y_EN: 0
; COMPUTE_PGM_RSRC2:TGID_Z_EN: 0
; COMPUTE_PGM_RSRC2:TIDIG_COMP_CNT: 0
	.section	.text._ZN9rocsparseL38bsrgemm_block_per_row_atomic_multipassILj256ELj16ELj8Eli21rocsparse_complex_numIfEEEv20rocsparse_direction_T3_S4_PKS4_S6_NS_24const_host_device_scalarIT4_EEPKT2_S6_PKS8_SC_S6_SE_S9_SC_S6_SE_SC_PS4_PS8_PSA_21rocsparse_index_base_SI_SI_SI_bbb,"axG",@progbits,_ZN9rocsparseL38bsrgemm_block_per_row_atomic_multipassILj256ELj16ELj8Eli21rocsparse_complex_numIfEEEv20rocsparse_direction_T3_S4_PKS4_S6_NS_24const_host_device_scalarIT4_EEPKT2_S6_PKS8_SC_S6_SE_S9_SC_S6_SE_SC_PS4_PS8_PSA_21rocsparse_index_base_SI_SI_SI_bbb,comdat
	.globl	_ZN9rocsparseL38bsrgemm_block_per_row_atomic_multipassILj256ELj16ELj8Eli21rocsparse_complex_numIfEEEv20rocsparse_direction_T3_S4_PKS4_S6_NS_24const_host_device_scalarIT4_EEPKT2_S6_PKS8_SC_S6_SE_S9_SC_S6_SE_SC_PS4_PS8_PSA_21rocsparse_index_base_SI_SI_SI_bbb ; -- Begin function _ZN9rocsparseL38bsrgemm_block_per_row_atomic_multipassILj256ELj16ELj8Eli21rocsparse_complex_numIfEEEv20rocsparse_direction_T3_S4_PKS4_S6_NS_24const_host_device_scalarIT4_EEPKT2_S6_PKS8_SC_S6_SE_S9_SC_S6_SE_SC_PS4_PS8_PSA_21rocsparse_index_base_SI_SI_SI_bbb
	.p2align	8
	.type	_ZN9rocsparseL38bsrgemm_block_per_row_atomic_multipassILj256ELj16ELj8Eli21rocsparse_complex_numIfEEEv20rocsparse_direction_T3_S4_PKS4_S6_NS_24const_host_device_scalarIT4_EEPKT2_S6_PKS8_SC_S6_SE_S9_SC_S6_SE_SC_PS4_PS8_PSA_21rocsparse_index_base_SI_SI_SI_bbb,@function
_ZN9rocsparseL38bsrgemm_block_per_row_atomic_multipassILj256ELj16ELj8Eli21rocsparse_complex_numIfEEEv20rocsparse_direction_T3_S4_PKS4_S6_NS_24const_host_device_scalarIT4_EEPKT2_S6_PKS8_SC_S6_SE_S9_SC_S6_SE_SC_PS4_PS8_PSA_21rocsparse_index_base_SI_SI_SI_bbb: ; @_ZN9rocsparseL38bsrgemm_block_per_row_atomic_multipassILj256ELj16ELj8Eli21rocsparse_complex_numIfEEEv20rocsparse_direction_T3_S4_PKS4_S6_NS_24const_host_device_scalarIT4_EEPKT2_S6_PKS8_SC_S6_SE_S9_SC_S6_SE_SC_PS4_PS8_PSA_21rocsparse_index_base_SI_SI_SI_bbb
; %bb.0:
	s_mov_b32 s2, s15
	s_clause 0x5
	s_load_b32 s3, s[0:1], 0xa8
	s_load_b256 s[12:19], s[0:1], 0x88
	s_load_b256 s[20:27], s[0:1], 0x68
	;; [unrolled: 1-line block ×3, first 2 shown]
	s_load_b128 s[4:7], s[0:1], 0x10
	s_load_b256 s[44:51], s[0:1], 0x28
	s_mov_b32 s35, 0
	s_mov_b32 s33, 0
	s_waitcnt lgkmcnt(0)
	s_bitcmp1_b32 s3, 0
	s_cselect_b32 s8, -1, 0
	s_bitcmp1_b32 s3, 16
	s_cselect_b32 s9, -1, 0
	s_delay_alu instid0(SALU_CYCLE_1) | instskip(SKIP_2) | instid1(VALU_DEP_1)
	s_xor_b32 s9, s9, -1
	s_bitcmp0_b32 s3, 0
	v_cndmask_b32_e64 v1, 0, 1, s9
	v_cmp_ne_u32_e32 vcc_lo, 1, v1
	s_cbranch_scc1 .LBB221_5
; %bb.1:
	s_load_b64 s[34:35], s[0:1], 0x20
	s_and_b32 vcc_lo, exec_lo, vcc_lo
	s_waitcnt lgkmcnt(0)
	s_mov_b32 s33, s34
	s_cbranch_vccnz .LBB221_3
; %bb.2:
	s_load_b32 s33, s[34:35], 0x0
.LBB221_3:
	s_and_not1_b32 vcc_lo, exec_lo, s9
	s_cbranch_vccnz .LBB221_5
; %bb.4:
	s_load_b32 s35, s[34:35], 0x4
.LBB221_5:
	s_bitcmp1_b32 s3, 8
	s_mov_b32 s55, 0
	s_cselect_b32 s34, -1, 0
	s_bfe_u32 s3, s3, 0x10008
	s_mov_b32 s54, 0
	s_cmp_eq_u32 s3, 0
	s_cbranch_scc1 .LBB221_11
; %bb.6:
	v_cmp_ne_u32_e32 vcc_lo, 1, v1
	s_mov_b32 s54, s40
	s_cbranch_vccnz .LBB221_8
; %bb.7:
	s_load_b32 s54, s[40:41], 0x0
.LBB221_8:
	v_cmp_ne_u32_e32 vcc_lo, 1, v1
	s_cbranch_vccnz .LBB221_10
; %bb.9:
	s_load_b32 s41, s[40:41], 0x4
.LBB221_10:
	s_waitcnt lgkmcnt(0)
	s_mov_b32 s55, s41
.LBB221_11:
	s_cmp_eq_u64 s[6:7], 0
	s_mov_b64 s[40:41], 0
	s_cbranch_scc1 .LBB221_13
; %bb.12:
	s_load_b32 s3, s[4:5], 0x0
	s_waitcnt lgkmcnt(0)
	s_add_i32 s2, s3, s2
	s_mov_b32 s3, 0
	s_delay_alu instid0(SALU_CYCLE_1) | instskip(NEXT) | instid1(SALU_CYCLE_1)
	s_lshl_b64 s[2:3], s[2:3], 2
	s_add_u32 s2, s6, s2
	s_addc_u32 s3, s7, s3
	s_load_b32 s2, s[2:3], 0x0
.LBB221_13:
	s_and_not1_b32 vcc_lo, exec_lo, s8
	s_cbranch_vccz .LBB221_16
; %bb.14:
	s_and_not1_b32 vcc_lo, exec_lo, s8
	s_mov_b64 s[52:53], 0
	s_cbranch_vccz .LBB221_17
.LBB221_15:
	s_load_b128 s[28:31], s[0:1], 0x0
	s_waitcnt lgkmcnt(0)
	s_cmp_lt_i32 s29, 1
	s_cbranch_scc0 .LBB221_18
	s_branch .LBB221_97
.LBB221_16:
	s_waitcnt lgkmcnt(0)
	s_ashr_i32 s3, s2, 31
	s_delay_alu instid0(SALU_CYCLE_1) | instskip(NEXT) | instid1(SALU_CYCLE_1)
	s_lshl_b64 s[4:5], s[2:3], 3
	s_add_u32 s4, s44, s4
	s_addc_u32 s5, s45, s5
	s_load_b64 s[4:5], s[4:5], 0x0
	s_waitcnt lgkmcnt(0)
	s_sub_u32 s40, s4, s16
	s_subb_u32 s41, s5, 0
	s_and_not1_b32 vcc_lo, exec_lo, s8
	s_mov_b64 s[52:53], 0
	s_cbranch_vccnz .LBB221_15
.LBB221_17:
	s_waitcnt lgkmcnt(0)
	s_ashr_i32 s3, s2, 31
	s_delay_alu instid0(SALU_CYCLE_1) | instskip(NEXT) | instid1(SALU_CYCLE_1)
	s_lshl_b64 s[4:5], s[2:3], 3
	s_add_u32 s4, s44, s4
	s_addc_u32 s5, s45, s5
	s_load_b64 s[4:5], s[4:5], 0x8
	s_waitcnt lgkmcnt(0)
	s_sub_u32 s52, s4, s16
	s_subb_u32 s53, s5, 0
	s_load_b128 s[28:31], s[0:1], 0x0
	s_waitcnt lgkmcnt(0)
	s_cmp_lt_i32 s29, 1
	s_cbranch_scc1 .LBB221_97
.LBB221_18:
	s_ashr_i32 s3, s2, 31
	v_bfe_u32 v3, v0, 3, 3
	s_lshl_b64 s[6:7], s[2:3], 3
	v_dual_mov_b32 v1, 0 :: v_dual_and_b32 v6, 63, v0
	s_add_u32 s0, s24, s6
	s_addc_u32 s1, s25, s7
	v_and_b32_e32 v26, 7, v0
	s_load_b64 s[4:5], s[0:1], 0x0
	v_mul_lo_u32 v2, v3, s30
	v_dual_mov_b32 v5, v1 :: v_dual_and_b32 v14, 15, v0
	s_delay_alu instid0(VALU_DEP_3)
	v_max_i32_e32 v7, v26, v3
	v_mov_b32_e32 v3, v1
	v_mul_lo_u32 v4, v26, s30
	v_lshlrev_b32_e32 v9, 3, v26
	v_lshrrev_b32_e32 v25, 6, v0
	v_cmp_gt_i32_e64 s2, s30, v7
	v_lshlrev_b64 v[2:3], 3, v[2:3]
	v_cmp_le_i32_e64 s3, s30, v7
	v_and_b32_e32 v29, 56, v0
	v_cmp_lt_i64_e64 s9, s[40:41], s[52:53]
	v_lshlrev_b64 v[4:5], 3, v[4:5]
	v_add_co_u32 v16, s57, v14, -1
	v_add_co_u32 v7, vcc_lo, s48, v2
	v_add_co_ci_u32_e32 v8, vcc_lo, s49, v3, vcc_lo
	s_waitcnt lgkmcnt(0)
	s_sub_u32 s10, s4, s18
	s_delay_alu instid0(VALU_DEP_2) | instskip(NEXT) | instid1(VALU_DEP_1)
	v_add_co_u32 v30, s4, v7, v9
	v_add_co_ci_u32_e64 v31, s4, 0, v8, s4
	v_add_co_u32 v7, s4, s22, v4
	s_delay_alu instid0(VALU_DEP_1)
	v_add_co_ci_u32_e64 v8, s4, s23, v5, s4
	v_sub_co_u32 v32, s4, v25, s19
	v_add_co_u32 v10, vcc_lo, s12, v4
	v_sub_co_ci_u32_e64 v33, null, 0, 0, s4
	v_add_co_u32 v7, s4, v7, v29
	v_add_co_ci_u32_e32 v11, vcc_lo, s13, v5, vcc_lo
	v_add_co_ci_u32_e64 v8, s4, 0, v8, s4
	v_add_co_u32 v12, vcc_lo, s12, v2
	v_add_co_u32 v2, s4, s22, v2
	v_add_co_ci_u32_e32 v13, vcc_lo, s13, v3, vcc_lo
	v_add_co_ci_u32_e64 v3, s4, s23, v3, s4
	v_add_co_u32 v10, vcc_lo, v10, v29
	s_delay_alu instid0(VALU_DEP_4)
	v_add_co_u32 v2, s4, v2, v9
	v_add_co_ci_u32_e32 v11, vcc_lo, 0, v11, vcc_lo
	s_subb_u32 s11, s5, 0
	v_add_co_u32 v12, vcc_lo, v12, v9
	v_add_co_ci_u32_e64 v3, s4, 0, v3, s4
	s_cmp_eq_u32 s28, 0
	v_add_co_ci_u32_e32 v13, vcc_lo, 0, v13, vcc_lo
	s_cselect_b32 vcc_lo, -1, 0
	s_cmp_lg_u32 s28, 0
	v_cndmask_b32_e32 v2, v7, v2, vcc_lo
	v_dual_cndmask_b32 v8, v8, v3 :: v_dual_lshlrev_b32 v3, 9, v25
	v_dual_cndmask_b32 v40, v11, v13 :: v_dual_lshlrev_b32 v27, 3, v0
	s_cselect_b32 s28, -1, 0
	s_cmp_gt_i32 s30, 0
	v_cndmask_b32_e32 v41, v10, v12, vcc_lo
	v_or3_b32 v42, v3, v29, 0x2000
	v_add_co_u32 v3, vcc_lo, v4, s38
	s_cselect_b32 s49, -1, 0
	s_add_u32 s12, s42, s6
	v_add_co_ci_u32_e32 v4, vcc_lo, s39, v5, vcc_lo
	s_addc_u32 s13, s43, s7
	s_and_b32 s58, s8, s9
	v_add_co_u32 v5, s9, v9, s38
	v_cmp_eq_u32_e64 s4, 63, v6
	v_add_co_ci_u32_e64 v6, null, 0, s39, s9
	v_add_co_u32 v3, vcc_lo, v3, 4
	v_add_co_ci_u32_e32 v4, vcc_lo, 0, v4, vcc_lo
	v_add_co_u32 v5, vcc_lo, v5, 4
	s_delay_alu instid0(VALU_DEP_4)
	v_add_co_ci_u32_e32 v6, vcc_lo, 0, v6, vcc_lo
	v_lshlrev_b32_e32 v15, 2, v14
	v_add_co_u32 v7, vcc_lo, v2, 4
	v_add_co_ci_u32_e32 v8, vcc_lo, 0, v8, vcc_lo
	s_movk_i32 s9, 0x7c0
	v_add_co_u32 v44, vcc_lo, v32, 4
	s_mov_b32 s45, 0
	v_dual_mov_b32 v9, s10 :: v_dual_mov_b32 v10, s11
	v_cmp_gt_u32_e64 s0, 16, v0
	v_cmp_eq_u32_e64 s1, 0, v0
	v_or_b32_e32 v28, 0x2000, v27
	v_or_b32_e32 v34, 0x2800, v15
	v_lshl_add_u32 v35, v16, 2, 0x2800
	v_lshl_or_b32 v36, v0, 2, 0x2800
	v_cmp_ne_u32_e64 s5, 0, v14
	v_cmp_lt_u32_e64 s6, 1, v14
	v_dual_mov_b32 v2, v1 :: v_dual_add_nc_u32 v37, 0x27f8, v15
	v_cmp_lt_u32_e64 s7, 3, v14
	v_dual_mov_b32 v49, 16 :: v_dual_add_nc_u32 v38, 0x27f0, v15
	;; [unrolled: 2-line block ×3, first 2 shown]
	s_add_u32 s59, s50, 8
	v_or_b32_e32 v0, 0xffffff00, v0
	v_and_or_b32 v43, v27, s9, 0x2000
	v_add_co_ci_u32_e32 v45, vcc_lo, 0, v33, vcc_lo
	v_lshl_or_b32 v46, v25, 2, 0x2800
	v_mov_b32_e32 v47, 1
	s_mul_i32 s44, s30, s30
	s_addc_u32 s60, s51, 0
	s_mov_b32 s31, s45
	s_add_u32 s61, s26, -4
	s_mov_b32 s48, s17
	s_mov_b32 s56, s19
	s_addc_u32 s62, s27, -1
	s_lshl_b64 s[22:23], s[44:45], 3
	s_lshl_b64 s[38:39], s[30:31], 3
	s_lshl_b64 s[42:43], s[44:45], 5
	s_branch .LBB221_20
.LBB221_19:                             ;   in Loop: Header=BB221_20 Depth=1
	s_set_inst_prefetch_distance 0x2
	s_or_b32 exec_lo, exec_lo, s9
	s_waitcnt_vscnt null, 0x0
	s_barrier
	buffer_gl0_inv
	ds_load_b32 v48, v1 offset:10304
	v_ashrrev_i32_e32 v12, 31, v11
	v_add_co_u32 v9, s9, v9, v11
	s_waitcnt lgkmcnt(0)
	s_barrier
	s_delay_alu instid0(VALU_DEP_2)
	v_add_co_ci_u32_e64 v10, s9, v10, v12, s9
	buffer_gl0_inv
	v_cmp_le_i32_e32 vcc_lo, s29, v48
	v_add_nc_u32_e32 v49, 16, v48
	s_cbranch_vccnz .LBB221_97
.LBB221_20:                             ; =>This Loop Header: Depth=1
                                        ;     Child Loop BB221_23 Depth 2
                                        ;     Child Loop BB221_29 Depth 2
                                        ;       Child Loop BB221_43 Depth 3
                                        ;         Child Loop BB221_52 Depth 4
                                        ;         Child Loop BB221_57 Depth 4
                                        ;     Child Loop BB221_68 Depth 2
                                        ;     Child Loop BB221_77 Depth 2
                                        ;     Child Loop BB221_94 Depth 2
	s_and_saveexec_b32 s9, s0
	s_cbranch_execz .LBB221_22
; %bb.21:                               ;   in Loop: Header=BB221_20 Depth=1
	ds_store_b32 v36, v1
.LBB221_22:                             ;   in Loop: Header=BB221_20 Depth=1
	s_or_b32 exec_lo, exec_lo, s9
	v_dual_mov_b32 v11, v27 :: v_dual_mov_b32 v12, v0
	s_mov_b32 s9, 0
.LBB221_23:                             ;   Parent Loop BB221_20 Depth=1
                                        ; =>  This Inner Loop Header: Depth=2
	s_delay_alu instid0(VALU_DEP_1) | instskip(SKIP_4) | instid1(SALU_CYCLE_1)
	v_add_nc_u32_e32 v12, 0x100, v12
	ds_store_b64 v11, v[1:2]
	v_add_nc_u32_e32 v11, 0x800, v11
	v_cmp_lt_u32_e32 vcc_lo, 0x2ff, v12
	s_or_b32 s9, vcc_lo, s9
	s_and_not1_b32 exec_lo, exec_lo, s9
	s_cbranch_execnz .LBB221_23
; %bb.24:                               ;   in Loop: Header=BB221_20 Depth=1
	s_or_b32 exec_lo, exec_lo, s9
	s_and_saveexec_b32 s9, s1
	s_cbranch_execz .LBB221_26
; %bb.25:                               ;   in Loop: Header=BB221_20 Depth=1
	v_mov_b32_e32 v11, s29
	ds_store_b32 v1, v11 offset:10304
.LBB221_26:                             ;   in Loop: Header=BB221_20 Depth=1
	s_or_b32 exec_lo, exec_lo, s9
	v_mov_b32_e32 v50, s29
	s_and_not1_b32 vcc_lo, exec_lo, s58
	s_waitcnt lgkmcnt(0)
	s_barrier
	buffer_gl0_inv
	s_cbranch_vccnz .LBB221_63
; %bb.27:                               ;   in Loop: Header=BB221_20 Depth=1
	v_cmp_ne_u32_e64 s9, 0, v48
	v_mov_b32_e32 v50, s29
	s_mov_b64 s[24:25], s[40:41]
	s_branch .LBB221_29
.LBB221_28:                             ;   in Loop: Header=BB221_29 Depth=2
	s_or_b32 exec_lo, exec_lo, s11
	s_add_u32 s24, s24, 4
	s_addc_u32 s25, s25, 0
	s_delay_alu instid0(SALU_CYCLE_1) | instskip(NEXT) | instid1(VALU_DEP_1)
	v_cmp_lt_i64_e64 s10, s[24:25], s[52:53]
	s_and_b32 vcc_lo, exec_lo, s10
	s_cbranch_vccz .LBB221_63
.LBB221_29:                             ;   Parent Loop BB221_20 Depth=1
                                        ; =>  This Loop Header: Depth=2
                                        ;       Child Loop BB221_43 Depth 3
                                        ;         Child Loop BB221_52 Depth 4
                                        ;         Child Loop BB221_57 Depth 4
	v_add_co_u32 v11, s10, s24, v25
	s_delay_alu instid0(VALU_DEP_1) | instskip(NEXT) | instid1(VALU_DEP_1)
	v_add_co_ci_u32_e64 v12, null, s25, 0, s10
	s_waitcnt_vscnt null, 0x0
	s_barrier
	buffer_gl0_inv
	v_cmp_gt_i64_e64 s10, s[52:53], v[11:12]
	s_delay_alu instid0(VALU_DEP_1)
	s_and_saveexec_b32 s11, s10
	s_cbranch_execz .LBB221_34
; %bb.30:                               ;   in Loop: Header=BB221_29 Depth=2
	s_and_saveexec_b32 s26, s3
	s_delay_alu instid0(SALU_CYCLE_1)
	s_xor_b32 s26, exec_lo, s26
	s_cbranch_execz .LBB221_32
; %bb.31:                               ;   in Loop: Header=BB221_29 Depth=2
	ds_store_b64 v28, v[1:2]
.LBB221_32:                             ;   in Loop: Header=BB221_29 Depth=2
	s_and_not1_saveexec_b32 s26, s26
	s_cbranch_execz .LBB221_34
; %bb.33:                               ;   in Loop: Header=BB221_29 Depth=2
	v_mad_u64_u32 v[13:14], null, v11, s44, 0
	s_delay_alu instid0(VALU_DEP_1) | instskip(NEXT) | instid1(VALU_DEP_1)
	v_mad_u64_u32 v[15:16], null, v12, s44, v[14:15]
	v_mov_b32_e32 v14, v15
	s_delay_alu instid0(VALU_DEP_1) | instskip(NEXT) | instid1(VALU_DEP_1)
	v_lshlrev_b64 v[13:14], 3, v[13:14]
	v_add_co_u32 v13, vcc_lo, v30, v13
	s_delay_alu instid0(VALU_DEP_2)
	v_add_co_ci_u32_e32 v14, vcc_lo, v31, v14, vcc_lo
	global_load_b64 v[13:14], v[13:14], off
	s_waitcnt vmcnt(0)
	ds_store_b64 v28, v[13:14]
.LBB221_34:                             ;   in Loop: Header=BB221_29 Depth=2
	s_or_b32 exec_lo, exec_lo, s11
	v_mov_b32_e32 v13, 0
	v_mov_b32_e32 v14, 0
	s_waitcnt lgkmcnt(0)
	s_barrier
	buffer_gl0_inv
	s_and_saveexec_b32 s26, s10
	s_cbranch_execz .LBB221_60
; %bb.35:                               ;   in Loop: Header=BB221_29 Depth=2
	v_lshlrev_b64 v[13:14], 2, v[11:12]
	s_delay_alu instid0(VALU_DEP_1) | instskip(NEXT) | instid1(VALU_DEP_2)
	v_add_co_u32 v13, vcc_lo, s46, v13
	v_add_co_ci_u32_e32 v14, vcc_lo, s47, v14, vcc_lo
	s_and_b32 vcc_lo, exec_lo, s9
	global_load_b32 v13, v[13:14], off
	s_waitcnt vmcnt(0)
	v_subrev_nc_u32_e32 v15, s16, v13
	s_delay_alu instid0(VALU_DEP_1)
	v_ashrrev_i32_e32 v16, 31, v15
	s_cbranch_vccz .LBB221_62
; %bb.36:                               ;   in Loop: Header=BB221_29 Depth=2
	v_lshlrev_b64 v[13:14], 3, v[11:12]
	s_delay_alu instid0(VALU_DEP_1) | instskip(NEXT) | instid1(VALU_DEP_2)
	v_add_co_u32 v13, vcc_lo, s14, v13
	v_add_co_ci_u32_e32 v14, vcc_lo, s15, v14, vcc_lo
	global_load_b64 v[13:14], v[13:14], off
	s_cbranch_execnz .LBB221_38
.LBB221_37:                             ;   in Loop: Header=BB221_29 Depth=2
	s_waitcnt vmcnt(0)
	s_delay_alu instid0(VALU_DEP_1) | instskip(NEXT) | instid1(VALU_DEP_1)
	v_lshlrev_b64 v[13:14], 3, v[15:16]
	v_add_co_u32 v13, vcc_lo, s50, v13
	s_delay_alu instid0(VALU_DEP_2)
	v_add_co_ci_u32_e32 v14, vcc_lo, s51, v14, vcc_lo
	global_load_b64 v[13:14], v[13:14], off
	s_waitcnt vmcnt(0)
	v_sub_co_u32 v13, vcc_lo, v13, s48
	v_subrev_co_ci_u32_e32 v14, vcc_lo, 0, v14, vcc_lo
.LBB221_38:                             ;   in Loop: Header=BB221_29 Depth=2
	v_lshlrev_b64 v[15:16], 3, v[15:16]
	s_mov_b32 s27, exec_lo
	s_delay_alu instid0(VALU_DEP_1) | instskip(NEXT) | instid1(VALU_DEP_2)
	v_add_co_u32 v15, vcc_lo, s59, v15
	v_add_co_ci_u32_e32 v16, vcc_lo, s60, v16, vcc_lo
	global_load_b64 v[15:16], v[15:16], off
	s_waitcnt vmcnt(0)
	v_sub_co_u32 v15, vcc_lo, v15, s48
	v_subrev_co_ci_u32_e32 v16, vcc_lo, 0, v16, vcc_lo
	s_delay_alu instid0(VALU_DEP_1)
	v_cmpx_lt_i64_e64 v[13:14], v[15:16]
	s_cbranch_execz .LBB221_59
; %bb.39:                               ;   in Loop: Header=BB221_29 Depth=2
	v_mad_u64_u32 v[17:18], null, s22, v13, v[3:4]
	v_mul_lo_u32 v21, s22, v14
	v_mul_lo_u32 v22, s23, v13
	v_mad_u64_u32 v[19:20], null, s22, v13, v[5:6]
	s_mov_b32 s31, 0
	s_delay_alu instid0(VALU_DEP_2) | instskip(NEXT) | instid1(VALU_DEP_2)
	v_add3_u32 v18, v22, v18, v21
	v_add3_u32 v20, v22, v20, v21
	v_dual_mov_b32 v22, v14 :: v_dual_mov_b32 v21, v13
	s_branch .LBB221_43
.LBB221_40:                             ;   in Loop: Header=BB221_43 Depth=3
	s_delay_alu instid0(VALU_DEP_1) | instskip(SKIP_1) | instid1(VALU_DEP_2)
	v_mul_f32_e64 v24, v53, -s35
	v_lshlrev_b32_e32 v23, 6, v51
	v_dual_mul_f32 v51, s33, v53 :: v_dual_fmac_f32 v24, s33, v52
	s_delay_alu instid0(VALU_DEP_2) | instskip(NEXT) | instid1(VALU_DEP_2)
	v_or3_b32 v23, v23, v29, v26
	v_fmac_f32_e32 v51, s35, v52
	s_delay_alu instid0(VALU_DEP_2)
	v_lshlrev_b32_e32 v23, 3, v23
	ds_add_f32 v23, v24
	ds_add_f32 v23, v51 offset:4
.LBB221_41:                             ;   in Loop: Header=BB221_43 Depth=3
	s_or_b32 exec_lo, exec_lo, s64
	s_delay_alu instid0(SALU_CYCLE_1)
	s_or_b32 s45, s45, exec_lo
.LBB221_42:                             ;   in Loop: Header=BB221_43 Depth=3
	s_or_b32 exec_lo, exec_lo, s63
	v_add_co_u32 v21, vcc_lo, v21, 1
	v_add_co_ci_u32_e32 v22, vcc_lo, 0, v22, vcc_lo
	v_add_co_u32 v17, s11, v17, s22
	s_xor_b32 s45, s45, -1
	s_delay_alu instid0(VALU_DEP_2)
	v_cmp_ge_i64_e32 vcc_lo, v[21:22], v[15:16]
	v_add_co_ci_u32_e64 v18, s11, s23, v18, s11
	s_or_b32 s11, s45, vcc_lo
	v_add_co_u32 v19, vcc_lo, v19, s22
	v_add_co_ci_u32_e32 v20, vcc_lo, s23, v20, vcc_lo
	s_and_b32 s11, exec_lo, s11
	s_delay_alu instid0(SALU_CYCLE_1) | instskip(NEXT) | instid1(SALU_CYCLE_1)
	s_or_b32 s31, s11, s31
	s_and_not1_b32 exec_lo, exec_lo, s31
	s_cbranch_execz .LBB221_58
.LBB221_43:                             ;   Parent Loop BB221_20 Depth=1
                                        ;     Parent Loop BB221_29 Depth=2
                                        ; =>    This Loop Header: Depth=3
                                        ;         Child Loop BB221_52 Depth 4
                                        ;         Child Loop BB221_57 Depth 4
	s_delay_alu instid0(VALU_DEP_1) | instskip(NEXT) | instid1(VALU_DEP_1)
	v_lshlrev_b64 v[23:24], 2, v[21:22]
                                        ; implicit-def: $sgpr45
	v_add_co_u32 v23, vcc_lo, s36, v23
	s_delay_alu instid0(VALU_DEP_2) | instskip(SKIP_3) | instid1(VALU_DEP_1)
	v_add_co_ci_u32_e32 v24, vcc_lo, s37, v24, vcc_lo
	global_load_b32 v23, v[23:24], off
	s_waitcnt vmcnt(0)
	v_subrev_nc_u32_e32 v23, s17, v23
	v_cmp_lt_i32_e64 s11, v23, v48
	v_cmp_ge_i32_e32 vcc_lo, v23, v49
	s_delay_alu instid0(VALU_DEP_2) | instskip(NEXT) | instid1(SALU_CYCLE_1)
	s_or_b32 s11, s11, vcc_lo
	s_and_saveexec_b32 s63, s11
	s_delay_alu instid0(SALU_CYCLE_1)
	s_xor_b32 s11, exec_lo, s63
	s_cbranch_execz .LBB221_47
; %bb.44:                               ;   in Loop: Header=BB221_43 Depth=3
	s_mov_b32 s45, -1
	s_and_saveexec_b32 s63, vcc_lo
; %bb.45:                               ;   in Loop: Header=BB221_43 Depth=3
	v_min_i32_e32 v50, v23, v50
	v_dual_mov_b32 v13, v21 :: v_dual_mov_b32 v14, v22
	s_xor_b32 s45, exec_lo, -1
; %bb.46:                               ;   in Loop: Header=BB221_43 Depth=3
	s_or_b32 exec_lo, exec_lo, s63
	s_delay_alu instid0(SALU_CYCLE_1)
	s_and_b32 s45, s45, exec_lo
                                        ; implicit-def: $vgpr23
.LBB221_47:                             ;   in Loop: Header=BB221_43 Depth=3
	s_and_not1_saveexec_b32 s63, s11
	s_cbranch_execz .LBB221_42
; %bb.48:                               ;   in Loop: Header=BB221_43 Depth=3
	v_sub_nc_u32_e32 v51, v23, v48
	s_delay_alu instid0(VALU_DEP_1)
	v_lshlrev_b32_e32 v23, 2, v51
	ds_store_b32 v23, v47 offset:10240
	s_and_saveexec_b32 s64, s2
	s_cbranch_execz .LBB221_41
; %bb.49:                               ;   in Loop: Header=BB221_43 Depth=3
	v_cndmask_b32_e64 v23, 0, 1, s49
	s_and_not1_b32 vcc_lo, exec_lo, s28
	s_delay_alu instid0(VALU_DEP_1)
	v_cmp_ne_u32_e64 s11, 1, v23
	s_cbranch_vccnz .LBB221_54
; %bb.50:                               ;   in Loop: Header=BB221_43 Depth=3
	v_dual_mov_b32 v52, 0 :: v_dual_mov_b32 v53, 0
	s_delay_alu instid0(VALU_DEP_2)
	s_and_b32 vcc_lo, exec_lo, s11
	s_mov_b32 s11, 0
	s_cbranch_vccnz .LBB221_53
; %bb.51:                               ;   in Loop: Header=BB221_43 Depth=3
	v_dual_mov_b32 v24, v18 :: v_dual_mov_b32 v53, 0
	v_dual_mov_b32 v52, 0 :: v_dual_mov_b32 v23, v17
	v_mov_b32_e32 v54, v42
	s_mov_b32 s65, s30
.LBB221_52:                             ;   Parent Loop BB221_20 Depth=1
                                        ;     Parent Loop BB221_29 Depth=2
                                        ;       Parent Loop BB221_43 Depth=3
                                        ; =>      This Inner Loop Header: Depth=4
	global_load_b64 v[55:56], v[23:24], off offset:-4
	ds_load_b64 v[57:58], v54
	v_add_nc_u32_e32 v54, 64, v54
	v_add_co_u32 v23, vcc_lo, v23, 8
	v_add_co_ci_u32_e32 v24, vcc_lo, 0, v24, vcc_lo
	s_add_i32 s65, s65, -1
	s_delay_alu instid0(SALU_CYCLE_1) | instskip(SKIP_3) | instid1(VALU_DEP_2)
	s_cmp_lg_u32 s65, 0
	s_waitcnt vmcnt(0) lgkmcnt(0)
	v_fmac_f32_e32 v53, v58, v55
	v_fmac_f32_e32 v52, v57, v55
	;; [unrolled: 1-line block ×3, first 2 shown]
	s_delay_alu instid0(VALU_DEP_2)
	v_fma_f32 v52, -v58, v56, v52
	s_cbranch_scc1 .LBB221_52
.LBB221_53:                             ;   in Loop: Header=BB221_43 Depth=3
	s_and_not1_b32 vcc_lo, exec_lo, s11
	s_cbranch_vccnz .LBB221_40
	s_branch .LBB221_55
.LBB221_54:                             ;   in Loop: Header=BB221_43 Depth=3
                                        ; implicit-def: $vgpr52
                                        ; implicit-def: $vgpr53
.LBB221_55:                             ;   in Loop: Header=BB221_43 Depth=3
	v_dual_mov_b32 v52, 0 :: v_dual_mov_b32 v53, 0
	s_and_not1_b32 vcc_lo, exec_lo, s49
	s_cbranch_vccnz .LBB221_40
; %bb.56:                               ;   in Loop: Header=BB221_43 Depth=3
	v_mov_b32_e32 v24, v20
	v_dual_mov_b32 v52, 0 :: v_dual_mov_b32 v23, v19
	v_dual_mov_b32 v54, v43 :: v_dual_mov_b32 v53, 0
	s_mov_b32 s11, s30
	.p2align	6
.LBB221_57:                             ;   Parent Loop BB221_20 Depth=1
                                        ;     Parent Loop BB221_29 Depth=2
                                        ;       Parent Loop BB221_43 Depth=3
                                        ; =>      This Inner Loop Header: Depth=4
	global_load_b64 v[55:56], v[23:24], off offset:-4
	ds_load_b64 v[57:58], v54
	v_add_co_u32 v23, vcc_lo, v23, s38
	v_add_co_ci_u32_e32 v24, vcc_lo, s39, v24, vcc_lo
	s_add_i32 s11, s11, -1
	v_add_nc_u32_e32 v54, 8, v54
	s_cmp_eq_u32 s11, 0
	s_waitcnt vmcnt(0) lgkmcnt(0)
	v_fmac_f32_e32 v52, v57, v55
	v_fmac_f32_e32 v53, v58, v55
	s_delay_alu instid0(VALU_DEP_2) | instskip(NEXT) | instid1(VALU_DEP_2)
	v_fma_f32 v52, -v58, v56, v52
	v_fmac_f32_e32 v53, v57, v56
	s_cbranch_scc0 .LBB221_57
	s_branch .LBB221_40
.LBB221_58:                             ;   in Loop: Header=BB221_29 Depth=2
	s_or_b32 exec_lo, exec_lo, s31
.LBB221_59:                             ;   in Loop: Header=BB221_29 Depth=2
	s_delay_alu instid0(SALU_CYCLE_1)
	s_or_b32 exec_lo, exec_lo, s27
.LBB221_60:                             ;   in Loop: Header=BB221_29 Depth=2
	s_delay_alu instid0(SALU_CYCLE_1)
	s_or_b32 exec_lo, exec_lo, s26
	s_waitcnt lgkmcnt(0)
	s_barrier
	buffer_gl0_inv
	s_and_saveexec_b32 s11, s10
	s_cbranch_execz .LBB221_28
; %bb.61:                               ;   in Loop: Header=BB221_29 Depth=2
	v_lshlrev_b64 v[11:12], 3, v[11:12]
	s_delay_alu instid0(VALU_DEP_1) | instskip(NEXT) | instid1(VALU_DEP_2)
	v_add_co_u32 v11, vcc_lo, s14, v11
	v_add_co_ci_u32_e32 v12, vcc_lo, s15, v12, vcc_lo
	global_store_b64 v[11:12], v[13:14], off
	s_branch .LBB221_28
.LBB221_62:                             ;   in Loop: Header=BB221_29 Depth=2
                                        ; implicit-def: $vgpr13_vgpr14
	s_branch .LBB221_37
.LBB221_63:                             ;   in Loop: Header=BB221_20 Depth=1
	s_and_not1_b32 vcc_lo, exec_lo, s34
	s_cbranch_vccnz .LBB221_75
; %bb.64:                               ;   in Loop: Header=BB221_20 Depth=1
	s_load_b128 s[24:27], s[12:13], 0x0
	s_mov_b32 s11, exec_lo
	s_waitcnt lgkmcnt(0)
	v_add_co_u32 v13, vcc_lo, s24, v32
	v_add_co_ci_u32_e32 v14, vcc_lo, s25, v33, vcc_lo
	s_sub_u32 s26, s26, s56
	s_subb_u32 s27, s27, 0
	s_delay_alu instid0(VALU_DEP_1) | instid1(SALU_CYCLE_1)
	v_cmpx_gt_i64_e64 s[26:27], v[13:14]
	s_cbranch_execz .LBB221_74
; %bb.65:                               ;   in Loop: Header=BB221_20 Depth=1
	v_lshlrev_b64 v[15:16], 2, v[13:14]
	v_mad_u64_u32 v[11:12], null, s22, v13, v[7:8]
	v_mul_lo_u32 v17, s22, v14
	v_mul_lo_u32 v18, s23, v13
	s_delay_alu instid0(VALU_DEP_4) | instskip(SKIP_2) | instid1(VALU_DEP_4)
	v_add_co_u32 v13, vcc_lo, s20, v15
	v_add_co_ci_u32_e32 v14, vcc_lo, s21, v16, vcc_lo
	v_add_co_u32 v15, vcc_lo, v44, s24
	v_add3_u32 v12, v18, v12, v17
	v_add_co_ci_u32_e32 v16, vcc_lo, s25, v45, vcc_lo
	s_mov_b32 s24, 0
	s_branch .LBB221_68
.LBB221_66:                             ;   in Loop: Header=BB221_68 Depth=2
	s_or_b32 exec_lo, exec_lo, s25
	s_delay_alu instid0(SALU_CYCLE_1)
	s_or_b32 s9, s9, exec_lo
.LBB221_67:                             ;   in Loop: Header=BB221_68 Depth=2
	s_or_b32 exec_lo, exec_lo, s10
	v_cmp_le_i64_e32 vcc_lo, s[26:27], v[15:16]
	s_xor_b32 s10, s9, -1
	v_add_co_u32 v13, s9, v13, 16
	s_delay_alu instid0(VALU_DEP_1)
	v_add_co_ci_u32_e64 v14, s9, 0, v14, s9
	s_or_b32 s9, s10, vcc_lo
	v_add_co_u32 v11, vcc_lo, v11, s42
	v_add_co_ci_u32_e32 v12, vcc_lo, s43, v12, vcc_lo
	v_add_co_u32 v15, vcc_lo, v15, 4
	v_add_co_ci_u32_e32 v16, vcc_lo, 0, v16, vcc_lo
	s_and_b32 s9, exec_lo, s9
	s_delay_alu instid0(SALU_CYCLE_1) | instskip(NEXT) | instid1(SALU_CYCLE_1)
	s_or_b32 s24, s9, s24
	s_and_not1_b32 exec_lo, exec_lo, s24
	s_cbranch_execz .LBB221_73
.LBB221_68:                             ;   Parent Loop BB221_20 Depth=1
                                        ; =>  This Inner Loop Header: Depth=2
	global_load_b32 v17, v[13:14], off
	s_waitcnt vmcnt(0)
	v_subrev_nc_u32_e32 v17, s19, v17
	s_delay_alu instid0(VALU_DEP_1) | instskip(SKIP_2) | instid1(VALU_DEP_2)
	v_cmp_lt_i32_e64 s9, v17, v48
	v_cmp_ge_i32_e64 s10, v17, v49
	v_cmp_lt_i32_e32 vcc_lo, v17, v49
	s_or_b32 s10, s9, s10
                                        ; implicit-def: $sgpr9
	s_delay_alu instid0(SALU_CYCLE_1) | instskip(NEXT) | instid1(SALU_CYCLE_1)
	s_and_saveexec_b32 s25, s10
	s_xor_b32 s10, exec_lo, s25
; %bb.69:                               ;   in Loop: Header=BB221_68 Depth=2
	v_min_i32_e32 v17, v17, v50
	s_and_b32 s9, vcc_lo, exec_lo
	s_delay_alu instid0(VALU_DEP_1)
	v_cndmask_b32_e32 v50, v17, v50, vcc_lo
                                        ; implicit-def: $vgpr17
; %bb.70:                               ;   in Loop: Header=BB221_68 Depth=2
	s_and_not1_saveexec_b32 s10, s10
	s_cbranch_execz .LBB221_67
; %bb.71:                               ;   in Loop: Header=BB221_68 Depth=2
	v_sub_nc_u32_e32 v17, v17, v48
	s_delay_alu instid0(VALU_DEP_1)
	v_lshlrev_b32_e32 v18, 2, v17
	ds_store_b32 v18, v47 offset:10240
	s_and_saveexec_b32 s25, s2
	s_cbranch_execz .LBB221_66
; %bb.72:                               ;   in Loop: Header=BB221_68 Depth=2
	global_load_b64 v[18:19], v[11:12], off offset:-4
	s_waitcnt vmcnt(0)
	v_mul_f32_e64 v20, v19, -s55
	v_lshlrev_b32_e32 v17, 6, v17
	s_delay_alu instid0(VALU_DEP_2) | instskip(NEXT) | instid1(VALU_DEP_2)
	v_dual_mul_f32 v19, s54, v19 :: v_dual_fmac_f32 v20, s54, v18
	v_or3_b32 v17, v17, v29, v26
	s_delay_alu instid0(VALU_DEP_2) | instskip(NEXT) | instid1(VALU_DEP_2)
	v_fmac_f32_e32 v19, s55, v18
	v_lshlrev_b32_e32 v17, 3, v17
	ds_add_f32 v17, v20
	ds_add_f32 v17, v19 offset:4
	s_branch .LBB221_66
.LBB221_73:                             ;   in Loop: Header=BB221_20 Depth=1
	s_or_b32 exec_lo, exec_lo, s24
.LBB221_74:                             ;   in Loop: Header=BB221_20 Depth=1
	s_delay_alu instid0(SALU_CYCLE_1)
	s_or_b32 exec_lo, exec_lo, s11
.LBB221_75:                             ;   in Loop: Header=BB221_20 Depth=1
	s_and_saveexec_b32 s9, s4
	s_cbranch_execz .LBB221_80
; %bb.76:                               ;   in Loop: Header=BB221_20 Depth=1
	s_mov_b32 s11, exec_lo
	s_brev_b32 s10, -2
.LBB221_77:                             ;   Parent Loop BB221_20 Depth=1
                                        ; =>  This Inner Loop Header: Depth=2
	s_ctz_i32_b32 s24, s11
	s_delay_alu instid0(SALU_CYCLE_1) | instskip(SKIP_1) | instid1(SALU_CYCLE_1)
	v_readlane_b32 s25, v50, s24
	s_lshl_b32 s24, 1, s24
	s_and_not1_b32 s11, s11, s24
	s_delay_alu instid0(VALU_DEP_1)
	s_min_i32 s10, s10, s25
	s_cmp_lg_u32 s11, 0
	s_cbranch_scc1 .LBB221_77
; %bb.78:                               ;   in Loop: Header=BB221_20 Depth=1
	v_mbcnt_lo_u32_b32 v11, exec_lo, 0
	s_mov_b32 s11, exec_lo
	s_delay_alu instid0(VALU_DEP_1)
	v_cmpx_eq_u32_e32 0, v11
	s_xor_b32 s11, exec_lo, s11
	s_cbranch_execz .LBB221_80
; %bb.79:                               ;   in Loop: Header=BB221_20 Depth=1
	v_mov_b32_e32 v11, s10
	ds_min_i32 v1, v11 offset:10304
.LBB221_80:                             ;   in Loop: Header=BB221_20 Depth=1
	s_or_b32 exec_lo, exec_lo, s9
	s_waitcnt lgkmcnt(0)
	s_waitcnt_vscnt null, 0x0
	s_barrier
	buffer_gl0_inv
	ds_load_b32 v12, v34
	s_waitcnt lgkmcnt(0)
	s_barrier
	buffer_gl0_inv
	s_and_saveexec_b32 s9, s5
	s_cbranch_execz .LBB221_82
; %bb.81:                               ;   in Loop: Header=BB221_20 Depth=1
	ds_load_b32 v11, v35
	s_waitcnt lgkmcnt(0)
	v_add_nc_u32_e32 v12, v11, v12
.LBB221_82:                             ;   in Loop: Header=BB221_20 Depth=1
	s_or_b32 exec_lo, exec_lo, s9
	s_barrier
	buffer_gl0_inv
	ds_store_b32 v34, v12
	s_waitcnt lgkmcnt(0)
	s_barrier
	buffer_gl0_inv
	s_and_saveexec_b32 s9, s6
	s_cbranch_execz .LBB221_84
; %bb.83:                               ;   in Loop: Header=BB221_20 Depth=1
	ds_load_b32 v11, v37
	s_waitcnt lgkmcnt(0)
	v_add_nc_u32_e32 v12, v11, v12
.LBB221_84:                             ;   in Loop: Header=BB221_20 Depth=1
	s_or_b32 exec_lo, exec_lo, s9
	s_barrier
	buffer_gl0_inv
	ds_store_b32 v34, v12
	;; [unrolled: 14-line block ×4, first 2 shown]
	s_waitcnt lgkmcnt(0)
	s_barrier
	buffer_gl0_inv
	ds_load_b32 v11, v1 offset:10300
	v_mov_b32_e32 v13, 0
	s_and_saveexec_b32 s9, s57
	s_cbranch_execz .LBB221_90
; %bb.89:                               ;   in Loop: Header=BB221_20 Depth=1
	ds_load_b32 v13, v35
.LBB221_90:                             ;   in Loop: Header=BB221_20 Depth=1
	s_or_b32 exec_lo, exec_lo, s9
	s_waitcnt lgkmcnt(0)
	v_cmp_eq_u32_e32 vcc_lo, v12, v13
	s_barrier
	buffer_gl0_inv
	s_and_b32 s10, s57, vcc_lo
	s_delay_alu instid0(SALU_CYCLE_1)
	s_and_saveexec_b32 s9, s10
	s_cbranch_execz .LBB221_92
; %bb.91:                               ;   in Loop: Header=BB221_20 Depth=1
	ds_store_b32 v34, v1
.LBB221_92:                             ;   in Loop: Header=BB221_20 Depth=1
	s_or_b32 exec_lo, exec_lo, s9
	v_add_co_u32 v12, vcc_lo, v9, -1
	v_add_co_ci_u32_e32 v13, vcc_lo, -1, v10, vcc_lo
	v_dual_mov_b32 v15, v46 :: v_dual_add_nc_u32 v14, s18, v48
	v_dual_mov_b32 v16, v27 :: v_dual_mov_b32 v17, v25
	s_mov_b32 s9, 0
	s_waitcnt lgkmcnt(0)
	s_barrier
	buffer_gl0_inv
	s_set_inst_prefetch_distance 0x1
	s_branch .LBB221_94
	.p2align	6
.LBB221_93:                             ;   in Loop: Header=BB221_94 Depth=2
	s_or_b32 exec_lo, exec_lo, s10
	v_add_nc_u32_e32 v18, 4, v17
	v_cmp_lt_u32_e32 vcc_lo, 11, v17
	v_add_nc_u32_e32 v16, 0x800, v16
	v_add_nc_u32_e32 v15, 16, v15
	s_delay_alu instid0(VALU_DEP_4) | instskip(SKIP_1) | instid1(SALU_CYCLE_1)
	v_mov_b32_e32 v17, v18
	s_or_b32 s9, vcc_lo, s9
	s_and_not1_b32 exec_lo, exec_lo, s9
	s_cbranch_execz .LBB221_19
.LBB221_94:                             ;   Parent Loop BB221_20 Depth=1
                                        ; =>  This Inner Loop Header: Depth=2
	ds_load_b32 v18, v15
	s_mov_b32 s10, exec_lo
	s_waitcnt lgkmcnt(0)
	v_cmpx_ne_u32_e32 0, v18
	s_cbranch_execz .LBB221_93
; %bb.95:                               ;   in Loop: Header=BB221_94 Depth=2
	v_ashrrev_i32_e32 v19, 31, v18
	v_add_co_u32 v20, vcc_lo, v9, v18
	v_add_nc_u32_e32 v22, v14, v17
	s_delay_alu instid0(VALU_DEP_3) | instskip(NEXT) | instid1(VALU_DEP_1)
	v_add_co_ci_u32_e32 v21, vcc_lo, v10, v19, vcc_lo
	v_lshlrev_b64 v[20:21], 2, v[20:21]
	s_delay_alu instid0(VALU_DEP_1) | instskip(NEXT) | instid1(VALU_DEP_2)
	v_add_co_u32 v20, vcc_lo, s61, v20
	v_add_co_ci_u32_e32 v21, vcc_lo, s62, v21, vcc_lo
	global_store_b32 v[20:21], v22, off
	s_and_b32 exec_lo, exec_lo, s2
	s_cbranch_execz .LBB221_93
; %bb.96:                               ;   in Loop: Header=BB221_94 Depth=2
	v_add_co_u32 v20, vcc_lo, v12, v18
	v_add_co_ci_u32_e32 v22, vcc_lo, v13, v19, vcc_lo
	s_delay_alu instid0(VALU_DEP_2) | instskip(NEXT) | instid1(VALU_DEP_1)
	v_mad_u64_u32 v[18:19], null, v20, s44, 0
	v_mad_u64_u32 v[20:21], null, v22, s44, v[19:20]
	ds_load_b64 v[21:22], v16
	v_mov_b32_e32 v19, v20
	s_delay_alu instid0(VALU_DEP_1) | instskip(NEXT) | instid1(VALU_DEP_1)
	v_lshlrev_b64 v[18:19], 3, v[18:19]
	v_add_co_u32 v18, vcc_lo, v41, v18
	s_delay_alu instid0(VALU_DEP_2)
	v_add_co_ci_u32_e32 v19, vcc_lo, v40, v19, vcc_lo
	s_waitcnt lgkmcnt(0)
	global_store_b64 v[18:19], v[21:22], off
	s_branch .LBB221_93
.LBB221_97:
	s_endpgm
	.section	.rodata,"a",@progbits
	.p2align	6, 0x0
	.amdhsa_kernel _ZN9rocsparseL38bsrgemm_block_per_row_atomic_multipassILj256ELj16ELj8Eli21rocsparse_complex_numIfEEEv20rocsparse_direction_T3_S4_PKS4_S6_NS_24const_host_device_scalarIT4_EEPKT2_S6_PKS8_SC_S6_SE_S9_SC_S6_SE_SC_PS4_PS8_PSA_21rocsparse_index_base_SI_SI_SI_bbb
		.amdhsa_group_segment_fixed_size 10308
		.amdhsa_private_segment_fixed_size 0
		.amdhsa_kernarg_size 172
		.amdhsa_user_sgpr_count 15
		.amdhsa_user_sgpr_dispatch_ptr 0
		.amdhsa_user_sgpr_queue_ptr 0
		.amdhsa_user_sgpr_kernarg_segment_ptr 1
		.amdhsa_user_sgpr_dispatch_id 0
		.amdhsa_user_sgpr_private_segment_size 0
		.amdhsa_wavefront_size32 1
		.amdhsa_uses_dynamic_stack 0
		.amdhsa_enable_private_segment 0
		.amdhsa_system_sgpr_workgroup_id_x 1
		.amdhsa_system_sgpr_workgroup_id_y 0
		.amdhsa_system_sgpr_workgroup_id_z 0
		.amdhsa_system_sgpr_workgroup_info 0
		.amdhsa_system_vgpr_workitem_id 0
		.amdhsa_next_free_vgpr 59
		.amdhsa_next_free_sgpr 66
		.amdhsa_reserve_vcc 1
		.amdhsa_float_round_mode_32 0
		.amdhsa_float_round_mode_16_64 0
		.amdhsa_float_denorm_mode_32 3
		.amdhsa_float_denorm_mode_16_64 3
		.amdhsa_dx10_clamp 1
		.amdhsa_ieee_mode 1
		.amdhsa_fp16_overflow 0
		.amdhsa_workgroup_processor_mode 1
		.amdhsa_memory_ordered 1
		.amdhsa_forward_progress 0
		.amdhsa_shared_vgpr_count 0
		.amdhsa_exception_fp_ieee_invalid_op 0
		.amdhsa_exception_fp_denorm_src 0
		.amdhsa_exception_fp_ieee_div_zero 0
		.amdhsa_exception_fp_ieee_overflow 0
		.amdhsa_exception_fp_ieee_underflow 0
		.amdhsa_exception_fp_ieee_inexact 0
		.amdhsa_exception_int_div_zero 0
	.end_amdhsa_kernel
	.section	.text._ZN9rocsparseL38bsrgemm_block_per_row_atomic_multipassILj256ELj16ELj8Eli21rocsparse_complex_numIfEEEv20rocsparse_direction_T3_S4_PKS4_S6_NS_24const_host_device_scalarIT4_EEPKT2_S6_PKS8_SC_S6_SE_S9_SC_S6_SE_SC_PS4_PS8_PSA_21rocsparse_index_base_SI_SI_SI_bbb,"axG",@progbits,_ZN9rocsparseL38bsrgemm_block_per_row_atomic_multipassILj256ELj16ELj8Eli21rocsparse_complex_numIfEEEv20rocsparse_direction_T3_S4_PKS4_S6_NS_24const_host_device_scalarIT4_EEPKT2_S6_PKS8_SC_S6_SE_S9_SC_S6_SE_SC_PS4_PS8_PSA_21rocsparse_index_base_SI_SI_SI_bbb,comdat
.Lfunc_end221:
	.size	_ZN9rocsparseL38bsrgemm_block_per_row_atomic_multipassILj256ELj16ELj8Eli21rocsparse_complex_numIfEEEv20rocsparse_direction_T3_S4_PKS4_S6_NS_24const_host_device_scalarIT4_EEPKT2_S6_PKS8_SC_S6_SE_S9_SC_S6_SE_SC_PS4_PS8_PSA_21rocsparse_index_base_SI_SI_SI_bbb, .Lfunc_end221-_ZN9rocsparseL38bsrgemm_block_per_row_atomic_multipassILj256ELj16ELj8Eli21rocsparse_complex_numIfEEEv20rocsparse_direction_T3_S4_PKS4_S6_NS_24const_host_device_scalarIT4_EEPKT2_S6_PKS8_SC_S6_SE_S9_SC_S6_SE_SC_PS4_PS8_PSA_21rocsparse_index_base_SI_SI_SI_bbb
                                        ; -- End function
	.section	.AMDGPU.csdata,"",@progbits
; Kernel info:
; codeLenInByte = 3772
; NumSgprs: 68
; NumVgprs: 59
; ScratchSize: 0
; MemoryBound: 0
; FloatMode: 240
; IeeeMode: 1
; LDSByteSize: 10308 bytes/workgroup (compile time only)
; SGPRBlocks: 8
; VGPRBlocks: 7
; NumSGPRsForWavesPerEU: 68
; NumVGPRsForWavesPerEU: 59
; Occupancy: 16
; WaveLimiterHint : 1
; COMPUTE_PGM_RSRC2:SCRATCH_EN: 0
; COMPUTE_PGM_RSRC2:USER_SGPR: 15
; COMPUTE_PGM_RSRC2:TRAP_HANDLER: 0
; COMPUTE_PGM_RSRC2:TGID_X_EN: 1
; COMPUTE_PGM_RSRC2:TGID_Y_EN: 0
; COMPUTE_PGM_RSRC2:TGID_Z_EN: 0
; COMPUTE_PGM_RSRC2:TIDIG_COMP_CNT: 0
	.section	.text._ZN9rocsparseL38bsrgemm_block_per_row_atomic_multipassILj256ELj32ELj8Eli21rocsparse_complex_numIfEEEv20rocsparse_direction_T3_S4_PKS4_S6_NS_24const_host_device_scalarIT4_EEPKT2_S6_PKS8_SC_S6_SE_S9_SC_S6_SE_SC_PS4_PS8_PSA_21rocsparse_index_base_SI_SI_SI_bbb,"axG",@progbits,_ZN9rocsparseL38bsrgemm_block_per_row_atomic_multipassILj256ELj32ELj8Eli21rocsparse_complex_numIfEEEv20rocsparse_direction_T3_S4_PKS4_S6_NS_24const_host_device_scalarIT4_EEPKT2_S6_PKS8_SC_S6_SE_S9_SC_S6_SE_SC_PS4_PS8_PSA_21rocsparse_index_base_SI_SI_SI_bbb,comdat
	.globl	_ZN9rocsparseL38bsrgemm_block_per_row_atomic_multipassILj256ELj32ELj8Eli21rocsparse_complex_numIfEEEv20rocsparse_direction_T3_S4_PKS4_S6_NS_24const_host_device_scalarIT4_EEPKT2_S6_PKS8_SC_S6_SE_S9_SC_S6_SE_SC_PS4_PS8_PSA_21rocsparse_index_base_SI_SI_SI_bbb ; -- Begin function _ZN9rocsparseL38bsrgemm_block_per_row_atomic_multipassILj256ELj32ELj8Eli21rocsparse_complex_numIfEEEv20rocsparse_direction_T3_S4_PKS4_S6_NS_24const_host_device_scalarIT4_EEPKT2_S6_PKS8_SC_S6_SE_S9_SC_S6_SE_SC_PS4_PS8_PSA_21rocsparse_index_base_SI_SI_SI_bbb
	.p2align	8
	.type	_ZN9rocsparseL38bsrgemm_block_per_row_atomic_multipassILj256ELj32ELj8Eli21rocsparse_complex_numIfEEEv20rocsparse_direction_T3_S4_PKS4_S6_NS_24const_host_device_scalarIT4_EEPKT2_S6_PKS8_SC_S6_SE_S9_SC_S6_SE_SC_PS4_PS8_PSA_21rocsparse_index_base_SI_SI_SI_bbb,@function
_ZN9rocsparseL38bsrgemm_block_per_row_atomic_multipassILj256ELj32ELj8Eli21rocsparse_complex_numIfEEEv20rocsparse_direction_T3_S4_PKS4_S6_NS_24const_host_device_scalarIT4_EEPKT2_S6_PKS8_SC_S6_SE_S9_SC_S6_SE_SC_PS4_PS8_PSA_21rocsparse_index_base_SI_SI_SI_bbb: ; @_ZN9rocsparseL38bsrgemm_block_per_row_atomic_multipassILj256ELj32ELj8Eli21rocsparse_complex_numIfEEEv20rocsparse_direction_T3_S4_PKS4_S6_NS_24const_host_device_scalarIT4_EEPKT2_S6_PKS8_SC_S6_SE_S9_SC_S6_SE_SC_PS4_PS8_PSA_21rocsparse_index_base_SI_SI_SI_bbb
; %bb.0:
	s_clause 0x5
	s_load_b32 s3, s[0:1], 0xa8
	s_load_b256 s[16:23], s[0:1], 0x88
	s_load_b256 s[24:31], s[0:1], 0x68
	;; [unrolled: 1-line block ×3, first 2 shown]
	s_load_b128 s[4:7], s[0:1], 0x10
	s_load_b256 s[44:51], s[0:1], 0x28
	s_mov_b32 s2, s15
	s_mov_b32 s35, 0
	;; [unrolled: 1-line block ×3, first 2 shown]
	s_waitcnt lgkmcnt(0)
	s_bitcmp1_b32 s3, 0
	s_cselect_b32 s8, -1, 0
	s_bitcmp1_b32 s3, 16
	s_cselect_b32 s9, -1, 0
	s_delay_alu instid0(SALU_CYCLE_1) | instskip(SKIP_2) | instid1(VALU_DEP_1)
	s_xor_b32 s9, s9, -1
	s_bitcmp0_b32 s3, 0
	v_cndmask_b32_e64 v1, 0, 1, s9
	v_cmp_ne_u32_e32 vcc_lo, 1, v1
	s_cbranch_scc1 .LBB222_5
; %bb.1:
	s_load_b64 s[34:35], s[0:1], 0x20
	s_and_b32 vcc_lo, exec_lo, vcc_lo
	s_waitcnt lgkmcnt(0)
	s_mov_b32 s33, s34
	s_cbranch_vccnz .LBB222_3
; %bb.2:
	s_load_b32 s33, s[34:35], 0x0
.LBB222_3:
	s_and_not1_b32 vcc_lo, exec_lo, s9
	s_cbranch_vccnz .LBB222_5
; %bb.4:
	s_load_b32 s35, s[34:35], 0x4
.LBB222_5:
	s_bitcmp1_b32 s3, 8
	s_mov_b32 s59, 0
	s_cselect_b32 s34, -1, 0
	s_bfe_u32 s3, s3, 0x10008
	s_mov_b32 s58, 0
	s_cmp_eq_u32 s3, 0
	s_cbranch_scc1 .LBB222_11
; %bb.6:
	v_cmp_ne_u32_e32 vcc_lo, 1, v1
	s_mov_b32 s58, s40
	s_cbranch_vccnz .LBB222_8
; %bb.7:
	s_load_b32 s58, s[40:41], 0x0
.LBB222_8:
	v_cmp_ne_u32_e32 vcc_lo, 1, v1
	s_cbranch_vccnz .LBB222_10
; %bb.9:
	s_load_b32 s41, s[40:41], 0x4
.LBB222_10:
	s_waitcnt lgkmcnt(0)
	s_mov_b32 s59, s41
.LBB222_11:
	s_cmp_eq_u64 s[6:7], 0
	s_mov_b64 s[40:41], 0
	s_cbranch_scc1 .LBB222_13
; %bb.12:
	s_load_b32 s3, s[4:5], 0x0
	s_waitcnt lgkmcnt(0)
	s_add_i32 s2, s3, s2
	s_mov_b32 s3, 0
	s_delay_alu instid0(SALU_CYCLE_1) | instskip(NEXT) | instid1(SALU_CYCLE_1)
	s_lshl_b64 s[2:3], s[2:3], 2
	s_add_u32 s2, s6, s2
	s_addc_u32 s3, s7, s3
	s_load_b32 s2, s[2:3], 0x0
.LBB222_13:
	s_and_not1_b32 vcc_lo, exec_lo, s8
	s_cbranch_vccz .LBB222_16
; %bb.14:
	s_and_not1_b32 vcc_lo, exec_lo, s8
	s_mov_b64 s[56:57], 0
	s_cbranch_vccz .LBB222_17
.LBB222_15:
	s_load_b128 s[52:55], s[0:1], 0x0
	s_waitcnt lgkmcnt(0)
	s_cmp_lt_i32 s53, 1
	s_cbranch_scc0 .LBB222_18
	s_branch .LBB222_103
.LBB222_16:
	s_waitcnt lgkmcnt(0)
	s_ashr_i32 s3, s2, 31
	s_delay_alu instid0(SALU_CYCLE_1) | instskip(NEXT) | instid1(SALU_CYCLE_1)
	s_lshl_b64 s[4:5], s[2:3], 3
	s_add_u32 s4, s44, s4
	s_addc_u32 s5, s45, s5
	s_load_b64 s[4:5], s[4:5], 0x0
	s_waitcnt lgkmcnt(0)
	s_sub_u32 s40, s4, s20
	s_subb_u32 s41, s5, 0
	s_and_not1_b32 vcc_lo, exec_lo, s8
	s_mov_b64 s[56:57], 0
	s_cbranch_vccnz .LBB222_15
.LBB222_17:
	s_waitcnt lgkmcnt(0)
	s_ashr_i32 s3, s2, 31
	s_delay_alu instid0(SALU_CYCLE_1) | instskip(NEXT) | instid1(SALU_CYCLE_1)
	s_lshl_b64 s[4:5], s[2:3], 3
	s_add_u32 s4, s44, s4
	s_addc_u32 s5, s45, s5
	s_load_b64 s[4:5], s[4:5], 0x8
	s_waitcnt lgkmcnt(0)
	s_sub_u32 s56, s4, s20
	s_subb_u32 s57, s5, 0
	s_load_b128 s[52:55], s[0:1], 0x0
	s_waitcnt lgkmcnt(0)
	s_cmp_lt_i32 s53, 1
	s_cbranch_scc1 .LBB222_103
.LBB222_18:
	s_ashr_i32 s3, s2, 31
	v_bfe_u32 v3, v0, 3, 3
	s_lshl_b64 s[6:7], s[2:3], 3
	v_dual_mov_b32 v1, 0 :: v_dual_and_b32 v6, 63, v0
	s_add_u32 s0, s28, s6
	s_addc_u32 s1, s29, s7
	v_and_b32_e32 v28, 7, v0
	s_load_b64 s[4:5], s[0:1], 0x0
	v_mul_lo_u32 v2, v3, s54
	v_dual_mov_b32 v5, v1 :: v_dual_and_b32 v14, 31, v0
	s_delay_alu instid0(VALU_DEP_3)
	v_max_i32_e32 v7, v28, v3
	v_mov_b32_e32 v3, v1
	v_mul_lo_u32 v4, v28, s54
	v_lshlrev_b32_e32 v9, 3, v28
	v_lshrrev_b32_e32 v27, 6, v0
	v_cmp_gt_i32_e64 s2, s54, v7
	v_lshlrev_b64 v[2:3], 3, v[2:3]
	v_cmp_le_i32_e64 s3, s54, v7
	v_cmp_lt_i64_e64 s9, s[40:41], s[56:57]
	s_mov_b32 s45, 0
	v_lshlrev_b64 v[4:5], 3, v[4:5]
	v_cmp_gt_u32_e64 s0, 32, v0
	v_add_co_u32 v7, vcc_lo, s48, v2
	v_add_co_ci_u32_e32 v8, vcc_lo, s49, v3, vcc_lo
	s_waitcnt lgkmcnt(0)
	s_sub_u32 s14, s4, s22
	s_delay_alu instid0(VALU_DEP_2) | instskip(NEXT) | instid1(VALU_DEP_1)
	v_add_co_u32 v32, s4, v7, v9
	v_add_co_ci_u32_e64 v33, s4, 0, v8, s4
	s_subb_u32 s15, s5, 0
	v_and_b32_e32 v31, 56, v0
	v_add_co_u32 v7, s4, s26, v4
	s_delay_alu instid0(VALU_DEP_1)
	v_add_co_ci_u32_e64 v8, s4, s27, v5, s4
	v_add_co_u32 v10, vcc_lo, s16, v4
	v_sub_co_u32 v34, s4, v27, s23
	v_add_co_ci_u32_e32 v11, vcc_lo, s17, v5, vcc_lo
	v_sub_co_ci_u32_e64 v35, null, 0, 0, s4
	v_add_co_u32 v7, s4, v7, v31
	v_add_co_u32 v12, vcc_lo, s16, v2
	v_add_co_ci_u32_e64 v8, s4, 0, v8, s4
	v_add_co_ci_u32_e32 v13, vcc_lo, s17, v3, vcc_lo
	v_add_co_u32 v2, s4, s26, v2
	v_add_co_u32 v10, vcc_lo, v10, v31
	v_add_co_ci_u32_e64 v3, s4, s27, v3, s4
	v_add_co_ci_u32_e32 v11, vcc_lo, 0, v11, vcc_lo
	v_add_co_u32 v12, vcc_lo, v12, v9
	s_cmp_eq_u32 s52, 0
	v_add_co_u32 v2, s4, v2, v9
	v_add_co_ci_u32_e32 v13, vcc_lo, 0, v13, vcc_lo
	s_cselect_b32 vcc_lo, -1, 0
	v_dual_cndmask_b32 v44, v10, v12 :: v_dual_lshlrev_b32 v15, 2, v14
	v_add_co_ci_u32_e64 v3, s4, 0, v3, s4
	v_lshlrev_b32_e32 v29, 3, v0
	v_cmp_eq_u32_e64 s4, 63, v6
	s_delay_alu instid0(VALU_DEP_4)
	v_dual_cndmask_b32 v43, v11, v13 :: v_dual_add_nc_u32 v40, 0x47f0, v15
	v_or_b32_e32 v6, 0x400, v0
	v_cndmask_b32_e32 v8, v8, v3, vcc_lo
	v_cndmask_b32_e32 v2, v7, v2, vcc_lo
	v_add_co_u32 v3, vcc_lo, v4, s38
	v_add_co_ci_u32_e32 v4, vcc_lo, s39, v5, vcc_lo
	v_add_co_u32 v5, s13, v9, s38
	v_cmp_gt_u32_e64 s10, 0x700, v6
	v_add_co_ci_u32_e64 v6, null, 0, s39, s13
	v_add_co_u32 v3, vcc_lo, v3, 4
	v_add_co_ci_u32_e32 v4, vcc_lo, 0, v4, vcc_lo
	v_add_co_u32 v5, vcc_lo, v5, 4
	s_cmp_lg_u32 s52, 0
	v_add_co_ci_u32_e32 v6, vcc_lo, 0, v6, vcc_lo
	v_cmp_eq_u32_e64 s1, 0, v0
	v_add_co_u32 v16, s61, v14, -1
	v_lshl_or_b32 v38, v0, 2, 0x4800
	v_cmp_gt_u32_e64 s11, 0x200, v0
	v_cmp_gt_u32_e64 s12, 0x100, v0
	v_dual_mov_b32 v9, s14 :: v_dual_lshlrev_b32 v0, 9, v27
	v_add_co_u32 v7, vcc_lo, v2, 4
	s_cselect_b32 s48, -1, 0
	s_cmp_gt_i32 s54, 0
	v_add_co_ci_u32_e32 v8, vcc_lo, 0, v8, vcc_lo
	v_mov_b32_e32 v10, s15
	s_mov_b32 s14, s45
	s_cselect_b32 s52, -1, 0
	s_add_u32 s16, s42, s6
	s_movk_i32 s13, 0x7c0
	v_add_co_u32 v46, vcc_lo, v34, 4
	s_mov_b32 s15, s45
	s_addc_u32 s17, s43, s7
	s_and_b32 s62, s8, s9
	v_mov_b32_e32 v11, s14
	v_or_b32_e32 v30, 0x4000, v29
	v_or_b32_e32 v36, 0x4800, v15
	v_lshl_add_u32 v37, v16, 2, 0x4800
	v_cmp_ne_u32_e64 s5, 0, v14
	v_cmp_lt_u32_e64 s6, 1, v14
	v_dual_mov_b32 v12, s15 :: v_dual_add_nc_u32 v39, 0x47f8, v15
	v_cmp_lt_u32_e64 s7, 3, v14
	v_cmp_lt_u32_e64 s8, 7, v14
	v_dual_mov_b32 v50, 0 :: v_dual_add_nc_u32 v41, 0x47e0, v15
	v_cmp_lt_u32_e64 s9, 15, v14
	v_dual_mov_b32 v51, 32 :: v_dual_add_nc_u32 v42, 0x47c0, v15
	s_add_u32 s63, s50, 8
	v_or3_b32 v0, v0, v31, 0x4000
	v_and_or_b32 v45, v29, s13, 0x4000
	v_add_co_ci_u32_e32 v47, vcc_lo, 0, v35, vcc_lo
	v_lshl_or_b32 v48, v27, 2, 0x4800
	v_mov_b32_e32 v49, 1
	s_mul_i32 s44, s54, s54
	s_addc_u32 s64, s51, 0
	s_mov_b32 s55, s45
	s_add_u32 s65, s30, -4
	s_mov_b32 s49, s21
	s_mov_b32 s60, s23
	s_addc_u32 s66, s31, -1
	s_lshl_b64 s[26:27], s[44:45], 3
	s_lshl_b64 s[38:39], s[54:55], 3
	;; [unrolled: 1-line block ×3, first 2 shown]
	s_branch .LBB222_20
.LBB222_19:                             ;   in Loop: Header=BB222_20 Depth=1
	s_set_inst_prefetch_distance 0x2
	s_or_b32 exec_lo, exec_lo, s13
	s_waitcnt_vscnt null, 0x0
	s_barrier
	buffer_gl0_inv
	ds_load_b32 v50, v1 offset:18560
	v_ashrrev_i32_e32 v13, 31, v2
	v_add_co_u32 v9, s13, v9, v2
	s_waitcnt lgkmcnt(0)
	s_barrier
	s_delay_alu instid0(VALU_DEP_2)
	v_add_co_ci_u32_e64 v10, s13, v10, v13, s13
	buffer_gl0_inv
	v_cmp_le_i32_e32 vcc_lo, s53, v50
	v_add_nc_u32_e32 v51, 32, v50
	s_cbranch_vccnz .LBB222_103
.LBB222_20:                             ; =>This Loop Header: Depth=1
                                        ;     Child Loop BB222_33 Depth 2
                                        ;       Child Loop BB222_47 Depth 3
                                        ;         Child Loop BB222_56 Depth 4
                                        ;         Child Loop BB222_61 Depth 4
                                        ;     Child Loop BB222_72 Depth 2
                                        ;     Child Loop BB222_81 Depth 2
	;; [unrolled: 1-line block ×3, first 2 shown]
	s_and_saveexec_b32 s13, s0
	s_cbranch_execz .LBB222_22
; %bb.21:                               ;   in Loop: Header=BB222_20 Depth=1
	ds_store_b32 v38, v1
.LBB222_22:                             ;   in Loop: Header=BB222_20 Depth=1
	s_or_b32 exec_lo, exec_lo, s13
	ds_store_2addr_stride64_b64 v29, v[11:12], v[11:12] offset1:4
	ds_store_2addr_stride64_b64 v29, v[11:12], v[11:12] offset0:8 offset1:12
	ds_store_b64 v29, v[11:12] offset:8192
	s_and_saveexec_b32 s13, s10
	s_delay_alu instid0(SALU_CYCLE_1)
	s_xor_b32 s13, exec_lo, s13
	s_cbranch_execz .LBB222_28
; %bb.23:                               ;   in Loop: Header=BB222_20 Depth=1
	v_mov_b32_e32 v2, v1
	ds_store_b64 v29, v[1:2] offset:10240
	s_and_saveexec_b32 s14, s11
	s_delay_alu instid0(SALU_CYCLE_1)
	s_xor_b32 s14, exec_lo, s14
	s_cbranch_execz .LBB222_27
; %bb.24:                               ;   in Loop: Header=BB222_20 Depth=1
	ds_store_b64 v29, v[1:2] offset:12288
	s_and_saveexec_b32 s15, s12
	s_delay_alu instid0(SALU_CYCLE_1)
	s_xor_b32 s15, exec_lo, s15
	s_cbranch_execz .LBB222_26
; %bb.25:                               ;   in Loop: Header=BB222_20 Depth=1
	v_mov_b32_e32 v2, v1
	ds_store_b64 v29, v[1:2] offset:14336
.LBB222_26:                             ;   in Loop: Header=BB222_20 Depth=1
	s_or_b32 exec_lo, exec_lo, s15
.LBB222_27:                             ;   in Loop: Header=BB222_20 Depth=1
	s_delay_alu instid0(SALU_CYCLE_1)
	s_or_b32 exec_lo, exec_lo, s14
.LBB222_28:                             ;   in Loop: Header=BB222_20 Depth=1
	s_delay_alu instid0(SALU_CYCLE_1)
	s_or_b32 exec_lo, exec_lo, s13
	s_and_saveexec_b32 s13, s1
	s_cbranch_execz .LBB222_30
; %bb.29:                               ;   in Loop: Header=BB222_20 Depth=1
	v_mov_b32_e32 v2, s53
	ds_store_b32 v1, v2 offset:18560
.LBB222_30:                             ;   in Loop: Header=BB222_20 Depth=1
	s_or_b32 exec_lo, exec_lo, s13
	v_mov_b32_e32 v52, s53
	s_and_not1_b32 vcc_lo, exec_lo, s62
	s_waitcnt lgkmcnt(0)
	s_barrier
	buffer_gl0_inv
	s_cbranch_vccnz .LBB222_67
; %bb.31:                               ;   in Loop: Header=BB222_20 Depth=1
	v_cmp_ne_u32_e64 s13, 0, v50
	v_mov_b32_e32 v52, s53
	s_mov_b64 s[28:29], s[40:41]
	s_branch .LBB222_33
.LBB222_32:                             ;   in Loop: Header=BB222_33 Depth=2
	s_or_b32 exec_lo, exec_lo, s15
	s_add_u32 s28, s28, 4
	s_addc_u32 s29, s29, 0
	s_delay_alu instid0(SALU_CYCLE_1) | instskip(NEXT) | instid1(VALU_DEP_1)
	v_cmp_lt_i64_e64 s14, s[28:29], s[56:57]
	s_and_b32 vcc_lo, exec_lo, s14
	s_cbranch_vccz .LBB222_67
.LBB222_33:                             ;   Parent Loop BB222_20 Depth=1
                                        ; =>  This Loop Header: Depth=2
                                        ;       Child Loop BB222_47 Depth 3
                                        ;         Child Loop BB222_56 Depth 4
                                        ;         Child Loop BB222_61 Depth 4
	v_add_co_u32 v13, s14, s28, v27
	s_delay_alu instid0(VALU_DEP_1) | instskip(NEXT) | instid1(VALU_DEP_1)
	v_add_co_ci_u32_e64 v14, null, s29, 0, s14
	s_waitcnt_vscnt null, 0x0
	s_barrier
	buffer_gl0_inv
	v_cmp_gt_i64_e64 s14, s[56:57], v[13:14]
	s_delay_alu instid0(VALU_DEP_1)
	s_and_saveexec_b32 s15, s14
	s_cbranch_execz .LBB222_38
; %bb.34:                               ;   in Loop: Header=BB222_33 Depth=2
	s_and_saveexec_b32 s30, s3
	s_delay_alu instid0(SALU_CYCLE_1)
	s_xor_b32 s30, exec_lo, s30
	s_cbranch_execz .LBB222_36
; %bb.35:                               ;   in Loop: Header=BB222_33 Depth=2
	v_mov_b32_e32 v2, v1
	ds_store_b64 v30, v[1:2]
.LBB222_36:                             ;   in Loop: Header=BB222_33 Depth=2
	s_and_not1_saveexec_b32 s30, s30
	s_cbranch_execz .LBB222_38
; %bb.37:                               ;   in Loop: Header=BB222_33 Depth=2
	v_mad_u64_u32 v[15:16], null, v13, s44, 0
	s_delay_alu instid0(VALU_DEP_1) | instskip(NEXT) | instid1(VALU_DEP_1)
	v_mov_b32_e32 v2, v16
	v_mad_u64_u32 v[16:17], null, v14, s44, v[2:3]
	s_delay_alu instid0(VALU_DEP_1) | instskip(NEXT) | instid1(VALU_DEP_1)
	v_lshlrev_b64 v[15:16], 3, v[15:16]
	v_add_co_u32 v15, vcc_lo, v32, v15
	s_delay_alu instid0(VALU_DEP_2)
	v_add_co_ci_u32_e32 v16, vcc_lo, v33, v16, vcc_lo
	global_load_b64 v[15:16], v[15:16], off
	s_waitcnt vmcnt(0)
	ds_store_b64 v30, v[15:16]
.LBB222_38:                             ;   in Loop: Header=BB222_33 Depth=2
	s_or_b32 exec_lo, exec_lo, s15
	v_mov_b32_e32 v15, 0
	v_mov_b32_e32 v16, 0
	s_waitcnt lgkmcnt(0)
	s_barrier
	buffer_gl0_inv
	s_and_saveexec_b32 s30, s14
	s_cbranch_execz .LBB222_64
; %bb.39:                               ;   in Loop: Header=BB222_33 Depth=2
	v_lshlrev_b64 v[15:16], 2, v[13:14]
	s_delay_alu instid0(VALU_DEP_1) | instskip(NEXT) | instid1(VALU_DEP_2)
	v_add_co_u32 v15, vcc_lo, s46, v15
	v_add_co_ci_u32_e32 v16, vcc_lo, s47, v16, vcc_lo
	s_and_b32 vcc_lo, exec_lo, s13
	global_load_b32 v2, v[15:16], off
	s_waitcnt vmcnt(0)
	v_subrev_nc_u32_e32 v17, s20, v2
	s_delay_alu instid0(VALU_DEP_1)
	v_ashrrev_i32_e32 v18, 31, v17
	s_cbranch_vccz .LBB222_66
; %bb.40:                               ;   in Loop: Header=BB222_33 Depth=2
	v_lshlrev_b64 v[15:16], 3, v[13:14]
	s_delay_alu instid0(VALU_DEP_1) | instskip(NEXT) | instid1(VALU_DEP_2)
	v_add_co_u32 v15, vcc_lo, s18, v15
	v_add_co_ci_u32_e32 v16, vcc_lo, s19, v16, vcc_lo
	global_load_b64 v[15:16], v[15:16], off
	s_cbranch_execnz .LBB222_42
.LBB222_41:                             ;   in Loop: Header=BB222_33 Depth=2
	s_waitcnt vmcnt(0)
	s_delay_alu instid0(VALU_DEP_1) | instskip(NEXT) | instid1(VALU_DEP_1)
	v_lshlrev_b64 v[15:16], 3, v[17:18]
	v_add_co_u32 v15, vcc_lo, s50, v15
	s_delay_alu instid0(VALU_DEP_2)
	v_add_co_ci_u32_e32 v16, vcc_lo, s51, v16, vcc_lo
	global_load_b64 v[15:16], v[15:16], off
	s_waitcnt vmcnt(0)
	v_sub_co_u32 v15, vcc_lo, v15, s49
	v_subrev_co_ci_u32_e32 v16, vcc_lo, 0, v16, vcc_lo
.LBB222_42:                             ;   in Loop: Header=BB222_33 Depth=2
	v_lshlrev_b64 v[17:18], 3, v[17:18]
	s_mov_b32 s31, exec_lo
	s_delay_alu instid0(VALU_DEP_1) | instskip(NEXT) | instid1(VALU_DEP_2)
	v_add_co_u32 v17, vcc_lo, s63, v17
	v_add_co_ci_u32_e32 v18, vcc_lo, s64, v18, vcc_lo
	global_load_b64 v[17:18], v[17:18], off
	s_waitcnt vmcnt(0)
	v_sub_co_u32 v17, vcc_lo, v17, s49
	v_subrev_co_ci_u32_e32 v18, vcc_lo, 0, v18, vcc_lo
	s_delay_alu instid0(VALU_DEP_1)
	v_cmpx_lt_i64_e64 v[15:16], v[17:18]
	s_cbranch_execz .LBB222_63
; %bb.43:                               ;   in Loop: Header=BB222_33 Depth=2
	v_mad_u64_u32 v[19:20], null, s26, v15, v[3:4]
	v_mul_lo_u32 v2, s26, v16
	v_mul_lo_u32 v23, s27, v15
	v_mad_u64_u32 v[21:22], null, s26, v15, v[5:6]
	s_mov_b32 s45, 0
	s_delay_alu instid0(VALU_DEP_2) | instskip(NEXT) | instid1(VALU_DEP_2)
	v_add3_u32 v20, v23, v20, v2
	v_add3_u32 v22, v23, v22, v2
	v_dual_mov_b32 v24, v16 :: v_dual_mov_b32 v23, v15
	s_branch .LBB222_47
.LBB222_44:                             ;   in Loop: Header=BB222_47 Depth=3
	s_delay_alu instid0(VALU_DEP_1) | instskip(SKIP_1) | instid1(VALU_DEP_2)
	v_mul_f32_e64 v25, v54, -s35
	v_lshlrev_b32_e32 v2, 6, v2
	v_dual_mul_f32 v26, s33, v54 :: v_dual_fmac_f32 v25, s33, v53
	s_delay_alu instid0(VALU_DEP_2) | instskip(NEXT) | instid1(VALU_DEP_2)
	v_or3_b32 v2, v2, v31, v28
	v_fmac_f32_e32 v26, s35, v53
	s_delay_alu instid0(VALU_DEP_2)
	v_lshlrev_b32_e32 v2, 3, v2
	ds_add_f32 v2, v25
	ds_add_f32 v2, v26 offset:4
.LBB222_45:                             ;   in Loop: Header=BB222_47 Depth=3
	s_or_b32 exec_lo, exec_lo, s68
	s_delay_alu instid0(SALU_CYCLE_1)
	s_or_b32 s55, s55, exec_lo
.LBB222_46:                             ;   in Loop: Header=BB222_47 Depth=3
	s_or_b32 exec_lo, exec_lo, s67
	v_add_co_u32 v23, vcc_lo, v23, 1
	v_add_co_ci_u32_e32 v24, vcc_lo, 0, v24, vcc_lo
	v_add_co_u32 v19, s15, v19, s26
	s_xor_b32 s55, s55, -1
	s_delay_alu instid0(VALU_DEP_2)
	v_cmp_ge_i64_e32 vcc_lo, v[23:24], v[17:18]
	v_add_co_ci_u32_e64 v20, s15, s27, v20, s15
	s_or_b32 s15, s55, vcc_lo
	v_add_co_u32 v21, vcc_lo, v21, s26
	v_add_co_ci_u32_e32 v22, vcc_lo, s27, v22, vcc_lo
	s_and_b32 s15, exec_lo, s15
	s_delay_alu instid0(SALU_CYCLE_1) | instskip(NEXT) | instid1(SALU_CYCLE_1)
	s_or_b32 s45, s15, s45
	s_and_not1_b32 exec_lo, exec_lo, s45
	s_cbranch_execz .LBB222_62
.LBB222_47:                             ;   Parent Loop BB222_20 Depth=1
                                        ;     Parent Loop BB222_33 Depth=2
                                        ; =>    This Loop Header: Depth=3
                                        ;         Child Loop BB222_56 Depth 4
                                        ;         Child Loop BB222_61 Depth 4
	s_delay_alu instid0(VALU_DEP_1) | instskip(NEXT) | instid1(VALU_DEP_1)
	v_lshlrev_b64 v[25:26], 2, v[23:24]
                                        ; implicit-def: $sgpr55
	v_add_co_u32 v25, vcc_lo, s36, v25
	s_delay_alu instid0(VALU_DEP_2) | instskip(SKIP_3) | instid1(VALU_DEP_1)
	v_add_co_ci_u32_e32 v26, vcc_lo, s37, v26, vcc_lo
	global_load_b32 v2, v[25:26], off
	s_waitcnt vmcnt(0)
	v_subrev_nc_u32_e32 v2, s21, v2
	v_cmp_lt_i32_e64 s15, v2, v50
	v_cmp_ge_i32_e32 vcc_lo, v2, v51
	s_delay_alu instid0(VALU_DEP_2) | instskip(NEXT) | instid1(SALU_CYCLE_1)
	s_or_b32 s15, s15, vcc_lo
	s_and_saveexec_b32 s67, s15
	s_delay_alu instid0(SALU_CYCLE_1)
	s_xor_b32 s15, exec_lo, s67
	s_cbranch_execz .LBB222_51
; %bb.48:                               ;   in Loop: Header=BB222_47 Depth=3
	s_mov_b32 s55, -1
	s_and_saveexec_b32 s67, vcc_lo
; %bb.49:                               ;   in Loop: Header=BB222_47 Depth=3
	v_min_i32_e32 v52, v2, v52
	v_dual_mov_b32 v15, v23 :: v_dual_mov_b32 v16, v24
	s_xor_b32 s55, exec_lo, -1
; %bb.50:                               ;   in Loop: Header=BB222_47 Depth=3
	s_or_b32 exec_lo, exec_lo, s67
	s_delay_alu instid0(SALU_CYCLE_1)
	s_and_b32 s55, s55, exec_lo
                                        ; implicit-def: $vgpr2
.LBB222_51:                             ;   in Loop: Header=BB222_47 Depth=3
	s_and_not1_saveexec_b32 s67, s15
	s_cbranch_execz .LBB222_46
; %bb.52:                               ;   in Loop: Header=BB222_47 Depth=3
	v_sub_nc_u32_e32 v2, v2, v50
	s_delay_alu instid0(VALU_DEP_1)
	v_lshlrev_b32_e32 v25, 2, v2
	ds_store_b32 v25, v49 offset:18432
	s_and_saveexec_b32 s68, s2
	s_cbranch_execz .LBB222_45
; %bb.53:                               ;   in Loop: Header=BB222_47 Depth=3
	v_cndmask_b32_e64 v25, 0, 1, s52
	s_and_not1_b32 vcc_lo, exec_lo, s48
	s_delay_alu instid0(VALU_DEP_1)
	v_cmp_ne_u32_e64 s15, 1, v25
	s_cbranch_vccnz .LBB222_58
; %bb.54:                               ;   in Loop: Header=BB222_47 Depth=3
	v_dual_mov_b32 v53, 0 :: v_dual_mov_b32 v54, 0
	s_delay_alu instid0(VALU_DEP_2)
	s_and_b32 vcc_lo, exec_lo, s15
	s_mov_b32 s15, 0
	s_cbranch_vccnz .LBB222_57
; %bb.55:                               ;   in Loop: Header=BB222_47 Depth=3
	v_dual_mov_b32 v53, 0 :: v_dual_mov_b32 v26, v20
	v_dual_mov_b32 v25, v19 :: v_dual_mov_b32 v54, 0
	v_mov_b32_e32 v55, v0
	s_mov_b32 s69, s54
.LBB222_56:                             ;   Parent Loop BB222_20 Depth=1
                                        ;     Parent Loop BB222_33 Depth=2
                                        ;       Parent Loop BB222_47 Depth=3
                                        ; =>      This Inner Loop Header: Depth=4
	global_load_b64 v[56:57], v[25:26], off offset:-4
	ds_load_b64 v[58:59], v55
	v_add_nc_u32_e32 v55, 64, v55
	v_add_co_u32 v25, vcc_lo, v25, 8
	v_add_co_ci_u32_e32 v26, vcc_lo, 0, v26, vcc_lo
	s_add_i32 s69, s69, -1
	s_delay_alu instid0(SALU_CYCLE_1) | instskip(SKIP_3) | instid1(VALU_DEP_2)
	s_cmp_lg_u32 s69, 0
	s_waitcnt vmcnt(0) lgkmcnt(0)
	v_fmac_f32_e32 v54, v59, v56
	v_fmac_f32_e32 v53, v58, v56
	;; [unrolled: 1-line block ×3, first 2 shown]
	s_delay_alu instid0(VALU_DEP_2)
	v_fma_f32 v53, -v59, v57, v53
	s_cbranch_scc1 .LBB222_56
.LBB222_57:                             ;   in Loop: Header=BB222_47 Depth=3
	s_and_not1_b32 vcc_lo, exec_lo, s15
	s_cbranch_vccnz .LBB222_44
	s_branch .LBB222_59
.LBB222_58:                             ;   in Loop: Header=BB222_47 Depth=3
                                        ; implicit-def: $vgpr53
                                        ; implicit-def: $vgpr54
.LBB222_59:                             ;   in Loop: Header=BB222_47 Depth=3
	v_dual_mov_b32 v53, 0 :: v_dual_mov_b32 v54, 0
	s_and_not1_b32 vcc_lo, exec_lo, s52
	s_cbranch_vccnz .LBB222_44
; %bb.60:                               ;   in Loop: Header=BB222_47 Depth=3
	v_dual_mov_b32 v53, 0 :: v_dual_mov_b32 v26, v22
	v_dual_mov_b32 v55, v45 :: v_dual_mov_b32 v54, 0
	v_mov_b32_e32 v25, v21
	s_mov_b32 s15, s54
	.p2align	6
.LBB222_61:                             ;   Parent Loop BB222_20 Depth=1
                                        ;     Parent Loop BB222_33 Depth=2
                                        ;       Parent Loop BB222_47 Depth=3
                                        ; =>      This Inner Loop Header: Depth=4
	global_load_b64 v[56:57], v[25:26], off offset:-4
	ds_load_b64 v[58:59], v55
	v_add_co_u32 v25, vcc_lo, v25, s38
	v_add_co_ci_u32_e32 v26, vcc_lo, s39, v26, vcc_lo
	s_add_i32 s15, s15, -1
	v_add_nc_u32_e32 v55, 8, v55
	s_cmp_eq_u32 s15, 0
	s_waitcnt vmcnt(0) lgkmcnt(0)
	v_fmac_f32_e32 v53, v58, v56
	v_fmac_f32_e32 v54, v59, v56
	s_delay_alu instid0(VALU_DEP_2) | instskip(NEXT) | instid1(VALU_DEP_2)
	v_fma_f32 v53, -v59, v57, v53
	v_fmac_f32_e32 v54, v58, v57
	s_cbranch_scc0 .LBB222_61
	s_branch .LBB222_44
.LBB222_62:                             ;   in Loop: Header=BB222_33 Depth=2
	s_or_b32 exec_lo, exec_lo, s45
.LBB222_63:                             ;   in Loop: Header=BB222_33 Depth=2
	s_delay_alu instid0(SALU_CYCLE_1)
	s_or_b32 exec_lo, exec_lo, s31
.LBB222_64:                             ;   in Loop: Header=BB222_33 Depth=2
	s_delay_alu instid0(SALU_CYCLE_1)
	s_or_b32 exec_lo, exec_lo, s30
	s_waitcnt lgkmcnt(0)
	s_barrier
	buffer_gl0_inv
	s_and_saveexec_b32 s15, s14
	s_cbranch_execz .LBB222_32
; %bb.65:                               ;   in Loop: Header=BB222_33 Depth=2
	v_lshlrev_b64 v[13:14], 3, v[13:14]
	s_delay_alu instid0(VALU_DEP_1) | instskip(NEXT) | instid1(VALU_DEP_2)
	v_add_co_u32 v13, vcc_lo, s18, v13
	v_add_co_ci_u32_e32 v14, vcc_lo, s19, v14, vcc_lo
	global_store_b64 v[13:14], v[15:16], off
	s_branch .LBB222_32
.LBB222_66:                             ;   in Loop: Header=BB222_33 Depth=2
                                        ; implicit-def: $vgpr15_vgpr16
	s_branch .LBB222_41
.LBB222_67:                             ;   in Loop: Header=BB222_20 Depth=1
	s_and_not1_b32 vcc_lo, exec_lo, s34
	s_cbranch_vccnz .LBB222_79
; %bb.68:                               ;   in Loop: Header=BB222_20 Depth=1
	s_load_b128 s[28:31], s[16:17], 0x0
	s_mov_b32 s15, exec_lo
	s_waitcnt lgkmcnt(0)
	v_add_co_u32 v15, vcc_lo, s28, v34
	v_add_co_ci_u32_e32 v16, vcc_lo, s29, v35, vcc_lo
	s_sub_u32 s30, s30, s60
	s_subb_u32 s31, s31, 0
	s_delay_alu instid0(VALU_DEP_1) | instid1(SALU_CYCLE_1)
	v_cmpx_gt_i64_e64 s[30:31], v[15:16]
	s_cbranch_execz .LBB222_78
; %bb.69:                               ;   in Loop: Header=BB222_20 Depth=1
	v_lshlrev_b64 v[17:18], 2, v[15:16]
	v_mad_u64_u32 v[13:14], null, s26, v15, v[7:8]
	v_mul_lo_u32 v2, s26, v16
	v_mul_lo_u32 v19, s27, v15
	s_delay_alu instid0(VALU_DEP_4) | instskip(SKIP_2) | instid1(VALU_DEP_4)
	v_add_co_u32 v15, vcc_lo, s24, v17
	v_add_co_ci_u32_e32 v16, vcc_lo, s25, v18, vcc_lo
	v_add_co_u32 v17, vcc_lo, v46, s28
	v_add3_u32 v14, v19, v14, v2
	v_add_co_ci_u32_e32 v18, vcc_lo, s29, v47, vcc_lo
	s_mov_b32 s28, 0
	s_branch .LBB222_72
.LBB222_70:                             ;   in Loop: Header=BB222_72 Depth=2
	s_or_b32 exec_lo, exec_lo, s29
	s_delay_alu instid0(SALU_CYCLE_1)
	s_or_b32 s13, s13, exec_lo
.LBB222_71:                             ;   in Loop: Header=BB222_72 Depth=2
	s_or_b32 exec_lo, exec_lo, s14
	v_cmp_le_i64_e32 vcc_lo, s[30:31], v[17:18]
	s_xor_b32 s14, s13, -1
	v_add_co_u32 v15, s13, v15, 16
	s_delay_alu instid0(VALU_DEP_1)
	v_add_co_ci_u32_e64 v16, s13, 0, v16, s13
	s_or_b32 s13, s14, vcc_lo
	v_add_co_u32 v13, vcc_lo, v13, s42
	v_add_co_ci_u32_e32 v14, vcc_lo, s43, v14, vcc_lo
	v_add_co_u32 v17, vcc_lo, v17, 4
	v_add_co_ci_u32_e32 v18, vcc_lo, 0, v18, vcc_lo
	s_and_b32 s13, exec_lo, s13
	s_delay_alu instid0(SALU_CYCLE_1) | instskip(NEXT) | instid1(SALU_CYCLE_1)
	s_or_b32 s28, s13, s28
	s_and_not1_b32 exec_lo, exec_lo, s28
	s_cbranch_execz .LBB222_77
.LBB222_72:                             ;   Parent Loop BB222_20 Depth=1
                                        ; =>  This Inner Loop Header: Depth=2
	global_load_b32 v2, v[15:16], off
	s_waitcnt vmcnt(0)
	v_subrev_nc_u32_e32 v2, s23, v2
	s_delay_alu instid0(VALU_DEP_1) | instskip(SKIP_2) | instid1(VALU_DEP_2)
	v_cmp_lt_i32_e64 s13, v2, v50
	v_cmp_ge_i32_e64 s14, v2, v51
	v_cmp_lt_i32_e32 vcc_lo, v2, v51
	s_or_b32 s14, s13, s14
                                        ; implicit-def: $sgpr13
	s_delay_alu instid0(SALU_CYCLE_1) | instskip(NEXT) | instid1(SALU_CYCLE_1)
	s_and_saveexec_b32 s29, s14
	s_xor_b32 s14, exec_lo, s29
; %bb.73:                               ;   in Loop: Header=BB222_72 Depth=2
	v_min_i32_e32 v2, v2, v52
	s_and_b32 s13, vcc_lo, exec_lo
	s_delay_alu instid0(VALU_DEP_1)
	v_cndmask_b32_e32 v52, v2, v52, vcc_lo
                                        ; implicit-def: $vgpr2
; %bb.74:                               ;   in Loop: Header=BB222_72 Depth=2
	s_and_not1_saveexec_b32 s14, s14
	s_cbranch_execz .LBB222_71
; %bb.75:                               ;   in Loop: Header=BB222_72 Depth=2
	v_sub_nc_u32_e32 v2, v2, v50
	s_delay_alu instid0(VALU_DEP_1)
	v_lshlrev_b32_e32 v19, 2, v2
	ds_store_b32 v19, v49 offset:18432
	s_and_saveexec_b32 s29, s2
	s_cbranch_execz .LBB222_70
; %bb.76:                               ;   in Loop: Header=BB222_72 Depth=2
	global_load_b64 v[19:20], v[13:14], off offset:-4
	s_waitcnt vmcnt(0)
	v_mul_f32_e64 v21, v20, -s59
	v_lshlrev_b32_e32 v2, 6, v2
	s_delay_alu instid0(VALU_DEP_2) | instskip(NEXT) | instid1(VALU_DEP_2)
	v_dual_mul_f32 v20, s58, v20 :: v_dual_fmac_f32 v21, s58, v19
	v_or3_b32 v2, v2, v31, v28
	s_delay_alu instid0(VALU_DEP_2) | instskip(NEXT) | instid1(VALU_DEP_2)
	v_fmac_f32_e32 v20, s59, v19
	v_lshlrev_b32_e32 v2, 3, v2
	ds_add_f32 v2, v21
	ds_add_f32 v2, v20 offset:4
	s_branch .LBB222_70
.LBB222_77:                             ;   in Loop: Header=BB222_20 Depth=1
	s_or_b32 exec_lo, exec_lo, s28
.LBB222_78:                             ;   in Loop: Header=BB222_20 Depth=1
	s_delay_alu instid0(SALU_CYCLE_1)
	s_or_b32 exec_lo, exec_lo, s15
.LBB222_79:                             ;   in Loop: Header=BB222_20 Depth=1
	s_and_saveexec_b32 s13, s4
	s_cbranch_execz .LBB222_84
; %bb.80:                               ;   in Loop: Header=BB222_20 Depth=1
	s_mov_b32 s15, exec_lo
	s_brev_b32 s14, -2
.LBB222_81:                             ;   Parent Loop BB222_20 Depth=1
                                        ; =>  This Inner Loop Header: Depth=2
	s_ctz_i32_b32 s28, s15
	s_delay_alu instid0(SALU_CYCLE_1) | instskip(SKIP_1) | instid1(SALU_CYCLE_1)
	v_readlane_b32 s29, v52, s28
	s_lshl_b32 s28, 1, s28
	s_and_not1_b32 s15, s15, s28
	s_delay_alu instid0(VALU_DEP_1)
	s_min_i32 s14, s14, s29
	s_cmp_lg_u32 s15, 0
	s_cbranch_scc1 .LBB222_81
; %bb.82:                               ;   in Loop: Header=BB222_20 Depth=1
	v_mbcnt_lo_u32_b32 v2, exec_lo, 0
	s_mov_b32 s15, exec_lo
	s_delay_alu instid0(VALU_DEP_1)
	v_cmpx_eq_u32_e32 0, v2
	s_xor_b32 s15, exec_lo, s15
	s_cbranch_execz .LBB222_84
; %bb.83:                               ;   in Loop: Header=BB222_20 Depth=1
	v_mov_b32_e32 v2, s14
	ds_min_i32 v1, v2 offset:18560
.LBB222_84:                             ;   in Loop: Header=BB222_20 Depth=1
	s_or_b32 exec_lo, exec_lo, s13
	s_waitcnt lgkmcnt(0)
	s_waitcnt_vscnt null, 0x0
	s_barrier
	buffer_gl0_inv
	ds_load_b32 v13, v36
	s_waitcnt lgkmcnt(0)
	s_barrier
	buffer_gl0_inv
	s_and_saveexec_b32 s13, s5
	s_cbranch_execz .LBB222_86
; %bb.85:                               ;   in Loop: Header=BB222_20 Depth=1
	ds_load_b32 v2, v37
	s_waitcnt lgkmcnt(0)
	v_add_nc_u32_e32 v13, v2, v13
.LBB222_86:                             ;   in Loop: Header=BB222_20 Depth=1
	s_or_b32 exec_lo, exec_lo, s13
	s_barrier
	buffer_gl0_inv
	ds_store_b32 v36, v13
	s_waitcnt lgkmcnt(0)
	s_barrier
	buffer_gl0_inv
	s_and_saveexec_b32 s13, s6
	s_cbranch_execz .LBB222_88
; %bb.87:                               ;   in Loop: Header=BB222_20 Depth=1
	ds_load_b32 v2, v39
	s_waitcnt lgkmcnt(0)
	v_add_nc_u32_e32 v13, v2, v13
.LBB222_88:                             ;   in Loop: Header=BB222_20 Depth=1
	s_or_b32 exec_lo, exec_lo, s13
	s_barrier
	buffer_gl0_inv
	ds_store_b32 v36, v13
	;; [unrolled: 14-line block ×5, first 2 shown]
	s_waitcnt lgkmcnt(0)
	s_barrier
	buffer_gl0_inv
	ds_load_b32 v2, v1 offset:18556
	v_mov_b32_e32 v14, 0
	s_and_saveexec_b32 s13, s61
	s_cbranch_execz .LBB222_96
; %bb.95:                               ;   in Loop: Header=BB222_20 Depth=1
	ds_load_b32 v14, v37
.LBB222_96:                             ;   in Loop: Header=BB222_20 Depth=1
	s_or_b32 exec_lo, exec_lo, s13
	s_waitcnt lgkmcnt(0)
	v_cmp_eq_u32_e32 vcc_lo, v13, v14
	s_barrier
	buffer_gl0_inv
	s_and_b32 s14, s61, vcc_lo
	s_delay_alu instid0(SALU_CYCLE_1)
	s_and_saveexec_b32 s13, s14
	s_cbranch_execz .LBB222_98
; %bb.97:                               ;   in Loop: Header=BB222_20 Depth=1
	ds_store_b32 v36, v1
.LBB222_98:                             ;   in Loop: Header=BB222_20 Depth=1
	s_or_b32 exec_lo, exec_lo, s13
	v_add_co_u32 v13, vcc_lo, v9, -1
	v_add_co_ci_u32_e32 v14, vcc_lo, -1, v10, vcc_lo
	v_dual_mov_b32 v16, v48 :: v_dual_add_nc_u32 v15, s22, v50
	v_dual_mov_b32 v17, v29 :: v_dual_mov_b32 v18, v27
	s_mov_b32 s13, 0
	s_waitcnt lgkmcnt(0)
	s_barrier
	buffer_gl0_inv
	s_set_inst_prefetch_distance 0x1
	s_branch .LBB222_100
	.p2align	6
.LBB222_99:                             ;   in Loop: Header=BB222_100 Depth=2
	s_or_b32 exec_lo, exec_lo, s14
	v_add_nc_u32_e32 v19, 4, v18
	v_cmp_lt_u32_e32 vcc_lo, 27, v18
	v_add_nc_u32_e32 v17, 0x800, v17
	v_add_nc_u32_e32 v16, 16, v16
	s_delay_alu instid0(VALU_DEP_4) | instskip(SKIP_1) | instid1(SALU_CYCLE_1)
	v_mov_b32_e32 v18, v19
	s_or_b32 s13, vcc_lo, s13
	s_and_not1_b32 exec_lo, exec_lo, s13
	s_cbranch_execz .LBB222_19
.LBB222_100:                            ;   Parent Loop BB222_20 Depth=1
                                        ; =>  This Inner Loop Header: Depth=2
	ds_load_b32 v19, v16
	s_mov_b32 s14, exec_lo
	s_waitcnt lgkmcnt(0)
	v_cmpx_ne_u32_e32 0, v19
	s_cbranch_execz .LBB222_99
; %bb.101:                              ;   in Loop: Header=BB222_100 Depth=2
	v_ashrrev_i32_e32 v20, 31, v19
	v_add_co_u32 v21, vcc_lo, v9, v19
	v_add_nc_u32_e32 v23, v15, v18
	s_delay_alu instid0(VALU_DEP_3) | instskip(NEXT) | instid1(VALU_DEP_1)
	v_add_co_ci_u32_e32 v22, vcc_lo, v10, v20, vcc_lo
	v_lshlrev_b64 v[21:22], 2, v[21:22]
	s_delay_alu instid0(VALU_DEP_1) | instskip(NEXT) | instid1(VALU_DEP_2)
	v_add_co_u32 v21, vcc_lo, s65, v21
	v_add_co_ci_u32_e32 v22, vcc_lo, s66, v22, vcc_lo
	global_store_b32 v[21:22], v23, off
	s_and_b32 exec_lo, exec_lo, s2
	s_cbranch_execz .LBB222_99
; %bb.102:                              ;   in Loop: Header=BB222_100 Depth=2
	v_add_co_u32 v21, vcc_lo, v13, v19
	v_add_co_ci_u32_e32 v23, vcc_lo, v14, v20, vcc_lo
	s_delay_alu instid0(VALU_DEP_2) | instskip(NEXT) | instid1(VALU_DEP_1)
	v_mad_u64_u32 v[19:20], null, v21, s44, 0
	v_mad_u64_u32 v[21:22], null, v23, s44, v[20:21]
	ds_load_b64 v[22:23], v17
	v_mov_b32_e32 v20, v21
	s_delay_alu instid0(VALU_DEP_1) | instskip(NEXT) | instid1(VALU_DEP_1)
	v_lshlrev_b64 v[19:20], 3, v[19:20]
	v_add_co_u32 v19, vcc_lo, v44, v19
	s_delay_alu instid0(VALU_DEP_2)
	v_add_co_ci_u32_e32 v20, vcc_lo, v43, v20, vcc_lo
	s_waitcnt lgkmcnt(0)
	global_store_b64 v[19:20], v[22:23], off
	s_branch .LBB222_99
.LBB222_103:
	s_endpgm
	.section	.rodata,"a",@progbits
	.p2align	6, 0x0
	.amdhsa_kernel _ZN9rocsparseL38bsrgemm_block_per_row_atomic_multipassILj256ELj32ELj8Eli21rocsparse_complex_numIfEEEv20rocsparse_direction_T3_S4_PKS4_S6_NS_24const_host_device_scalarIT4_EEPKT2_S6_PKS8_SC_S6_SE_S9_SC_S6_SE_SC_PS4_PS8_PSA_21rocsparse_index_base_SI_SI_SI_bbb
		.amdhsa_group_segment_fixed_size 18564
		.amdhsa_private_segment_fixed_size 0
		.amdhsa_kernarg_size 172
		.amdhsa_user_sgpr_count 15
		.amdhsa_user_sgpr_dispatch_ptr 0
		.amdhsa_user_sgpr_queue_ptr 0
		.amdhsa_user_sgpr_kernarg_segment_ptr 1
		.amdhsa_user_sgpr_dispatch_id 0
		.amdhsa_user_sgpr_private_segment_size 0
		.amdhsa_wavefront_size32 1
		.amdhsa_uses_dynamic_stack 0
		.amdhsa_enable_private_segment 0
		.amdhsa_system_sgpr_workgroup_id_x 1
		.amdhsa_system_sgpr_workgroup_id_y 0
		.amdhsa_system_sgpr_workgroup_id_z 0
		.amdhsa_system_sgpr_workgroup_info 0
		.amdhsa_system_vgpr_workitem_id 0
		.amdhsa_next_free_vgpr 60
		.amdhsa_next_free_sgpr 70
		.amdhsa_reserve_vcc 1
		.amdhsa_float_round_mode_32 0
		.amdhsa_float_round_mode_16_64 0
		.amdhsa_float_denorm_mode_32 3
		.amdhsa_float_denorm_mode_16_64 3
		.amdhsa_dx10_clamp 1
		.amdhsa_ieee_mode 1
		.amdhsa_fp16_overflow 0
		.amdhsa_workgroup_processor_mode 1
		.amdhsa_memory_ordered 1
		.amdhsa_forward_progress 0
		.amdhsa_shared_vgpr_count 0
		.amdhsa_exception_fp_ieee_invalid_op 0
		.amdhsa_exception_fp_denorm_src 0
		.amdhsa_exception_fp_ieee_div_zero 0
		.amdhsa_exception_fp_ieee_overflow 0
		.amdhsa_exception_fp_ieee_underflow 0
		.amdhsa_exception_fp_ieee_inexact 0
		.amdhsa_exception_int_div_zero 0
	.end_amdhsa_kernel
	.section	.text._ZN9rocsparseL38bsrgemm_block_per_row_atomic_multipassILj256ELj32ELj8Eli21rocsparse_complex_numIfEEEv20rocsparse_direction_T3_S4_PKS4_S6_NS_24const_host_device_scalarIT4_EEPKT2_S6_PKS8_SC_S6_SE_S9_SC_S6_SE_SC_PS4_PS8_PSA_21rocsparse_index_base_SI_SI_SI_bbb,"axG",@progbits,_ZN9rocsparseL38bsrgemm_block_per_row_atomic_multipassILj256ELj32ELj8Eli21rocsparse_complex_numIfEEEv20rocsparse_direction_T3_S4_PKS4_S6_NS_24const_host_device_scalarIT4_EEPKT2_S6_PKS8_SC_S6_SE_S9_SC_S6_SE_SC_PS4_PS8_PSA_21rocsparse_index_base_SI_SI_SI_bbb,comdat
.Lfunc_end222:
	.size	_ZN9rocsparseL38bsrgemm_block_per_row_atomic_multipassILj256ELj32ELj8Eli21rocsparse_complex_numIfEEEv20rocsparse_direction_T3_S4_PKS4_S6_NS_24const_host_device_scalarIT4_EEPKT2_S6_PKS8_SC_S6_SE_S9_SC_S6_SE_SC_PS4_PS8_PSA_21rocsparse_index_base_SI_SI_SI_bbb, .Lfunc_end222-_ZN9rocsparseL38bsrgemm_block_per_row_atomic_multipassILj256ELj32ELj8Eli21rocsparse_complex_numIfEEEv20rocsparse_direction_T3_S4_PKS4_S6_NS_24const_host_device_scalarIT4_EEPKT2_S6_PKS8_SC_S6_SE_S9_SC_S6_SE_SC_PS4_PS8_PSA_21rocsparse_index_base_SI_SI_SI_bbb
                                        ; -- End function
	.section	.AMDGPU.csdata,"",@progbits
; Kernel info:
; codeLenInByte = 3960
; NumSgprs: 72
; NumVgprs: 60
; ScratchSize: 0
; MemoryBound: 0
; FloatMode: 240
; IeeeMode: 1
; LDSByteSize: 18564 bytes/workgroup (compile time only)
; SGPRBlocks: 8
; VGPRBlocks: 7
; NumSGPRsForWavesPerEU: 72
; NumVGPRsForWavesPerEU: 60
; Occupancy: 14
; WaveLimiterHint : 1
; COMPUTE_PGM_RSRC2:SCRATCH_EN: 0
; COMPUTE_PGM_RSRC2:USER_SGPR: 15
; COMPUTE_PGM_RSRC2:TRAP_HANDLER: 0
; COMPUTE_PGM_RSRC2:TGID_X_EN: 1
; COMPUTE_PGM_RSRC2:TGID_Y_EN: 0
; COMPUTE_PGM_RSRC2:TGID_Z_EN: 0
; COMPUTE_PGM_RSRC2:TIDIG_COMP_CNT: 0
	.section	.text._ZN9rocsparseL31bsrgemm_block_per_row_multipassILj256ELj8ELj16Eli21rocsparse_complex_numIfEEEv20rocsparse_direction_T3_S4_PKS4_S6_NS_24const_host_device_scalarIT4_EEPKT2_S6_PKS8_SC_S6_SE_S9_SC_S6_SE_SC_PS4_PS8_PSA_21rocsparse_index_base_SI_SI_SI_bbb,"axG",@progbits,_ZN9rocsparseL31bsrgemm_block_per_row_multipassILj256ELj8ELj16Eli21rocsparse_complex_numIfEEEv20rocsparse_direction_T3_S4_PKS4_S6_NS_24const_host_device_scalarIT4_EEPKT2_S6_PKS8_SC_S6_SE_S9_SC_S6_SE_SC_PS4_PS8_PSA_21rocsparse_index_base_SI_SI_SI_bbb,comdat
	.globl	_ZN9rocsparseL31bsrgemm_block_per_row_multipassILj256ELj8ELj16Eli21rocsparse_complex_numIfEEEv20rocsparse_direction_T3_S4_PKS4_S6_NS_24const_host_device_scalarIT4_EEPKT2_S6_PKS8_SC_S6_SE_S9_SC_S6_SE_SC_PS4_PS8_PSA_21rocsparse_index_base_SI_SI_SI_bbb ; -- Begin function _ZN9rocsparseL31bsrgemm_block_per_row_multipassILj256ELj8ELj16Eli21rocsparse_complex_numIfEEEv20rocsparse_direction_T3_S4_PKS4_S6_NS_24const_host_device_scalarIT4_EEPKT2_S6_PKS8_SC_S6_SE_S9_SC_S6_SE_SC_PS4_PS8_PSA_21rocsparse_index_base_SI_SI_SI_bbb
	.p2align	8
	.type	_ZN9rocsparseL31bsrgemm_block_per_row_multipassILj256ELj8ELj16Eli21rocsparse_complex_numIfEEEv20rocsparse_direction_T3_S4_PKS4_S6_NS_24const_host_device_scalarIT4_EEPKT2_S6_PKS8_SC_S6_SE_S9_SC_S6_SE_SC_PS4_PS8_PSA_21rocsparse_index_base_SI_SI_SI_bbb,@function
_ZN9rocsparseL31bsrgemm_block_per_row_multipassILj256ELj8ELj16Eli21rocsparse_complex_numIfEEEv20rocsparse_direction_T3_S4_PKS4_S6_NS_24const_host_device_scalarIT4_EEPKT2_S6_PKS8_SC_S6_SE_S9_SC_S6_SE_SC_PS4_PS8_PSA_21rocsparse_index_base_SI_SI_SI_bbb: ; @_ZN9rocsparseL31bsrgemm_block_per_row_multipassILj256ELj8ELj16Eli21rocsparse_complex_numIfEEEv20rocsparse_direction_T3_S4_PKS4_S6_NS_24const_host_device_scalarIT4_EEPKT2_S6_PKS8_SC_S6_SE_S9_SC_S6_SE_SC_PS4_PS8_PSA_21rocsparse_index_base_SI_SI_SI_bbb
; %bb.0:
	s_mov_b32 s2, s15
	s_clause 0x5
	s_load_b32 s44, s[0:1], 0xa8
	s_load_b256 s[4:11], s[0:1], 0x88
	s_load_b256 s[12:19], s[0:1], 0x68
	;; [unrolled: 1-line block ×3, first 2 shown]
	s_load_b128 s[28:31], s[0:1], 0x10
	s_load_b256 s[36:43], s[0:1], 0x28
	s_mov_b32 s35, 0
	s_mov_b32 s33, 0
	s_waitcnt lgkmcnt(0)
	s_bitcmp1_b32 s44, 0
	s_cselect_b32 s46, -1, 0
	s_bitcmp1_b32 s44, 16
	s_cselect_b32 s3, -1, 0
	s_delay_alu instid0(SALU_CYCLE_1)
	s_xor_b32 s3, s3, -1
	s_bitcmp0_b32 s44, 0
	s_cbranch_scc1 .LBB223_5
; %bb.1:
	s_load_b64 s[34:35], s[0:1], 0x20
	s_and_not1_b32 vcc_lo, exec_lo, s3
	s_waitcnt lgkmcnt(0)
	s_mov_b32 s33, s34
	s_cbranch_vccnz .LBB223_3
; %bb.2:
	s_load_b32 s33, s[34:35], 0x0
.LBB223_3:
	s_and_not1_b32 vcc_lo, exec_lo, s3
	s_cbranch_vccnz .LBB223_5
; %bb.4:
	s_load_b32 s35, s[34:35], 0x4
.LBB223_5:
	s_bitcmp1_b32 s44, 8
	s_mov_b32 s51, 0
	s_cselect_b32 s34, -1, 0
	s_bfe_u32 s44, s44, 0x10008
	s_mov_b32 s50, 0
	s_cmp_eq_u32 s44, 0
	s_cbranch_scc1 .LBB223_11
; %bb.6:
	v_cndmask_b32_e64 v1, 0, 1, s3
	s_and_not1_b32 vcc_lo, exec_lo, s3
	s_mov_b32 s50, s24
	s_cbranch_vccnz .LBB223_8
; %bb.7:
	s_load_b32 s50, s[24:25], 0x0
.LBB223_8:
	s_delay_alu instid0(VALU_DEP_1)
	v_cmp_ne_u32_e32 vcc_lo, 1, v1
	s_cbranch_vccnz .LBB223_10
; %bb.9:
	s_load_b32 s25, s[24:25], 0x4
.LBB223_10:
	s_waitcnt lgkmcnt(0)
	s_mov_b32 s51, s25
.LBB223_11:
	s_cmp_eq_u64 s[30:31], 0
	s_mov_b64 s[24:25], 0
	s_cbranch_scc1 .LBB223_13
; %bb.12:
	s_load_b32 s3, s[28:29], 0x0
	s_waitcnt lgkmcnt(0)
	s_add_i32 s2, s3, s2
	s_mov_b32 s3, 0
	s_delay_alu instid0(SALU_CYCLE_1) | instskip(NEXT) | instid1(SALU_CYCLE_1)
	s_lshl_b64 s[2:3], s[2:3], 2
	s_add_u32 s2, s30, s2
	s_addc_u32 s3, s31, s3
	s_load_b32 s2, s[2:3], 0x0
.LBB223_13:
	s_and_not1_b32 vcc_lo, exec_lo, s46
	s_cbranch_vccz .LBB223_16
; %bb.14:
	s_and_not1_b32 vcc_lo, exec_lo, s46
	s_mov_b64 s[44:45], 0
	s_cbranch_vccz .LBB223_17
.LBB223_15:
	s_load_b128 s[28:31], s[0:1], 0x0
	s_waitcnt lgkmcnt(0)
	s_cmp_lt_i32 s29, 1
	s_cbranch_scc0 .LBB223_18
	s_branch .LBB223_105
.LBB223_16:
	s_waitcnt lgkmcnt(0)
	s_ashr_i32 s3, s2, 31
	s_delay_alu instid0(SALU_CYCLE_1) | instskip(NEXT) | instid1(SALU_CYCLE_1)
	s_lshl_b64 s[24:25], s[2:3], 3
	s_add_u32 s24, s36, s24
	s_addc_u32 s25, s37, s25
	s_load_b64 s[24:25], s[24:25], 0x0
	s_waitcnt lgkmcnt(0)
	s_sub_u32 s24, s24, s8
	s_subb_u32 s25, s25, 0
	s_and_not1_b32 vcc_lo, exec_lo, s46
	s_mov_b64 s[44:45], 0
	s_cbranch_vccnz .LBB223_15
.LBB223_17:
	s_waitcnt lgkmcnt(0)
	s_ashr_i32 s3, s2, 31
	s_delay_alu instid0(SALU_CYCLE_1) | instskip(NEXT) | instid1(SALU_CYCLE_1)
	s_lshl_b64 s[28:29], s[2:3], 3
	s_add_u32 s28, s36, s28
	s_addc_u32 s29, s37, s29
	s_load_b64 s[28:29], s[28:29], 0x8
	s_waitcnt lgkmcnt(0)
	s_sub_u32 s44, s28, s8
	s_subb_u32 s45, s29, 0
	s_load_b128 s[28:31], s[0:1], 0x0
	s_waitcnt lgkmcnt(0)
	s_cmp_lt_i32 s29, 1
	s_cbranch_scc1 .LBB223_105
.LBB223_18:
	s_ashr_i32 s3, s2, 31
	v_and_b32_e32 v29, 15, v0
	s_lshl_b64 s[36:37], s[2:3], 3
	v_lshrrev_b32_e32 v8, 4, v0
	s_add_u32 s0, s16, s36
	s_addc_u32 s1, s17, s37
	v_mov_b32_e32 v1, 0
	s_load_b64 s[48:49], s[0:1], 0x0
	v_mul_lo_u32 v2, v29, s30
	v_mul_lo_u32 v4, v8, s30
	s_delay_alu instid0(VALU_DEP_3)
	v_dual_mov_b32 v3, v1 :: v_dual_and_b32 v30, 0xf0, v0
	v_cmp_gt_i32_e64 s1, s30, v8
	v_cmp_gt_u32_e32 vcc_lo, s30, v29
	s_mul_i32 s16, s30, s30
	s_mov_b32 s17, 0
	v_lshlrev_b64 v[6:7], 3, v[2:3]
	v_dual_mov_b32 v5, v1 :: v_dual_lshlrev_b32 v2, 3, v8
	s_mov_b32 s31, s17
	v_cmp_gt_u32_e64 s0, 8, v0
	v_mov_b32_e32 v39, 1
	s_delay_alu instid0(VALU_DEP_4)
	v_add_co_u32 v3, s2, s14, v6
	v_lshlrev_b64 v[8:9], 3, v[4:5]
	v_add_co_ci_u32_e64 v4, s2, s15, v7, s2
	s_waitcnt lgkmcnt(0)
	s_sub_u32 s48, s48, s10
	s_subb_u32 s49, s49, 0
	s_and_b32 s52, vcc_lo, s1
	v_add_co_u32 v5, vcc_lo, s14, v8
	v_add_co_u32 v12, s1, s4, v6
	v_lshlrev_b32_e32 v11, 3, v29
	v_add_co_ci_u32_e32 v10, vcc_lo, s15, v9, vcc_lo
	v_add_co_ci_u32_e64 v13, s1, s5, v7, s1
	v_add_co_u32 v3, vcc_lo, v3, v2
	v_add_co_ci_u32_e32 v4, vcc_lo, 0, v4, vcc_lo
	v_add_co_u32 v31, s1, v12, v2
	v_dual_mov_b32 v15, s48 :: v_dual_mov_b32 v16, s49
	v_add_co_u32 v5, vcc_lo, v5, v11
	s_cmp_eq_u32 s28, 0
	v_add_co_ci_u32_e64 v32, s1, 0, v13, s1
	v_add_co_ci_u32_e32 v10, vcc_lo, 0, v10, vcc_lo
	v_cmp_lt_i64_e64 s2, s[24:25], s[44:45]
	v_add_co_u32 v12, s1, s4, v8
	s_cselect_b32 vcc_lo, -1, 0
	s_cmp_lg_u32 s28, 0
	v_add_co_ci_u32_e64 v13, s1, s5, v9, s1
	s_cselect_b32 s28, -1, 0
	s_cmp_gt_i32 s30, 0
	v_add_co_u32 v33, s1, v12, v11
	s_cselect_b32 s54, -1, 0
	s_add_u32 s26, s26, s36
	s_addc_u32 s27, s27, s37
	s_and_b32 s55, s46, s2
	v_add_co_ci_u32_e64 v34, s1, 0, v13, s1
	s_add_u32 s56, s42, 8
	s_addc_u32 s57, s43, 0
	s_mul_i32 s1, s25, s16
	s_mul_hi_u32 s2, s24, s16
	s_add_u32 s58, s18, -4
	s_addc_u32 s59, s19, -1
	s_add_i32 s3, s2, s1
	s_mul_i32 s2, s24, s16
	s_mov_b32 s14, s17
	s_lshl_b64 s[4:5], s[2:3], 3
	s_mov_b32 s15, s17
	s_add_u32 s4, s40, s4
	v_cndmask_b32_e32 v13, v3, v5, vcc_lo
	v_or_b32_e32 v3, 0x400, v0
	s_addc_u32 s5, s41, s5
	v_add_co_u32 v2, s3, s4, v2
	v_cndmask_b32_e32 v12, v4, v10, vcc_lo
	v_add_co_ci_u32_e64 v4, null, s5, 0, s3
	v_dual_cndmask_b32 v38, v31, v33 :: v_dual_lshlrev_b32 v35, 3, v0
	v_cndmask_b32_e32 v37, v32, v34, vcc_lo
	v_cmp_gt_u32_e64 s1, 0x700, v3
	v_add_co_u32 v3, vcc_lo, v2, 4
	v_add_co_ci_u32_e32 v4, vcc_lo, 0, v4, vcc_lo
	v_add_co_u32 v2, vcc_lo, v6, s22
	v_add_co_ci_u32_e32 v6, vcc_lo, s23, v7, vcc_lo
	;; [unrolled: 2-line block ×3, first 2 shown]
	s_delay_alu instid0(VALU_DEP_4)
	v_add_co_u32 v5, vcc_lo, v2, 4
	v_add_co_u32 v2, s4, v11, s22
	v_add_co_ci_u32_e32 v6, vcc_lo, 0, v6, vcc_lo
	v_add_co_u32 v7, vcc_lo, v7, 4
	v_add_co_ci_u32_e64 v10, null, 0, s23, s4
	v_or_b32_e32 v14, v30, v29
	v_add_co_ci_u32_e32 v8, vcc_lo, 0, v8, vcc_lo
	v_add_co_u32 v9, vcc_lo, v2, 4
	s_mov_b32 s36, s11
	s_mov_b32 s37, s17
	v_add_co_ci_u32_e32 v10, vcc_lo, 0, v10, vcc_lo
	s_lshl_b64 s[4:5], s[36:37], 2
	v_add_co_u32 v11, vcc_lo, v13, 4
	v_lshlrev_b32_e32 v36, 3, v14
	s_lshl_b64 s[40:41], s[16:17], 3
	s_lshl_b64 s[46:47], s[30:31], 3
	v_mov_b32_e32 v13, s14
	v_cmp_gt_u32_e64 s2, 0x200, v0
	v_cmp_gt_u32_e64 s3, 0x100, v0
	s_sub_u32 s31, s12, s4
	v_add_co_ci_u32_e32 v12, vcc_lo, 0, v12, vcc_lo
	v_mov_b32_e32 v14, s15
	v_cndmask_b32_e64 v40, 0, 1, s54
	s_subb_u32 s37, s13, s5
	s_sub_u32 s60, 1, s11
	s_mov_b32 s62, 8
	s_mov_b32 s53, s9
	s_subb_u32 s61, 0, 0
	s_branch .LBB223_21
.LBB223_19:                             ;   in Loop: Header=BB223_21 Depth=1
	s_or_b32 exec_lo, exec_lo, s4
.LBB223_20:                             ;   in Loop: Header=BB223_21 Depth=1
	s_min_i32 s17, s63, s29
	s_waitcnt lgkmcnt(0)
	v_dual_mov_b32 v15, v17 :: v_dual_mov_b32 v16, v18
	s_add_i32 s62, s17, 8
	s_cmp_lt_i32 s63, s29
	s_waitcnt_vscnt null, 0x0
	s_barrier
	buffer_gl0_inv
	s_barrier
	buffer_gl0_inv
	s_cbranch_scc0 .LBB223_105
.LBB223_21:                             ; =>This Loop Header: Depth=1
                                        ;     Child Loop BB223_31 Depth 2
                                        ;       Child Loop BB223_36 Depth 3
                                        ;         Child Loop BB223_45 Depth 4
                                        ;         Child Loop BB223_50 Depth 4
                                        ;     Child Loop BB223_64 Depth 2
	s_and_saveexec_b32 s4, s0
	s_cbranch_execz .LBB223_23
; %bb.22:                               ;   in Loop: Header=BB223_21 Depth=1
	ds_store_b8 v0, v1 offset:16384
.LBB223_23:                             ;   in Loop: Header=BB223_21 Depth=1
	s_or_b32 exec_lo, exec_lo, s4
	ds_store_2addr_stride64_b64 v35, v[13:14], v[13:14] offset1:4
	ds_store_2addr_stride64_b64 v35, v[13:14], v[13:14] offset0:8 offset1:12
	ds_store_b64 v35, v[13:14] offset:8192
	s_and_saveexec_b32 s4, s1
	s_delay_alu instid0(SALU_CYCLE_1)
	s_xor_b32 s4, exec_lo, s4
	s_cbranch_execz .LBB223_29
; %bb.24:                               ;   in Loop: Header=BB223_21 Depth=1
	v_mov_b32_e32 v2, v1
	ds_store_b64 v35, v[1:2] offset:10240
	s_and_saveexec_b32 s5, s2
	s_delay_alu instid0(SALU_CYCLE_1)
	s_xor_b32 s5, exec_lo, s5
	s_cbranch_execz .LBB223_28
; %bb.25:                               ;   in Loop: Header=BB223_21 Depth=1
	ds_store_b64 v35, v[1:2] offset:12288
	s_and_saveexec_b32 s12, s3
	s_delay_alu instid0(SALU_CYCLE_1)
	s_xor_b32 s12, exec_lo, s12
	s_cbranch_execz .LBB223_27
; %bb.26:                               ;   in Loop: Header=BB223_21 Depth=1
	v_mov_b32_e32 v2, v1
	ds_store_b64 v35, v[1:2] offset:14336
.LBB223_27:                             ;   in Loop: Header=BB223_21 Depth=1
	s_or_b32 exec_lo, exec_lo, s12
.LBB223_28:                             ;   in Loop: Header=BB223_21 Depth=1
	s_delay_alu instid0(SALU_CYCLE_1)
	s_or_b32 exec_lo, exec_lo, s5
.LBB223_29:                             ;   in Loop: Header=BB223_21 Depth=1
	s_delay_alu instid0(SALU_CYCLE_1) | instskip(NEXT) | instid1(SALU_CYCLE_1)
	s_or_b32 exec_lo, exec_lo, s4
	s_and_not1_b32 vcc_lo, exec_lo, s55
	s_mov_b32 s63, s29
	s_waitcnt lgkmcnt(0)
	s_barrier
	buffer_gl0_inv
	s_cbranch_vccnz .LBB223_59
; %bb.30:                               ;   in Loop: Header=BB223_21 Depth=1
	v_dual_mov_b32 v18, v8 :: v_dual_mov_b32 v17, v7
	v_dual_mov_b32 v20, v4 :: v_dual_mov_b32 v19, v3
	s_cmp_lg_u32 s17, 0
	s_mov_b32 s65, s29
	s_cselect_b32 s64, -1, 0
	s_mov_b64 s[12:13], s[24:25]
.LBB223_31:                             ;   Parent Loop BB223_21 Depth=1
                                        ; =>  This Loop Header: Depth=2
                                        ;       Child Loop BB223_36 Depth 3
                                        ;         Child Loop BB223_45 Depth 4
                                        ;         Child Loop BB223_50 Depth 4
	s_delay_alu instid0(SALU_CYCLE_1) | instskip(NEXT) | instid1(SALU_CYCLE_1)
	s_lshl_b64 s[4:5], s[12:13], 2
	s_add_u32 s4, s38, s4
	s_addc_u32 s5, s39, s5
	s_and_b32 vcc_lo, exec_lo, s64
	s_load_b32 s4, s[4:5], 0x0
	s_waitcnt lgkmcnt(0)
	s_sub_i32 s4, s4, s8
	s_cbranch_vccz .LBB223_58
; %bb.32:                               ;   in Loop: Header=BB223_31 Depth=2
	s_lshl_b64 s[14:15], s[12:13], 3
	s_delay_alu instid0(SALU_CYCLE_1)
	s_add_u32 s14, s6, s14
	s_addc_u32 s15, s7, s15
	s_ashr_i32 s5, s4, 31
	global_load_b64 v[21:22], v1, s[14:15]
	s_waitcnt vmcnt(0)
	v_readfirstlane_b32 s14, v21
	v_readfirstlane_b32 s15, v22
	s_cbranch_execnz .LBB223_34
.LBB223_33:                             ;   in Loop: Header=BB223_31 Depth=2
	s_ashr_i32 s5, s4, 31
	s_delay_alu instid0(SALU_CYCLE_1) | instskip(NEXT) | instid1(SALU_CYCLE_1)
	s_lshl_b64 s[14:15], s[4:5], 3
	s_add_u32 s14, s42, s14
	s_addc_u32 s15, s43, s15
	s_load_b64 s[14:15], s[14:15], 0x0
	s_waitcnt lgkmcnt(0)
	s_sub_u32 s14, s14, s53
	s_subb_u32 s15, s15, 0
.LBB223_34:                             ;   in Loop: Header=BB223_31 Depth=2
	s_lshl_b64 s[4:5], s[4:5], 3
	s_delay_alu instid0(SALU_CYCLE_1)
	s_add_u32 s4, s56, s4
	s_addc_u32 s5, s57, s5
	s_load_b64 s[4:5], s[4:5], 0x0
	s_waitcnt lgkmcnt(0)
	s_sub_u32 s22, s4, s53
	s_subb_u32 s23, s5, 0
	s_delay_alu instid0(SALU_CYCLE_1) | instskip(NEXT) | instid1(VALU_DEP_1)
	v_cmp_ge_i64_e64 s4, s[14:15], s[22:23]
	s_and_b32 vcc_lo, exec_lo, s4
	s_cbranch_vccnz .LBB223_55
; %bb.35:                               ;   in Loop: Header=BB223_31 Depth=2
	v_mad_u64_u32 v[21:22], null, s40, s14, v[5:6]
	v_mad_u64_u32 v[23:24], null, s40, s14, v[9:10]
	s_mul_i32 s4, s41, s14
	s_mul_i32 s5, s40, s15
	s_mov_b64 s[48:49], s[14:15]
	s_add_i32 s5, s5, s4
	s_delay_alu instid0(VALU_DEP_2) | instid1(SALU_CYCLE_1)
	v_add_nc_u32_e32 v22, s5, v22
	s_delay_alu instid0(VALU_DEP_2)
	v_add_nc_u32_e32 v24, s5, v24
.LBB223_36:                             ;   Parent Loop BB223_21 Depth=1
                                        ;     Parent Loop BB223_31 Depth=2
                                        ; =>    This Loop Header: Depth=3
                                        ;         Child Loop BB223_45 Depth 4
                                        ;         Child Loop BB223_50 Depth 4
	s_lshl_b64 s[4:5], s[48:49], 2
	s_mov_b32 s68, -1
	s_add_u32 s4, s20, s4
	s_addc_u32 s5, s21, s5
                                        ; implicit-def: $sgpr63
                                        ; implicit-def: $sgpr66
	s_load_b32 s4, s[4:5], 0x0
	s_waitcnt lgkmcnt(0)
	s_sub_i32 s67, s4, s9
	s_delay_alu instid0(SALU_CYCLE_1) | instskip(SKIP_3) | instid1(SALU_CYCLE_1)
	s_cmp_lt_i32 s67, s17
	s_cselect_b32 s4, -1, 0
	s_cmp_ge_i32 s67, s62
	s_cselect_b32 s69, -1, 0
	s_or_b32 s4, s4, s69
	s_delay_alu instid0(SALU_CYCLE_1)
	s_and_b32 vcc_lo, exec_lo, s4
                                        ; implicit-def: $sgpr4_sgpr5
	s_cbranch_vccz .LBB223_40
; %bb.37:                               ;   in Loop: Header=BB223_36 Depth=3
	s_mov_b32 s66, -1
	s_and_not1_b32 vcc_lo, exec_lo, s69
	s_mov_b32 s63, s65
	s_mov_b64 s[4:5], s[14:15]
	s_cbranch_vccnz .LBB223_39
; %bb.38:                               ;   in Loop: Header=BB223_36 Depth=3
	s_min_i32 s63, s67, s65
	s_mov_b32 s66, 0
	s_mov_b64 s[4:5], s[48:49]
.LBB223_39:                             ;   in Loop: Header=BB223_36 Depth=3
	s_mov_b32 s68, 0
.LBB223_40:                             ;   in Loop: Header=BB223_36 Depth=3
	s_delay_alu instid0(SALU_CYCLE_1)
	s_and_not1_b32 vcc_lo, exec_lo, s68
	s_cbranch_vccnz .LBB223_53
; %bb.41:                               ;   in Loop: Header=BB223_36 Depth=3
	s_sub_i32 s63, s67, s17
	s_delay_alu instid0(SALU_CYCLE_1)
	v_mov_b32_e32 v2, s63
	ds_store_b8 v2, v39 offset:16384
	s_and_saveexec_b32 s5, s52
	s_cbranch_execz .LBB223_52
; %bb.42:                               ;   in Loop: Header=BB223_36 Depth=3
	v_cmp_ne_u32_e64 s4, 1, v40
	s_and_not1_b32 vcc_lo, exec_lo, s28
	s_cbranch_vccnz .LBB223_47
; %bb.43:                               ;   in Loop: Header=BB223_36 Depth=3
	v_dual_mov_b32 v2, 0 :: v_dual_mov_b32 v41, 0
	s_delay_alu instid0(VALU_DEP_2)
	s_and_b32 vcc_lo, exec_lo, s4
	s_mov_b32 s4, 0
	s_cbranch_vccnz .LBB223_46
; %bb.44:                               ;   in Loop: Header=BB223_36 Depth=3
	v_mov_b32_e32 v26, v22
	v_dual_mov_b32 v28, v20 :: v_dual_mov_b32 v41, 0
	v_dual_mov_b32 v2, 0 :: v_dual_mov_b32 v25, v21
	v_mov_b32_e32 v27, v19
	s_mov_b32 s66, s30
	.p2align	6
.LBB223_45:                             ;   Parent Loop BB223_21 Depth=1
                                        ;     Parent Loop BB223_31 Depth=2
                                        ;       Parent Loop BB223_36 Depth=3
                                        ; =>      This Inner Loop Header: Depth=4
	global_load_b64 v[42:43], v[27:28], off offset:-4
	global_load_b64 v[44:45], v[25:26], off offset:-4
	v_add_co_u32 v27, vcc_lo, v27, s46
	v_add_co_ci_u32_e32 v28, vcc_lo, s47, v28, vcc_lo
	v_add_co_u32 v25, vcc_lo, v25, 8
	v_add_co_ci_u32_e32 v26, vcc_lo, 0, v26, vcc_lo
	s_add_i32 s66, s66, -1
	s_delay_alu instid0(SALU_CYCLE_1) | instskip(SKIP_3) | instid1(VALU_DEP_2)
	s_cmp_lg_u32 s66, 0
	s_waitcnt vmcnt(0)
	v_fmac_f32_e32 v2, v42, v44
	v_fmac_f32_e32 v41, v43, v44
	v_fma_f32 v2, -v43, v45, v2
	s_delay_alu instid0(VALU_DEP_2)
	v_fmac_f32_e32 v41, v42, v45
	s_cbranch_scc1 .LBB223_45
.LBB223_46:                             ;   in Loop: Header=BB223_36 Depth=3
	s_and_not1_b32 vcc_lo, exec_lo, s4
	s_cbranch_vccz .LBB223_48
	s_branch .LBB223_51
.LBB223_47:                             ;   in Loop: Header=BB223_36 Depth=3
                                        ; implicit-def: $vgpr2
                                        ; implicit-def: $vgpr41
.LBB223_48:                             ;   in Loop: Header=BB223_36 Depth=3
	v_dual_mov_b32 v2, 0 :: v_dual_mov_b32 v41, 0
	s_and_not1_b32 vcc_lo, exec_lo, s54
	s_cbranch_vccnz .LBB223_51
; %bb.49:                               ;   in Loop: Header=BB223_36 Depth=3
	v_mov_b32_e32 v26, v24
	v_dual_mov_b32 v28, v18 :: v_dual_mov_b32 v41, 0
	v_dual_mov_b32 v2, 0 :: v_dual_mov_b32 v25, v23
	v_mov_b32_e32 v27, v17
	s_mov_b32 s4, s30
	.p2align	6
.LBB223_50:                             ;   Parent Loop BB223_21 Depth=1
                                        ;     Parent Loop BB223_31 Depth=2
                                        ;       Parent Loop BB223_36 Depth=3
                                        ; =>      This Inner Loop Header: Depth=4
	global_load_b64 v[42:43], v[27:28], off offset:-4
	global_load_b64 v[44:45], v[25:26], off offset:-4
	v_add_co_u32 v27, vcc_lo, v27, 8
	v_add_co_ci_u32_e32 v28, vcc_lo, 0, v28, vcc_lo
	v_add_co_u32 v25, vcc_lo, v25, s46
	v_add_co_ci_u32_e32 v26, vcc_lo, s47, v26, vcc_lo
	s_add_i32 s4, s4, -1
	s_delay_alu instid0(SALU_CYCLE_1) | instskip(SKIP_3) | instid1(VALU_DEP_2)
	s_cmp_eq_u32 s4, 0
	s_waitcnt vmcnt(0)
	v_fmac_f32_e32 v2, v42, v44
	v_fmac_f32_e32 v41, v43, v44
	v_fma_f32 v2, -v43, v45, v2
	s_delay_alu instid0(VALU_DEP_2)
	v_fmac_f32_e32 v41, v42, v45
	s_cbranch_scc0 .LBB223_50
.LBB223_51:                             ;   in Loop: Header=BB223_36 Depth=3
	s_lshl_b32 s4, s63, 8
	s_delay_alu instid0(SALU_CYCLE_1) | instskip(NEXT) | instid1(VALU_DEP_1)
	v_or3_b32 v25, s4, v30, v29
	v_lshlrev_b32_e32 v27, 3, v25
	ds_load_b64 v[25:26], v27
	s_waitcnt lgkmcnt(0)
	v_fmac_f32_e32 v26, s35, v2
	v_fma_f32 v25, s33, v2, v25
	s_delay_alu instid0(VALU_DEP_2) | instskip(NEXT) | instid1(VALU_DEP_2)
	v_fmac_f32_e32 v26, s33, v41
	v_fma_f32 v25, -s35, v41, v25
	ds_store_b64 v27, v[25:26]
.LBB223_52:                             ;   in Loop: Header=BB223_36 Depth=3
	s_or_b32 exec_lo, exec_lo, s5
	s_mov_b32 s66, -1
	s_mov_b32 s63, s65
	s_mov_b64 s[4:5], s[14:15]
	s_waitcnt lgkmcnt(0)
	s_waitcnt_vscnt null, 0x0
	s_barrier
	buffer_gl0_inv
.LBB223_53:                             ;   in Loop: Header=BB223_36 Depth=3
	s_add_u32 s48, s48, 1
	s_addc_u32 s49, s49, 0
	v_add_co_u32 v21, vcc_lo, v21, s40
	v_cmp_lt_i64_e64 s14, s[48:49], s[22:23]
	v_add_co_ci_u32_e32 v22, vcc_lo, s41, v22, vcc_lo
	v_add_co_u32 v23, vcc_lo, v23, s40
	v_add_co_ci_u32_e32 v24, vcc_lo, s41, v24, vcc_lo
	s_delay_alu instid0(VALU_DEP_4) | instskip(NEXT) | instid1(SALU_CYCLE_1)
	s_and_b32 s14, s66, s14
	s_and_b32 vcc_lo, exec_lo, s14
	s_cbranch_vccz .LBB223_56
; %bb.54:                               ;   in Loop: Header=BB223_36 Depth=3
	s_mov_b32 s65, s63
	s_mov_b64 s[14:15], s[4:5]
	s_branch .LBB223_36
.LBB223_55:                             ;   in Loop: Header=BB223_31 Depth=2
	s_mov_b32 s63, s65
	s_mov_b64 s[4:5], s[14:15]
.LBB223_56:                             ;   in Loop: Header=BB223_31 Depth=2
	s_lshl_b64 s[14:15], s[12:13], 3
	v_add_co_u32 v19, vcc_lo, v19, s40
	s_add_u32 s14, s6, s14
	s_addc_u32 s15, s7, s15
	s_add_u32 s12, s12, 1
	s_addc_u32 s13, s13, 0
	v_dual_mov_b32 v22, s5 :: v_dual_mov_b32 v21, s4
	v_cmp_lt_i64_e64 s4, s[12:13], s[44:45]
	v_add_co_ci_u32_e32 v20, vcc_lo, s41, v20, vcc_lo
	v_add_co_u32 v17, vcc_lo, v17, s40
	v_add_co_ci_u32_e32 v18, vcc_lo, s41, v18, vcc_lo
	s_delay_alu instid0(VALU_DEP_4)
	s_and_b32 vcc_lo, exec_lo, s4
	global_store_b64 v1, v[21:22], s[14:15]
	s_cbranch_vccz .LBB223_59
; %bb.57:                               ;   in Loop: Header=BB223_31 Depth=2
	s_mov_b32 s65, s63
	s_branch .LBB223_31
.LBB223_58:                             ;   in Loop: Header=BB223_31 Depth=2
                                        ; implicit-def: $sgpr14_sgpr15
	s_branch .LBB223_33
.LBB223_59:                             ;   in Loop: Header=BB223_21 Depth=1
	s_and_not1_b32 vcc_lo, exec_lo, s34
	s_cbranch_vccnz .LBB223_69
; %bb.60:                               ;   in Loop: Header=BB223_21 Depth=1
	s_load_b128 s[12:15], s[26:27], 0x0
	s_waitcnt lgkmcnt(0)
	v_cmp_ge_i64_e64 s4, s[12:13], s[14:15]
	s_delay_alu instid0(VALU_DEP_1)
	s_and_b32 vcc_lo, exec_lo, s4
	s_cbranch_vccnz .LBB223_69
; %bb.61:                               ;   in Loop: Header=BB223_21 Depth=1
	s_sub_u32 s4, s14, s36
	s_subb_u32 s5, s15, 0
	s_sub_u32 s22, s12, s36
	s_subb_u32 s23, s13, 0
	v_mad_u64_u32 v[17:18], null, s40, s22, v[11:12]
	s_lshl_b64 s[14:15], s[12:13], 2
	s_mul_i32 s22, s41, s22
	s_mul_i32 s23, s40, s23
	s_add_u32 s14, s31, s14
	s_addc_u32 s15, s37, s15
	s_add_u32 s12, s60, s12
	s_delay_alu instid0(VALU_DEP_1)
	v_add3_u32 v18, s23, s22, v18
	s_addc_u32 s13, s61, s13
	s_branch .LBB223_64
.LBB223_62:                             ;   in Loop: Header=BB223_64 Depth=2
	s_or_b32 exec_lo, exec_lo, s22
	s_mov_b32 s23, -1
	s_mov_b32 s22, s63
	s_waitcnt lgkmcnt(0)
	s_waitcnt_vscnt null, 0x0
	s_barrier
	buffer_gl0_inv
.LBB223_63:                             ;   in Loop: Header=BB223_64 Depth=2
	v_cmp_lt_i64_e64 s48, s[12:13], s[4:5]
	v_add_co_u32 v17, vcc_lo, v17, s40
	v_add_co_ci_u32_e32 v18, vcc_lo, s41, v18, vcc_lo
	s_mov_b32 s63, s22
	s_delay_alu instid0(VALU_DEP_3)
	s_and_b32 s23, s23, s48
	s_add_u32 s14, s14, 4
	s_addc_u32 s15, s15, 0
	s_add_u32 s12, s12, 1
	s_addc_u32 s13, s13, 0
	s_and_b32 vcc_lo, exec_lo, s23
	s_cbranch_vccz .LBB223_69
.LBB223_64:                             ;   Parent Loop BB223_21 Depth=1
                                        ; =>  This Inner Loop Header: Depth=2
	s_load_b32 s22, s[14:15], 0x0
	s_waitcnt lgkmcnt(0)
	s_sub_i32 s48, s22, s11
	s_delay_alu instid0(SALU_CYCLE_1)
	s_cmp_lt_i32 s48, s17
	s_cselect_b32 s22, -1, 0
	s_cmp_lt_i32 s48, s62
	s_cselect_b32 s23, -1, 0
	s_cmp_ge_i32 s48, s62
	s_cselect_b32 s49, -1, 0
	s_delay_alu instid0(SALU_CYCLE_1)
	s_or_b32 s22, s22, s49
	s_mov_b32 s49, -1
	s_and_b32 vcc_lo, exec_lo, s22
                                        ; implicit-def: $sgpr22
	s_cbranch_vccz .LBB223_66
; %bb.65:                               ;   in Loop: Header=BB223_64 Depth=2
	s_min_i32 s22, s48, s63
	s_and_b32 s49, s23, exec_lo
	s_cselect_b32 s22, s63, s22
	s_mov_b32 s49, 0
.LBB223_66:                             ;   in Loop: Header=BB223_64 Depth=2
	s_delay_alu instid0(SALU_CYCLE_1)
	s_and_not1_b32 vcc_lo, exec_lo, s49
	s_cbranch_vccnz .LBB223_63
; %bb.67:                               ;   in Loop: Header=BB223_64 Depth=2
	s_sub_i32 s23, s48, s17
	s_delay_alu instid0(SALU_CYCLE_1)
	v_mov_b32_e32 v2, s23
	ds_store_b8 v2, v39 offset:16384
	s_and_saveexec_b32 s22, s52
	s_cbranch_execz .LBB223_62
; %bb.68:                               ;   in Loop: Header=BB223_64 Depth=2
	global_load_b64 v[19:20], v[17:18], off offset:-4
	s_lshl_b32 s23, s23, 8
	s_delay_alu instid0(SALU_CYCLE_1) | instskip(NEXT) | instid1(VALU_DEP_1)
	v_or3_b32 v2, s23, v30, v29
	v_lshlrev_b32_e32 v2, 3, v2
	ds_load_b64 v[21:22], v2
	s_waitcnt vmcnt(0) lgkmcnt(0)
	v_fma_f32 v21, s50, v19, v21
	v_fmac_f32_e32 v22, s51, v19
	s_delay_alu instid0(VALU_DEP_2) | instskip(NEXT) | instid1(VALU_DEP_2)
	v_fma_f32 v21, -s51, v20, v21
	v_fmac_f32_e32 v22, s50, v20
	ds_store_b64 v2, v[21:22]
	s_branch .LBB223_62
.LBB223_69:                             ;   in Loop: Header=BB223_21 Depth=1
	s_waitcnt_vscnt null, 0x0
	s_barrier
	buffer_gl0_inv
	ds_load_u8 v2, v1 offset:16384
	s_add_i32 s5, s17, s10
	s_mov_b32 s12, 0
	s_waitcnt lgkmcnt(0)
	v_cmp_eq_u32_e32 vcc_lo, 0, v2
	s_cbranch_vccnz .LBB223_73
; %bb.70:                               ;   in Loop: Header=BB223_21 Depth=1
	v_lshlrev_b64 v[17:18], 2, v[15:16]
	v_mov_b32_e32 v2, s5
	s_delay_alu instid0(VALU_DEP_2) | instskip(NEXT) | instid1(VALU_DEP_3)
	v_add_co_u32 v17, vcc_lo, s18, v17
	v_add_co_ci_u32_e32 v18, vcc_lo, s19, v18, vcc_lo
	global_store_b32 v[17:18], v2, off
	s_and_saveexec_b32 s4, s52
	s_cbranch_execz .LBB223_72
; %bb.71:                               ;   in Loop: Header=BB223_21 Depth=1
	v_mad_u64_u32 v[17:18], null, v15, s16, 0
	s_delay_alu instid0(VALU_DEP_1) | instskip(NEXT) | instid1(VALU_DEP_1)
	v_mov_b32_e32 v2, v18
	v_mad_u64_u32 v[18:19], null, v16, s16, v[2:3]
	ds_load_b64 v[19:20], v35
	v_lshlrev_b64 v[17:18], 3, v[17:18]
	s_delay_alu instid0(VALU_DEP_1) | instskip(NEXT) | instid1(VALU_DEP_2)
	v_add_co_u32 v17, vcc_lo, v38, v17
	v_add_co_ci_u32_e32 v18, vcc_lo, v37, v18, vcc_lo
	s_waitcnt lgkmcnt(0)
	global_store_b64 v[17:18], v[19:20], off
.LBB223_72:                             ;   in Loop: Header=BB223_21 Depth=1
	s_or_b32 exec_lo, exec_lo, s4
	s_mov_b32 s12, 1
.LBB223_73:                             ;   in Loop: Header=BB223_21 Depth=1
	ds_load_u8 v2, v1 offset:16385
	s_waitcnt lgkmcnt(0)
	v_cmp_eq_u32_e32 vcc_lo, 0, v2
	v_add_co_u32 v2, s4, v15, -1
	s_delay_alu instid0(VALU_DEP_1)
	v_add_co_ci_u32_e64 v19, s4, -1, v16, s4
	s_cbranch_vccz .LBB223_79
; %bb.74:                               ;   in Loop: Header=BB223_21 Depth=1
	ds_load_u8 v17, v1 offset:16386
	s_waitcnt lgkmcnt(0)
	v_cmp_eq_u32_e32 vcc_lo, 0, v17
	s_cbranch_vccz .LBB223_82
.LBB223_75:                             ;   in Loop: Header=BB223_21 Depth=1
	ds_load_u8 v17, v1 offset:16387
	s_waitcnt lgkmcnt(0)
	v_cmp_eq_u32_e32 vcc_lo, 0, v17
	s_cbranch_vccz .LBB223_85
.LBB223_76:                             ;   in Loop: Header=BB223_21 Depth=1
	ds_load_u8 v17, v1 offset:16388
	s_waitcnt lgkmcnt(0)
	v_cmp_eq_u32_e32 vcc_lo, 0, v17
	s_cbranch_vccz .LBB223_88
.LBB223_77:                             ;   in Loop: Header=BB223_21 Depth=1
	ds_load_u8 v17, v1 offset:16389
	s_waitcnt lgkmcnt(0)
	v_cmp_eq_u32_e32 vcc_lo, 0, v17
	s_cbranch_vccz .LBB223_91
.LBB223_78:                             ;   in Loop: Header=BB223_21 Depth=1
	ds_load_u8 v17, v1 offset:16390
	s_waitcnt lgkmcnt(0)
	v_cmp_eq_u32_e32 vcc_lo, 0, v17
	s_cbranch_vccz .LBB223_94
	s_branch .LBB223_97
.LBB223_79:                             ;   in Loop: Header=BB223_21 Depth=1
	s_add_i32 s12, s12, 1
	s_add_i32 s4, s5, 1
	v_add_co_u32 v17, vcc_lo, v15, s12
	v_add_co_ci_u32_e32 v18, vcc_lo, 0, v16, vcc_lo
	v_mov_b32_e32 v20, s4
	s_delay_alu instid0(VALU_DEP_2) | instskip(NEXT) | instid1(VALU_DEP_1)
	v_lshlrev_b64 v[17:18], 2, v[17:18]
	v_add_co_u32 v17, vcc_lo, s58, v17
	s_delay_alu instid0(VALU_DEP_2)
	v_add_co_ci_u32_e32 v18, vcc_lo, s59, v18, vcc_lo
	global_store_b32 v[17:18], v20, off
	s_and_saveexec_b32 s4, s52
	s_cbranch_execz .LBB223_81
; %bb.80:                               ;   in Loop: Header=BB223_21 Depth=1
	v_add_co_u32 v20, vcc_lo, v2, s12
	v_add_co_ci_u32_e32 v22, vcc_lo, 0, v19, vcc_lo
	s_delay_alu instid0(VALU_DEP_2) | instskip(NEXT) | instid1(VALU_DEP_1)
	v_mad_u64_u32 v[17:18], null, v20, s16, 0
	v_mad_u64_u32 v[20:21], null, v22, s16, v[18:19]
	ds_load_b64 v[21:22], v36 offset:2048
	v_mov_b32_e32 v18, v20
	s_delay_alu instid0(VALU_DEP_1) | instskip(NEXT) | instid1(VALU_DEP_1)
	v_lshlrev_b64 v[17:18], 3, v[17:18]
	v_add_co_u32 v17, vcc_lo, v38, v17
	s_delay_alu instid0(VALU_DEP_2)
	v_add_co_ci_u32_e32 v18, vcc_lo, v37, v18, vcc_lo
	s_waitcnt lgkmcnt(0)
	global_store_b64 v[17:18], v[21:22], off
.LBB223_81:                             ;   in Loop: Header=BB223_21 Depth=1
	s_or_b32 exec_lo, exec_lo, s4
	ds_load_u8 v17, v1 offset:16386
	s_waitcnt lgkmcnt(0)
	v_cmp_eq_u32_e32 vcc_lo, 0, v17
	s_cbranch_vccnz .LBB223_75
.LBB223_82:                             ;   in Loop: Header=BB223_21 Depth=1
	s_add_i32 s12, s12, 1
	s_add_i32 s4, s5, 2
	v_add_co_u32 v17, vcc_lo, v15, s12
	v_add_co_ci_u32_e32 v18, vcc_lo, 0, v16, vcc_lo
	v_mov_b32_e32 v20, s4
	s_delay_alu instid0(VALU_DEP_2) | instskip(NEXT) | instid1(VALU_DEP_1)
	v_lshlrev_b64 v[17:18], 2, v[17:18]
	v_add_co_u32 v17, vcc_lo, s58, v17
	s_delay_alu instid0(VALU_DEP_2)
	v_add_co_ci_u32_e32 v18, vcc_lo, s59, v18, vcc_lo
	global_store_b32 v[17:18], v20, off
	s_and_saveexec_b32 s4, s52
	s_cbranch_execz .LBB223_84
; %bb.83:                               ;   in Loop: Header=BB223_21 Depth=1
	v_add_co_u32 v20, vcc_lo, v2, s12
	v_add_co_ci_u32_e32 v22, vcc_lo, 0, v19, vcc_lo
	s_delay_alu instid0(VALU_DEP_2) | instskip(NEXT) | instid1(VALU_DEP_1)
	v_mad_u64_u32 v[17:18], null, v20, s16, 0
	v_mad_u64_u32 v[20:21], null, v22, s16, v[18:19]
	ds_load_b64 v[21:22], v36 offset:4096
	v_mov_b32_e32 v18, v20
	s_delay_alu instid0(VALU_DEP_1) | instskip(NEXT) | instid1(VALU_DEP_1)
	v_lshlrev_b64 v[17:18], 3, v[17:18]
	v_add_co_u32 v17, vcc_lo, v38, v17
	s_delay_alu instid0(VALU_DEP_2)
	v_add_co_ci_u32_e32 v18, vcc_lo, v37, v18, vcc_lo
	s_waitcnt lgkmcnt(0)
	global_store_b64 v[17:18], v[21:22], off
.LBB223_84:                             ;   in Loop: Header=BB223_21 Depth=1
	s_or_b32 exec_lo, exec_lo, s4
	ds_load_u8 v17, v1 offset:16387
	s_waitcnt lgkmcnt(0)
	v_cmp_eq_u32_e32 vcc_lo, 0, v17
	s_cbranch_vccnz .LBB223_76
.LBB223_85:                             ;   in Loop: Header=BB223_21 Depth=1
	s_add_i32 s12, s12, 1
	s_add_i32 s4, s5, 3
	v_add_co_u32 v17, vcc_lo, v15, s12
	v_add_co_ci_u32_e32 v18, vcc_lo, 0, v16, vcc_lo
	v_mov_b32_e32 v20, s4
	s_delay_alu instid0(VALU_DEP_2) | instskip(NEXT) | instid1(VALU_DEP_1)
	v_lshlrev_b64 v[17:18], 2, v[17:18]
	v_add_co_u32 v17, vcc_lo, s58, v17
	s_delay_alu instid0(VALU_DEP_2)
	v_add_co_ci_u32_e32 v18, vcc_lo, s59, v18, vcc_lo
	global_store_b32 v[17:18], v20, off
	s_and_saveexec_b32 s4, s52
	s_cbranch_execz .LBB223_87
; %bb.86:                               ;   in Loop: Header=BB223_21 Depth=1
	v_add_co_u32 v20, vcc_lo, v2, s12
	v_add_co_ci_u32_e32 v22, vcc_lo, 0, v19, vcc_lo
	s_delay_alu instid0(VALU_DEP_2) | instskip(NEXT) | instid1(VALU_DEP_1)
	v_mad_u64_u32 v[17:18], null, v20, s16, 0
	v_mad_u64_u32 v[20:21], null, v22, s16, v[18:19]
	ds_load_b64 v[21:22], v36 offset:6144
	v_mov_b32_e32 v18, v20
	s_delay_alu instid0(VALU_DEP_1) | instskip(NEXT) | instid1(VALU_DEP_1)
	v_lshlrev_b64 v[17:18], 3, v[17:18]
	v_add_co_u32 v17, vcc_lo, v38, v17
	s_delay_alu instid0(VALU_DEP_2)
	v_add_co_ci_u32_e32 v18, vcc_lo, v37, v18, vcc_lo
	s_waitcnt lgkmcnt(0)
	global_store_b64 v[17:18], v[21:22], off
.LBB223_87:                             ;   in Loop: Header=BB223_21 Depth=1
	s_or_b32 exec_lo, exec_lo, s4
	ds_load_u8 v17, v1 offset:16388
	s_waitcnt lgkmcnt(0)
	v_cmp_eq_u32_e32 vcc_lo, 0, v17
	s_cbranch_vccnz .LBB223_77
.LBB223_88:                             ;   in Loop: Header=BB223_21 Depth=1
	s_add_i32 s12, s12, 1
	s_add_i32 s4, s5, 4
	v_add_co_u32 v17, vcc_lo, v15, s12
	v_add_co_ci_u32_e32 v18, vcc_lo, 0, v16, vcc_lo
	v_mov_b32_e32 v20, s4
	s_delay_alu instid0(VALU_DEP_2) | instskip(NEXT) | instid1(VALU_DEP_1)
	v_lshlrev_b64 v[17:18], 2, v[17:18]
	v_add_co_u32 v17, vcc_lo, s58, v17
	s_delay_alu instid0(VALU_DEP_2)
	v_add_co_ci_u32_e32 v18, vcc_lo, s59, v18, vcc_lo
	global_store_b32 v[17:18], v20, off
	s_and_saveexec_b32 s4, s52
	s_cbranch_execz .LBB223_90
; %bb.89:                               ;   in Loop: Header=BB223_21 Depth=1
	v_add_co_u32 v20, vcc_lo, v2, s12
	v_add_co_ci_u32_e32 v22, vcc_lo, 0, v19, vcc_lo
	s_delay_alu instid0(VALU_DEP_2) | instskip(NEXT) | instid1(VALU_DEP_1)
	v_mad_u64_u32 v[17:18], null, v20, s16, 0
	v_mad_u64_u32 v[20:21], null, v22, s16, v[18:19]
	ds_load_b64 v[21:22], v35 offset:8192
	v_mov_b32_e32 v18, v20
	s_delay_alu instid0(VALU_DEP_1) | instskip(NEXT) | instid1(VALU_DEP_1)
	v_lshlrev_b64 v[17:18], 3, v[17:18]
	v_add_co_u32 v17, vcc_lo, v38, v17
	s_delay_alu instid0(VALU_DEP_2)
	v_add_co_ci_u32_e32 v18, vcc_lo, v37, v18, vcc_lo
	s_waitcnt lgkmcnt(0)
	global_store_b64 v[17:18], v[21:22], off
.LBB223_90:                             ;   in Loop: Header=BB223_21 Depth=1
	s_or_b32 exec_lo, exec_lo, s4
	ds_load_u8 v17, v1 offset:16389
	s_waitcnt lgkmcnt(0)
	v_cmp_eq_u32_e32 vcc_lo, 0, v17
	s_cbranch_vccnz .LBB223_78
.LBB223_91:                             ;   in Loop: Header=BB223_21 Depth=1
	s_add_i32 s12, s12, 1
	s_add_i32 s4, s5, 5
	v_add_co_u32 v17, vcc_lo, v15, s12
	v_add_co_ci_u32_e32 v18, vcc_lo, 0, v16, vcc_lo
	v_mov_b32_e32 v20, s4
	s_delay_alu instid0(VALU_DEP_2) | instskip(NEXT) | instid1(VALU_DEP_1)
	v_lshlrev_b64 v[17:18], 2, v[17:18]
	v_add_co_u32 v17, vcc_lo, s58, v17
	s_delay_alu instid0(VALU_DEP_2)
	v_add_co_ci_u32_e32 v18, vcc_lo, s59, v18, vcc_lo
	global_store_b32 v[17:18], v20, off
	s_and_saveexec_b32 s4, s52
	s_cbranch_execz .LBB223_93
; %bb.92:                               ;   in Loop: Header=BB223_21 Depth=1
	v_add_co_u32 v20, vcc_lo, v2, s12
	v_add_co_ci_u32_e32 v22, vcc_lo, 0, v19, vcc_lo
	s_delay_alu instid0(VALU_DEP_2) | instskip(NEXT) | instid1(VALU_DEP_1)
	v_mad_u64_u32 v[17:18], null, v20, s16, 0
	v_mad_u64_u32 v[20:21], null, v22, s16, v[18:19]
	ds_load_b64 v[21:22], v36 offset:10240
	v_mov_b32_e32 v18, v20
	s_delay_alu instid0(VALU_DEP_1) | instskip(NEXT) | instid1(VALU_DEP_1)
	v_lshlrev_b64 v[17:18], 3, v[17:18]
	v_add_co_u32 v17, vcc_lo, v38, v17
	s_delay_alu instid0(VALU_DEP_2)
	v_add_co_ci_u32_e32 v18, vcc_lo, v37, v18, vcc_lo
	s_waitcnt lgkmcnt(0)
	global_store_b64 v[17:18], v[21:22], off
.LBB223_93:                             ;   in Loop: Header=BB223_21 Depth=1
	s_or_b32 exec_lo, exec_lo, s4
	ds_load_u8 v17, v1 offset:16390
	s_waitcnt lgkmcnt(0)
	v_cmp_eq_u32_e32 vcc_lo, 0, v17
	s_cbranch_vccnz .LBB223_97
.LBB223_94:                             ;   in Loop: Header=BB223_21 Depth=1
	s_add_i32 s12, s12, 1
	s_add_i32 s4, s5, 6
	v_add_co_u32 v17, vcc_lo, v15, s12
	v_add_co_ci_u32_e32 v18, vcc_lo, 0, v16, vcc_lo
	v_mov_b32_e32 v20, s4
	s_delay_alu instid0(VALU_DEP_2) | instskip(NEXT) | instid1(VALU_DEP_1)
	v_lshlrev_b64 v[17:18], 2, v[17:18]
	v_add_co_u32 v17, vcc_lo, s58, v17
	s_delay_alu instid0(VALU_DEP_2)
	v_add_co_ci_u32_e32 v18, vcc_lo, s59, v18, vcc_lo
	global_store_b32 v[17:18], v20, off
	s_and_saveexec_b32 s4, s52
	s_cbranch_execz .LBB223_96
; %bb.95:                               ;   in Loop: Header=BB223_21 Depth=1
	v_add_co_u32 v20, vcc_lo, v2, s12
	v_add_co_ci_u32_e32 v22, vcc_lo, 0, v19, vcc_lo
	s_delay_alu instid0(VALU_DEP_2) | instskip(NEXT) | instid1(VALU_DEP_1)
	v_mad_u64_u32 v[17:18], null, v20, s16, 0
	v_mad_u64_u32 v[20:21], null, v22, s16, v[18:19]
	ds_load_b64 v[21:22], v36 offset:12288
	v_mov_b32_e32 v18, v20
	s_delay_alu instid0(VALU_DEP_1) | instskip(NEXT) | instid1(VALU_DEP_1)
	v_lshlrev_b64 v[17:18], 3, v[17:18]
	v_add_co_u32 v17, vcc_lo, v38, v17
	s_delay_alu instid0(VALU_DEP_2)
	v_add_co_ci_u32_e32 v18, vcc_lo, v37, v18, vcc_lo
	s_waitcnt lgkmcnt(0)
	global_store_b64 v[17:18], v[21:22], off
.LBB223_96:                             ;   in Loop: Header=BB223_21 Depth=1
	s_or_b32 exec_lo, exec_lo, s4
.LBB223_97:                             ;   in Loop: Header=BB223_21 Depth=1
	ds_load_u8 v17, v1 offset:16391
	s_waitcnt lgkmcnt(0)
	v_and_b32_e32 v17, 1, v17
	s_delay_alu instid0(VALU_DEP_1)
	v_cmp_eq_u32_e32 vcc_lo, 1, v17
	s_cbranch_vccnz .LBB223_99
; %bb.98:                               ;   in Loop: Header=BB223_21 Depth=1
	v_add_co_u32 v17, vcc_lo, s12, v15
	v_add_co_ci_u32_e32 v18, vcc_lo, 0, v16, vcc_lo
	s_cbranch_execnz .LBB223_20
	s_branch .LBB223_100
.LBB223_99:                             ;   in Loop: Header=BB223_21 Depth=1
                                        ; implicit-def: $vgpr17_vgpr18
.LBB223_100:                            ;   in Loop: Header=BB223_21 Depth=1
	s_add_i32 s12, s12, 1
	s_add_i32 s4, s5, 7
	v_add_co_u32 v17, vcc_lo, v15, s12
	v_add_co_ci_u32_e32 v18, vcc_lo, 0, v16, vcc_lo
	v_mov_b32_e32 v20, s4
	s_delay_alu instid0(VALU_DEP_2) | instskip(NEXT) | instid1(VALU_DEP_1)
	v_lshlrev_b64 v[15:16], 2, v[17:18]
	v_add_co_u32 v15, vcc_lo, s58, v15
	s_delay_alu instid0(VALU_DEP_2)
	v_add_co_ci_u32_e32 v16, vcc_lo, s59, v16, vcc_lo
	global_store_b32 v[15:16], v20, off
	s_and_saveexec_b32 s4, s52
	s_cbranch_execz .LBB223_19
; %bb.101:                              ;   in Loop: Header=BB223_21 Depth=1
	v_add_co_u32 v2, vcc_lo, v2, s12
	v_add_co_ci_u32_e32 v22, vcc_lo, 0, v19, vcc_lo
	ds_load_b64 v[15:16], v36 offset:14336
	v_mad_u64_u32 v[19:20], null, v2, s16, 0
	s_and_not1_b32 vcc_lo, exec_lo, s28
	s_delay_alu instid0(VALU_DEP_1) | instskip(NEXT) | instid1(VALU_DEP_1)
	v_mov_b32_e32 v2, v20
	v_mad_u64_u32 v[20:21], null, v22, s16, v[2:3]
	s_delay_alu instid0(VALU_DEP_1)
	v_lshlrev_b64 v[19:20], 3, v[19:20]
	s_cbranch_vccnz .LBB223_103
; %bb.102:                              ;   in Loop: Header=BB223_21 Depth=1
	s_delay_alu instid0(VALU_DEP_1) | instskip(NEXT) | instid1(VALU_DEP_2)
	v_add_co_u32 v21, vcc_lo, v31, v19
	v_add_co_ci_u32_e32 v22, vcc_lo, v32, v20, vcc_lo
	s_waitcnt lgkmcnt(0)
	global_store_b64 v[21:22], v[15:16], off
	s_cbranch_execnz .LBB223_19
	s_branch .LBB223_104
.LBB223_103:                            ;   in Loop: Header=BB223_21 Depth=1
.LBB223_104:                            ;   in Loop: Header=BB223_21 Depth=1
	s_delay_alu instid0(VALU_DEP_1) | instskip(NEXT) | instid1(VALU_DEP_2)
	v_add_co_u32 v19, vcc_lo, v33, v19
	v_add_co_ci_u32_e32 v20, vcc_lo, v34, v20, vcc_lo
	s_waitcnt lgkmcnt(0)
	global_store_b64 v[19:20], v[15:16], off
	s_branch .LBB223_19
.LBB223_105:
	s_endpgm
	.section	.rodata,"a",@progbits
	.p2align	6, 0x0
	.amdhsa_kernel _ZN9rocsparseL31bsrgemm_block_per_row_multipassILj256ELj8ELj16Eli21rocsparse_complex_numIfEEEv20rocsparse_direction_T3_S4_PKS4_S6_NS_24const_host_device_scalarIT4_EEPKT2_S6_PKS8_SC_S6_SE_S9_SC_S6_SE_SC_PS4_PS8_PSA_21rocsparse_index_base_SI_SI_SI_bbb
		.amdhsa_group_segment_fixed_size 16392
		.amdhsa_private_segment_fixed_size 0
		.amdhsa_kernarg_size 172
		.amdhsa_user_sgpr_count 15
		.amdhsa_user_sgpr_dispatch_ptr 0
		.amdhsa_user_sgpr_queue_ptr 0
		.amdhsa_user_sgpr_kernarg_segment_ptr 1
		.amdhsa_user_sgpr_dispatch_id 0
		.amdhsa_user_sgpr_private_segment_size 0
		.amdhsa_wavefront_size32 1
		.amdhsa_uses_dynamic_stack 0
		.amdhsa_enable_private_segment 0
		.amdhsa_system_sgpr_workgroup_id_x 1
		.amdhsa_system_sgpr_workgroup_id_y 0
		.amdhsa_system_sgpr_workgroup_id_z 0
		.amdhsa_system_sgpr_workgroup_info 0
		.amdhsa_system_vgpr_workitem_id 0
		.amdhsa_next_free_vgpr 46
		.amdhsa_next_free_sgpr 70
		.amdhsa_reserve_vcc 1
		.amdhsa_float_round_mode_32 0
		.amdhsa_float_round_mode_16_64 0
		.amdhsa_float_denorm_mode_32 3
		.amdhsa_float_denorm_mode_16_64 3
		.amdhsa_dx10_clamp 1
		.amdhsa_ieee_mode 1
		.amdhsa_fp16_overflow 0
		.amdhsa_workgroup_processor_mode 1
		.amdhsa_memory_ordered 1
		.amdhsa_forward_progress 0
		.amdhsa_shared_vgpr_count 0
		.amdhsa_exception_fp_ieee_invalid_op 0
		.amdhsa_exception_fp_denorm_src 0
		.amdhsa_exception_fp_ieee_div_zero 0
		.amdhsa_exception_fp_ieee_overflow 0
		.amdhsa_exception_fp_ieee_underflow 0
		.amdhsa_exception_fp_ieee_inexact 0
		.amdhsa_exception_int_div_zero 0
	.end_amdhsa_kernel
	.section	.text._ZN9rocsparseL31bsrgemm_block_per_row_multipassILj256ELj8ELj16Eli21rocsparse_complex_numIfEEEv20rocsparse_direction_T3_S4_PKS4_S6_NS_24const_host_device_scalarIT4_EEPKT2_S6_PKS8_SC_S6_SE_S9_SC_S6_SE_SC_PS4_PS8_PSA_21rocsparse_index_base_SI_SI_SI_bbb,"axG",@progbits,_ZN9rocsparseL31bsrgemm_block_per_row_multipassILj256ELj8ELj16Eli21rocsparse_complex_numIfEEEv20rocsparse_direction_T3_S4_PKS4_S6_NS_24const_host_device_scalarIT4_EEPKT2_S6_PKS8_SC_S6_SE_S9_SC_S6_SE_SC_PS4_PS8_PSA_21rocsparse_index_base_SI_SI_SI_bbb,comdat
.Lfunc_end223:
	.size	_ZN9rocsparseL31bsrgemm_block_per_row_multipassILj256ELj8ELj16Eli21rocsparse_complex_numIfEEEv20rocsparse_direction_T3_S4_PKS4_S6_NS_24const_host_device_scalarIT4_EEPKT2_S6_PKS8_SC_S6_SE_S9_SC_S6_SE_SC_PS4_PS8_PSA_21rocsparse_index_base_SI_SI_SI_bbb, .Lfunc_end223-_ZN9rocsparseL31bsrgemm_block_per_row_multipassILj256ELj8ELj16Eli21rocsparse_complex_numIfEEEv20rocsparse_direction_T3_S4_PKS4_S6_NS_24const_host_device_scalarIT4_EEPKT2_S6_PKS8_SC_S6_SE_S9_SC_S6_SE_SC_PS4_PS8_PSA_21rocsparse_index_base_SI_SI_SI_bbb
                                        ; -- End function
	.section	.AMDGPU.csdata,"",@progbits
; Kernel info:
; codeLenInByte = 4276
; NumSgprs: 72
; NumVgprs: 46
; ScratchSize: 0
; MemoryBound: 1
; FloatMode: 240
; IeeeMode: 1
; LDSByteSize: 16392 bytes/workgroup (compile time only)
; SGPRBlocks: 8
; VGPRBlocks: 5
; NumSGPRsForWavesPerEU: 72
; NumVGPRsForWavesPerEU: 46
; Occupancy: 14
; WaveLimiterHint : 1
; COMPUTE_PGM_RSRC2:SCRATCH_EN: 0
; COMPUTE_PGM_RSRC2:USER_SGPR: 15
; COMPUTE_PGM_RSRC2:TRAP_HANDLER: 0
; COMPUTE_PGM_RSRC2:TGID_X_EN: 1
; COMPUTE_PGM_RSRC2:TGID_Y_EN: 0
; COMPUTE_PGM_RSRC2:TGID_Z_EN: 0
; COMPUTE_PGM_RSRC2:TIDIG_COMP_CNT: 0
	.section	.text._ZN9rocsparseL31bsrgemm_block_per_row_multipassILj256ELj2ELj32Eli21rocsparse_complex_numIfEEEv20rocsparse_direction_T3_S4_PKS4_S6_NS_24const_host_device_scalarIT4_EEPKT2_S6_PKS8_SC_S6_SE_S9_SC_S6_SE_SC_PS4_PS8_PSA_21rocsparse_index_base_SI_SI_SI_bbb,"axG",@progbits,_ZN9rocsparseL31bsrgemm_block_per_row_multipassILj256ELj2ELj32Eli21rocsparse_complex_numIfEEEv20rocsparse_direction_T3_S4_PKS4_S6_NS_24const_host_device_scalarIT4_EEPKT2_S6_PKS8_SC_S6_SE_S9_SC_S6_SE_SC_PS4_PS8_PSA_21rocsparse_index_base_SI_SI_SI_bbb,comdat
	.globl	_ZN9rocsparseL31bsrgemm_block_per_row_multipassILj256ELj2ELj32Eli21rocsparse_complex_numIfEEEv20rocsparse_direction_T3_S4_PKS4_S6_NS_24const_host_device_scalarIT4_EEPKT2_S6_PKS8_SC_S6_SE_S9_SC_S6_SE_SC_PS4_PS8_PSA_21rocsparse_index_base_SI_SI_SI_bbb ; -- Begin function _ZN9rocsparseL31bsrgemm_block_per_row_multipassILj256ELj2ELj32Eli21rocsparse_complex_numIfEEEv20rocsparse_direction_T3_S4_PKS4_S6_NS_24const_host_device_scalarIT4_EEPKT2_S6_PKS8_SC_S6_SE_S9_SC_S6_SE_SC_PS4_PS8_PSA_21rocsparse_index_base_SI_SI_SI_bbb
	.p2align	8
	.type	_ZN9rocsparseL31bsrgemm_block_per_row_multipassILj256ELj2ELj32Eli21rocsparse_complex_numIfEEEv20rocsparse_direction_T3_S4_PKS4_S6_NS_24const_host_device_scalarIT4_EEPKT2_S6_PKS8_SC_S6_SE_S9_SC_S6_SE_SC_PS4_PS8_PSA_21rocsparse_index_base_SI_SI_SI_bbb,@function
_ZN9rocsparseL31bsrgemm_block_per_row_multipassILj256ELj2ELj32Eli21rocsparse_complex_numIfEEEv20rocsparse_direction_T3_S4_PKS4_S6_NS_24const_host_device_scalarIT4_EEPKT2_S6_PKS8_SC_S6_SE_S9_SC_S6_SE_SC_PS4_PS8_PSA_21rocsparse_index_base_SI_SI_SI_bbb: ; @_ZN9rocsparseL31bsrgemm_block_per_row_multipassILj256ELj2ELj32Eli21rocsparse_complex_numIfEEEv20rocsparse_direction_T3_S4_PKS4_S6_NS_24const_host_device_scalarIT4_EEPKT2_S6_PKS8_SC_S6_SE_S9_SC_S6_SE_SC_PS4_PS8_PSA_21rocsparse_index_base_SI_SI_SI_bbb
; %bb.0:
	s_mov_b32 s2, s15
	s_clause 0x5
	s_load_b32 s44, s[0:1], 0xa8
	s_load_b256 s[4:11], s[0:1], 0x88
	s_load_b256 s[12:19], s[0:1], 0x68
	s_load_b256 s[20:27], s[0:1], 0x48
	s_load_b128 s[28:31], s[0:1], 0x10
	s_load_b256 s[36:43], s[0:1], 0x28
	s_mov_b32 s35, 0
	s_mov_b32 s33, 0
	s_waitcnt lgkmcnt(0)
	s_bitcmp1_b32 s44, 0
	s_cselect_b32 s50, -1, 0
	s_bitcmp1_b32 s44, 16
	s_cselect_b32 s3, -1, 0
	s_delay_alu instid0(SALU_CYCLE_1)
	s_xor_b32 s3, s3, -1
	s_bitcmp0_b32 s44, 0
	s_cbranch_scc1 .LBB224_5
; %bb.1:
	s_load_b64 s[34:35], s[0:1], 0x20
	s_and_not1_b32 vcc_lo, exec_lo, s3
	s_waitcnt lgkmcnt(0)
	s_mov_b32 s33, s34
	s_cbranch_vccnz .LBB224_3
; %bb.2:
	s_load_b32 s33, s[34:35], 0x0
.LBB224_3:
	s_and_not1_b32 vcc_lo, exec_lo, s3
	s_cbranch_vccnz .LBB224_5
; %bb.4:
	s_load_b32 s35, s[34:35], 0x4
.LBB224_5:
	s_bitcmp1_b32 s44, 8
	s_mov_b32 s57, 0
	s_cselect_b32 s34, -1, 0
	s_bfe_u32 s44, s44, 0x10008
	s_mov_b32 s56, 0
	s_cmp_eq_u32 s44, 0
	s_cbranch_scc1 .LBB224_11
; %bb.6:
	v_cndmask_b32_e64 v1, 0, 1, s3
	s_and_not1_b32 vcc_lo, exec_lo, s3
	s_mov_b32 s56, s24
	s_cbranch_vccnz .LBB224_8
; %bb.7:
	s_load_b32 s56, s[24:25], 0x0
.LBB224_8:
	s_delay_alu instid0(VALU_DEP_1)
	v_cmp_ne_u32_e32 vcc_lo, 1, v1
	s_cbranch_vccnz .LBB224_10
; %bb.9:
	s_load_b32 s25, s[24:25], 0x4
.LBB224_10:
	s_waitcnt lgkmcnt(0)
	s_mov_b32 s57, s25
.LBB224_11:
	s_cmp_eq_u64 s[30:31], 0
	s_mov_b64 s[44:45], 0
	s_cbranch_scc1 .LBB224_13
; %bb.12:
	s_load_b32 s3, s[28:29], 0x0
	s_waitcnt lgkmcnt(0)
	s_add_i32 s2, s3, s2
	s_mov_b32 s3, 0
	s_delay_alu instid0(SALU_CYCLE_1) | instskip(NEXT) | instid1(SALU_CYCLE_1)
	s_lshl_b64 s[2:3], s[2:3], 2
	s_add_u32 s2, s30, s2
	s_addc_u32 s3, s31, s3
	s_load_b32 s2, s[2:3], 0x0
.LBB224_13:
	s_and_not1_b32 vcc_lo, exec_lo, s50
	s_cbranch_vccz .LBB224_16
; %bb.14:
	s_and_not1_b32 vcc_lo, exec_lo, s50
	s_mov_b64 s[46:47], 0
	s_cbranch_vccz .LBB224_17
.LBB224_15:
	s_load_b128 s[28:31], s[0:1], 0x0
	s_waitcnt lgkmcnt(0)
	s_cmp_lt_i32 s29, 1
	s_cbranch_scc0 .LBB224_18
	s_branch .LBB224_131
.LBB224_16:
	s_waitcnt lgkmcnt(0)
	s_ashr_i32 s3, s2, 31
	s_delay_alu instid0(SALU_CYCLE_1) | instskip(NEXT) | instid1(SALU_CYCLE_1)
	s_lshl_b64 s[24:25], s[2:3], 3
	s_add_u32 s24, s36, s24
	s_addc_u32 s25, s37, s25
	s_load_b64 s[24:25], s[24:25], 0x0
	s_waitcnt lgkmcnt(0)
	s_sub_u32 s44, s24, s8
	s_subb_u32 s45, s25, 0
	s_and_not1_b32 vcc_lo, exec_lo, s50
	s_mov_b64 s[46:47], 0
	s_cbranch_vccnz .LBB224_15
.LBB224_17:
	s_waitcnt lgkmcnt(0)
	s_ashr_i32 s3, s2, 31
	s_delay_alu instid0(SALU_CYCLE_1) | instskip(NEXT) | instid1(SALU_CYCLE_1)
	s_lshl_b64 s[24:25], s[2:3], 3
	s_add_u32 s24, s36, s24
	s_addc_u32 s25, s37, s25
	s_load_b64 s[24:25], s[24:25], 0x8
	s_waitcnt lgkmcnt(0)
	s_sub_u32 s46, s24, s8
	s_subb_u32 s47, s25, 0
	s_load_b128 s[28:31], s[0:1], 0x0
	s_waitcnt lgkmcnt(0)
	s_cmp_lt_i32 s29, 1
	s_cbranch_scc1 .LBB224_131
.LBB224_18:
	s_ashr_i32 s3, s2, 31
	v_lshrrev_b32_e32 v9, 3, v0
	s_lshl_b64 s[2:3], s[2:3], 3
	v_and_b32_e32 v41, 7, v0
	s_add_u32 s0, s16, s2
	s_addc_u32 s1, s17, s3
	v_mov_b32_e32 v1, 0
	s_load_b64 s[24:25], s[0:1], 0x0
	v_mul_lo_u32 v2, v9, s30
	v_lshlrev_b32_e32 v44, 5, v9
	v_cmp_lt_i64_e64 s31, s[44:45], s[46:47]
	v_mov_b32_e32 v3, v1
	s_mul_i32 s16, s30, s30
	s_mov_b32 s17, 0
	s_mov_b32 s48, s11
	;; [unrolled: 1-line block ×3, first 2 shown]
	v_lshlrev_b64 v[7:8], 3, v[2:3]
	v_lshlrev_b32_e32 v2, 3, v41
	v_mov_b32_e32 v6, v1
	v_mul_lo_u32 v5, v41, s30
	v_dual_mov_b32 v10, v1 :: v_dual_and_b32 v15, 0xf8, v0
	s_delay_alu instid0(VALU_DEP_4)
	v_add_co_u32 v42, vcc_lo, v7, v2
	v_add_co_ci_u32_e32 v43, vcc_lo, 0, v8, vcc_lo
	v_or_b32_e32 v14, 16, v41
	s_waitcnt lgkmcnt(0)
	s_sub_u32 s52, s24, s10
	s_subb_u32 s53, s25, 0
	s_cmp_eq_u32 s28, 0
	v_lshlrev_b64 v[3:4], 3, v[5:6]
	s_cselect_b32 s1, -1, 0
	s_cmp_lg_u32 s28, 0
	v_or_b32_e32 v6, 8, v41
	s_cselect_b32 s58, -1, 0
	s_cmp_gt_i32 s30, 0
	v_add_co_u32 v17, vcc_lo, v15, v3
	s_cselect_b32 s59, -1, 0
	s_add_u32 s36, s26, s2
	v_add_co_u32 v45, s2, s4, v15
	s_delay_alu instid0(VALU_DEP_1)
	v_add_co_ci_u32_e64 v46, null, s5, 0, s2
	v_add_co_u32 v47, s2, s4, v7
	v_add_co_ci_u32_e32 v18, vcc_lo, 0, v4, vcc_lo
	v_add_co_ci_u32_e64 v48, s2, s5, v8, s2
	v_cmp_gt_i32_e32 vcc_lo, s30, v9
	s_addc_u32 s37, s27, s3
	v_cmp_gt_u32_e64 s2, s30, v41
	v_cmp_gt_u32_e64 s3, s30, v6
	v_or_b32_e32 v16, 24, v41
	s_lshl_b32 s4, s30, 3
	s_delay_alu instid0(SALU_CYCLE_1)
	v_dual_mov_b32 v12, v1 :: v_dual_add_nc_u32 v9, s4, v5
	s_and_b32 s61, vcc_lo, s2
	v_cmp_gt_u32_e64 s2, s30, v14
	s_and_b32 s62, vcc_lo, s3
	v_cmp_gt_u32_e64 s3, s30, v16
	v_add_nc_u32_e32 v11, s4, v9
	s_and_b32 s60, s50, s31
	s_and_b32 s63, vcc_lo, s2
	v_or_b32_e32 v5, v44, v41
	s_and_b32 s64, vcc_lo, s3
	s_add_u32 s65, s42, 8
	s_addc_u32 s66, s43, 0
	s_mul_i32 s2, s45, s16
	s_mul_hi_u32 s3, s44, s16
	s_add_u32 s67, s18, -4
	v_or_b32_e32 v19, v44, v14
	v_mov_b32_e32 v14, v1
	s_addc_u32 s68, s19, -1
	s_add_i32 s5, s3, s2
	s_mov_b32 s25, s17
	v_add_nc_u32_e32 v13, s4, v11
	s_mul_i32 s4, s44, s16
	v_dual_mov_b32 v76, 1 :: v_dual_lshlrev_b32 v49, 3, v5
	v_or_b32_e32 v5, 0x400, v0
	s_lshl_b64 s[4:5], s[4:5], 3
	v_or_b32_e32 v6, v44, v6
	s_add_u32 s24, s40, s4
	s_addc_u32 s5, s41, s5
	v_cmp_gt_u32_e64 s2, 0x700, v5
	v_add_co_u32 v5, s4, s24, v15
	v_lshlrev_b32_e32 v50, 3, v6
	v_add_co_ci_u32_e64 v6, null, s5, 0, s4
	v_or_b32_e32 v16, v44, v16
	s_delay_alu instid0(VALU_DEP_4) | instskip(NEXT) | instid1(VALU_DEP_3)
	v_add_co_u32 v5, vcc_lo, v5, 4
	v_add_co_ci_u32_e32 v6, vcc_lo, 0, v6, vcc_lo
	s_delay_alu instid0(VALU_DEP_3)
	v_lshlrev_b32_e32 v52, 3, v16
	v_add_co_u32 v16, vcc_lo, v3, s22
	v_lshlrev_b32_e32 v51, 3, v19
	v_add_co_ci_u32_e32 v19, vcc_lo, s23, v4, vcc_lo
	v_add_co_u32 v7, vcc_lo, s24, v7
	v_add_co_ci_u32_e32 v8, vcc_lo, s5, v8, vcc_lo
	v_add_co_u32 v54, vcc_lo, v16, 4
	v_lshlrev_b64 v[9:10], 3, v[9:10]
	v_add_co_ci_u32_e32 v55, vcc_lo, 0, v19, vcc_lo
	v_add_co_u32 v7, vcc_lo, v7, 4
	v_add_co_u32 v2, s5, v2, s22
	v_add_co_ci_u32_e32 v8, vcc_lo, 0, v8, vcc_lo
	v_add_co_ci_u32_e64 v16, null, 0, s23, s5
	v_add_co_u32 v19, vcc_lo, v9, s22
	v_add_co_ci_u32_e32 v20, vcc_lo, s23, v10, vcc_lo
	v_add_co_u32 v56, vcc_lo, v2, 4
	s_delay_alu instid0(VALU_DEP_4) | instskip(NEXT) | instid1(VALU_DEP_4)
	v_add_co_ci_u32_e32 v57, vcc_lo, 0, v16, vcc_lo
	v_add_co_u32 v58, vcc_lo, v19, 4
	v_lshlrev_b64 v[11:12], 3, v[11:12]
	v_add_co_ci_u32_e32 v59, vcc_lo, 0, v20, vcc_lo
	v_add_co_u32 v60, vcc_lo, v2, 64
	v_add_co_ci_u32_e32 v61, vcc_lo, 0, v16, vcc_lo
	s_delay_alu instid0(VALU_DEP_4) | instskip(SKIP_2) | instid1(VALU_DEP_3)
	v_add_co_u32 v19, vcc_lo, v11, s22
	v_add_co_ci_u32_e32 v20, vcc_lo, s23, v12, vcc_lo
	v_lshlrev_b64 v[13:14], 3, v[13:14]
	v_add_co_u32 v62, vcc_lo, v19, 4
	s_delay_alu instid0(VALU_DEP_3) | instskip(SKIP_1) | instid1(VALU_DEP_3)
	v_add_co_ci_u32_e32 v63, vcc_lo, 0, v20, vcc_lo
	s_mov_b32 s31, s17
	v_add_co_u32 v19, vcc_lo, v13, s22
	s_delay_alu instid0(VALU_DEP_4) | instskip(SKIP_2) | instid1(VALU_DEP_4)
	v_add_co_ci_u32_e32 v20, vcc_lo, s23, v14, vcc_lo
	v_add_co_u32 v64, vcc_lo, 0x80, v2
	v_add_co_ci_u32_e32 v65, vcc_lo, 0, v16, vcc_lo
	v_add_co_u32 v66, vcc_lo, v19, 4
	s_delay_alu instid0(VALU_DEP_4)
	v_add_co_ci_u32_e32 v67, vcc_lo, 0, v20, vcc_lo
	v_add_co_u32 v68, vcc_lo, 0xc0, v2
	v_add_co_ci_u32_e32 v69, vcc_lo, 0, v16, vcc_lo
	v_add_co_u32 v70, vcc_lo, v15, v9
	;; [unrolled: 2-line block ×3, first 2 shown]
	v_add_co_ci_u32_e32 v73, vcc_lo, 0, v12, vcc_lo
	s_mov_b32 s24, s17
	s_lshl_b64 s[22:23], s[48:49], 2
	v_add_co_u32 v74, vcc_lo, v15, v13
	v_mov_b32_e32 v15, s24
	s_lshl_b64 s[40:41], s[16:17], 3
	s_lshl_b64 s[50:51], s[30:31], 3
	v_cmp_gt_u32_e64 s0, 2, v0
	v_lshlrev_b32_e32 v53, 3, v0
	v_cmp_gt_u32_e64 s3, 0x200, v0
	v_cmp_gt_u32_e64 s4, 0x100, v0
	s_sub_u32 s31, s12, s22
	v_add_co_ci_u32_e32 v75, vcc_lo, 0, v14, vcc_lo
	v_mov_b32_e32 v16, s25
	v_cndmask_b32_e64 v77, v18, v43, s1
	v_cndmask_b32_e64 v78, v17, v42, s1
	s_subb_u32 s49, s13, s23
	s_sub_u32 s69, 1, s11
	s_mov_b32 s71, 2
	s_mov_b32 s28, s9
	s_subb_u32 s70, 0, 0
	s_branch .LBB224_21
.LBB224_19:                             ;   in Loop: Header=BB224_21 Depth=1
	s_or_b32 exec_lo, exec_lo, s17
.LBB224_20:                             ;   in Loop: Header=BB224_21 Depth=1
	s_min_i32 s17, s5, s29
	s_mov_b64 s[52:53], s[12:13]
	s_add_i32 s71, s17, 2
	s_cmp_lt_i32 s5, s29
	s_waitcnt_vscnt null, 0x0
	s_barrier
	buffer_gl0_inv
	s_barrier
	buffer_gl0_inv
	s_cbranch_scc0 .LBB224_131
.LBB224_21:                             ; =>This Loop Header: Depth=1
                                        ;     Child Loop BB224_31 Depth 2
                                        ;       Child Loop BB224_36 Depth 3
                                        ;         Child Loop BB224_48 Depth 4
                                        ;         Child Loop BB224_53 Depth 4
	;; [unrolled: 1-line block ×8, first 2 shown]
                                        ;     Child Loop BB224_95 Depth 2
	s_and_saveexec_b32 s5, s0
	s_cbranch_execz .LBB224_23
; %bb.22:                               ;   in Loop: Header=BB224_21 Depth=1
	ds_store_b8 v0, v1 offset:16384
.LBB224_23:                             ;   in Loop: Header=BB224_21 Depth=1
	s_or_b32 exec_lo, exec_lo, s5
	ds_store_2addr_stride64_b64 v53, v[15:16], v[15:16] offset1:4
	ds_store_2addr_stride64_b64 v53, v[15:16], v[15:16] offset0:8 offset1:12
	ds_store_b64 v53, v[15:16] offset:8192
	s_and_saveexec_b32 s5, s2
	s_delay_alu instid0(SALU_CYCLE_1)
	s_xor_b32 s5, exec_lo, s5
	s_cbranch_execz .LBB224_29
; %bb.24:                               ;   in Loop: Header=BB224_21 Depth=1
	v_mov_b32_e32 v2, v1
	ds_store_b64 v53, v[1:2] offset:10240
	s_and_saveexec_b32 s12, s3
	s_delay_alu instid0(SALU_CYCLE_1)
	s_xor_b32 s12, exec_lo, s12
	s_cbranch_execz .LBB224_28
; %bb.25:                               ;   in Loop: Header=BB224_21 Depth=1
	ds_store_b64 v53, v[1:2] offset:12288
	s_and_saveexec_b32 s13, s4
	s_delay_alu instid0(SALU_CYCLE_1)
	s_xor_b32 s13, exec_lo, s13
	s_cbranch_execz .LBB224_27
; %bb.26:                               ;   in Loop: Header=BB224_21 Depth=1
	v_mov_b32_e32 v2, v1
	ds_store_b64 v53, v[1:2] offset:14336
.LBB224_27:                             ;   in Loop: Header=BB224_21 Depth=1
	s_or_b32 exec_lo, exec_lo, s13
.LBB224_28:                             ;   in Loop: Header=BB224_21 Depth=1
	s_delay_alu instid0(SALU_CYCLE_1)
	s_or_b32 exec_lo, exec_lo, s12
.LBB224_29:                             ;   in Loop: Header=BB224_21 Depth=1
	s_delay_alu instid0(SALU_CYCLE_1) | instskip(NEXT) | instid1(SALU_CYCLE_1)
	s_or_b32 exec_lo, exec_lo, s5
	s_and_not1_b32 vcc_lo, exec_lo, s60
	s_mov_b32 s5, s29
	s_waitcnt lgkmcnt(0)
	s_barrier
	buffer_gl0_inv
	s_cbranch_vccnz .LBB224_92
; %bb.30:                               ;   in Loop: Header=BB224_21 Depth=1
	v_dual_mov_b32 v18, v8 :: v_dual_mov_b32 v17, v7
	v_dual_mov_b32 v20, v6 :: v_dual_mov_b32 v19, v5
	s_cmp_lg_u32 s17, 0
	s_mov_b32 s73, s29
	s_cselect_b32 s72, -1, 0
	s_mov_b64 s[12:13], s[44:45]
.LBB224_31:                             ;   Parent Loop BB224_21 Depth=1
                                        ; =>  This Loop Header: Depth=2
                                        ;       Child Loop BB224_36 Depth 3
                                        ;         Child Loop BB224_48 Depth 4
                                        ;         Child Loop BB224_53 Depth 4
	;; [unrolled: 1-line block ×8, first 2 shown]
	s_delay_alu instid0(SALU_CYCLE_1) | instskip(NEXT) | instid1(SALU_CYCLE_1)
	s_lshl_b64 s[22:23], s[12:13], 2
	s_add_u32 s22, s38, s22
	s_addc_u32 s23, s39, s23
	s_and_b32 vcc_lo, exec_lo, s72
	s_load_b32 s5, s[22:23], 0x0
	s_waitcnt lgkmcnt(0)
	s_sub_i32 s22, s5, s8
	s_cbranch_vccz .LBB224_91
; %bb.32:                               ;   in Loop: Header=BB224_31 Depth=2
	s_lshl_b64 s[24:25], s[12:13], 3
	s_delay_alu instid0(SALU_CYCLE_1)
	s_add_u32 s24, s6, s24
	s_addc_u32 s25, s7, s25
	s_ashr_i32 s23, s22, 31
	global_load_b64 v[21:22], v1, s[24:25]
	s_waitcnt vmcnt(0)
	v_readfirstlane_b32 s24, v21
	v_readfirstlane_b32 s25, v22
	s_cbranch_execnz .LBB224_34
.LBB224_33:                             ;   in Loop: Header=BB224_31 Depth=2
	s_ashr_i32 s23, s22, 31
	s_delay_alu instid0(SALU_CYCLE_1) | instskip(NEXT) | instid1(SALU_CYCLE_1)
	s_lshl_b64 s[24:25], s[22:23], 3
	s_add_u32 s24, s42, s24
	s_addc_u32 s25, s43, s25
	s_load_b64 s[24:25], s[24:25], 0x0
	s_waitcnt lgkmcnt(0)
	s_sub_u32 s24, s24, s28
	s_subb_u32 s25, s25, 0
.LBB224_34:                             ;   in Loop: Header=BB224_31 Depth=2
	s_lshl_b64 s[22:23], s[22:23], 3
	s_delay_alu instid0(SALU_CYCLE_1)
	s_add_u32 s22, s65, s22
	s_addc_u32 s23, s66, s23
	s_load_b64 s[22:23], s[22:23], 0x0
	s_waitcnt lgkmcnt(0)
	s_sub_u32 s22, s22, s28
	s_subb_u32 s23, s23, 0
	s_delay_alu instid0(SALU_CYCLE_1) | instskip(NEXT) | instid1(VALU_DEP_1)
	v_cmp_ge_i64_e64 s5, s[24:25], s[22:23]
	s_and_b32 vcc_lo, exec_lo, s5
	s_cbranch_vccnz .LBB224_88
; %bb.35:                               ;   in Loop: Header=BB224_31 Depth=2
	s_mul_i32 s5, s40, s25
	s_mul_hi_u32 s26, s40, s24
	s_mul_i32 s27, s41, s24
	s_add_i32 s5, s26, s5
	s_mul_i32 s26, s40, s24
	s_add_i32 s5, s5, s27
	v_add_co_u32 v21, vcc_lo, v54, s26
	v_add_co_ci_u32_e32 v22, vcc_lo, s5, v55, vcc_lo
	v_add_co_u32 v23, vcc_lo, v56, s26
	v_add_co_ci_u32_e32 v24, vcc_lo, s5, v57, vcc_lo
	;; [unrolled: 2-line block ×8, first 2 shown]
	s_mov_b64 s[26:27], s[24:25]
.LBB224_36:                             ;   Parent Loop BB224_21 Depth=1
                                        ;     Parent Loop BB224_31 Depth=2
                                        ; =>    This Loop Header: Depth=3
                                        ;         Child Loop BB224_48 Depth 4
                                        ;         Child Loop BB224_53 Depth 4
	;; [unrolled: 1-line block ×8, first 2 shown]
	s_delay_alu instid0(SALU_CYCLE_1)
	s_lshl_b64 s[54:55], s[26:27], 2
	s_mov_b32 s76, -1
	s_add_u32 s54, s20, s54
	s_addc_u32 s55, s21, s55
                                        ; implicit-def: $sgpr74
	s_load_b32 s5, s[54:55], 0x0
                                        ; implicit-def: $sgpr54_sgpr55
	s_waitcnt lgkmcnt(0)
	s_sub_i32 s75, s5, s9
	s_delay_alu instid0(SALU_CYCLE_1) | instskip(SKIP_3) | instid1(SALU_CYCLE_1)
	s_cmp_lt_i32 s75, s17
	s_cselect_b32 s5, -1, 0
	s_cmp_ge_i32 s75, s71
	s_cselect_b32 s77, -1, 0
	s_or_b32 s5, s5, s77
	s_delay_alu instid0(SALU_CYCLE_1)
	s_and_b32 vcc_lo, exec_lo, s5
                                        ; implicit-def: $sgpr5
	s_cbranch_vccz .LBB224_40
; %bb.37:                               ;   in Loop: Header=BB224_36 Depth=3
	s_mov_b32 s74, -1
	s_and_not1_b32 vcc_lo, exec_lo, s77
	s_mov_b32 s5, s73
	s_mov_b64 s[54:55], s[24:25]
	s_cbranch_vccnz .LBB224_39
; %bb.38:                               ;   in Loop: Header=BB224_36 Depth=3
	s_min_i32 s5, s75, s73
	s_mov_b32 s74, 0
	s_mov_b64 s[54:55], s[26:27]
.LBB224_39:                             ;   in Loop: Header=BB224_36 Depth=3
	s_mov_b32 s76, 0
.LBB224_40:                             ;   in Loop: Header=BB224_36 Depth=3
	s_delay_alu instid0(SALU_CYCLE_1)
	s_and_not1_b32 vcc_lo, exec_lo, s76
	s_cbranch_vccnz .LBB224_86
; %bb.41:                               ;   in Loop: Header=BB224_36 Depth=3
	s_sub_i32 s5, s75, s17
	s_delay_alu instid0(SALU_CYCLE_1)
	v_mov_b32_e32 v37, s5
	v_lshl_or_b32 v2, s5, 10, v44
	ds_store_b8 v37, v76 offset:16384
	s_and_saveexec_b32 s5, s61
	s_cbranch_execnz .LBB224_45
; %bb.42:                               ;   in Loop: Header=BB224_36 Depth=3
	s_or_b32 exec_lo, exec_lo, s5
	s_and_saveexec_b32 s5, s62
	s_cbranch_execnz .LBB224_55
.LBB224_43:                             ;   in Loop: Header=BB224_36 Depth=3
	s_or_b32 exec_lo, exec_lo, s5
	s_and_saveexec_b32 s5, s63
	s_cbranch_execnz .LBB224_65
.LBB224_44:                             ;   in Loop: Header=BB224_36 Depth=3
	s_or_b32 exec_lo, exec_lo, s5
	s_and_saveexec_b32 s54, s64
	s_cbranch_execnz .LBB224_75
	s_branch .LBB224_85
.LBB224_45:                             ;   in Loop: Header=BB224_36 Depth=3
	s_and_not1_b32 vcc_lo, exec_lo, s58
	s_cbranch_vccnz .LBB224_50
; %bb.46:                               ;   in Loop: Header=BB224_36 Depth=3
	v_dual_mov_b32 v79, 0 :: v_dual_mov_b32 v80, 0
	s_and_not1_b32 vcc_lo, exec_lo, s59
	s_mov_b32 s54, 0
	s_cbranch_vccnz .LBB224_49
; %bb.47:                               ;   in Loop: Header=BB224_36 Depth=3
	v_dual_mov_b32 v79, 0 :: v_dual_mov_b32 v38, v22
	v_dual_mov_b32 v37, v21 :: v_dual_mov_b32 v40, v20
	;; [unrolled: 1-line block ×3, first 2 shown]
	s_mov_b32 s55, s30
	.p2align	6
.LBB224_48:                             ;   Parent Loop BB224_21 Depth=1
                                        ;     Parent Loop BB224_31 Depth=2
                                        ;       Parent Loop BB224_36 Depth=3
                                        ; =>      This Inner Loop Header: Depth=4
	global_load_b64 v[81:82], v[39:40], off offset:-4
	global_load_b64 v[83:84], v[37:38], off offset:-4
	v_add_co_u32 v39, vcc_lo, v39, s50
	v_add_co_ci_u32_e32 v40, vcc_lo, s51, v40, vcc_lo
	v_add_co_u32 v37, vcc_lo, v37, 8
	v_add_co_ci_u32_e32 v38, vcc_lo, 0, v38, vcc_lo
	s_add_i32 s55, s55, -1
	s_delay_alu instid0(SALU_CYCLE_1) | instskip(SKIP_3) | instid1(VALU_DEP_2)
	s_cmp_lg_u32 s55, 0
	s_waitcnt vmcnt(0)
	v_fmac_f32_e32 v79, v81, v83
	v_fmac_f32_e32 v80, v82, v83
	v_fma_f32 v79, -v82, v84, v79
	s_delay_alu instid0(VALU_DEP_2)
	v_fmac_f32_e32 v80, v81, v84
	s_cbranch_scc1 .LBB224_48
.LBB224_49:                             ;   in Loop: Header=BB224_36 Depth=3
	s_and_not1_b32 vcc_lo, exec_lo, s54
	s_cbranch_vccz .LBB224_51
	s_branch .LBB224_54
.LBB224_50:                             ;   in Loop: Header=BB224_36 Depth=3
                                        ; implicit-def: $vgpr79
                                        ; implicit-def: $vgpr80
.LBB224_51:                             ;   in Loop: Header=BB224_36 Depth=3
	v_dual_mov_b32 v79, 0 :: v_dual_mov_b32 v80, 0
	s_and_not1_b32 vcc_lo, exec_lo, s59
	s_cbranch_vccnz .LBB224_54
; %bb.52:                               ;   in Loop: Header=BB224_36 Depth=3
	v_dual_mov_b32 v79, 0 :: v_dual_mov_b32 v38, v24
	v_dual_mov_b32 v37, v23 :: v_dual_mov_b32 v40, v18
	;; [unrolled: 1-line block ×3, first 2 shown]
	s_mov_b32 s54, s30
	.p2align	6
.LBB224_53:                             ;   Parent Loop BB224_21 Depth=1
                                        ;     Parent Loop BB224_31 Depth=2
                                        ;       Parent Loop BB224_36 Depth=3
                                        ; =>      This Inner Loop Header: Depth=4
	global_load_b64 v[81:82], v[39:40], off offset:-4
	global_load_b64 v[83:84], v[37:38], off offset:-4
	v_add_co_u32 v39, vcc_lo, v39, 8
	v_add_co_ci_u32_e32 v40, vcc_lo, 0, v40, vcc_lo
	v_add_co_u32 v37, vcc_lo, v37, s50
	v_add_co_ci_u32_e32 v38, vcc_lo, s51, v38, vcc_lo
	s_add_i32 s54, s54, -1
	s_delay_alu instid0(SALU_CYCLE_1) | instskip(SKIP_3) | instid1(VALU_DEP_2)
	s_cmp_eq_u32 s54, 0
	s_waitcnt vmcnt(0)
	v_fmac_f32_e32 v79, v81, v83
	v_fmac_f32_e32 v80, v82, v83
	v_fma_f32 v79, -v82, v84, v79
	s_delay_alu instid0(VALU_DEP_2)
	v_fmac_f32_e32 v80, v81, v84
	s_cbranch_scc0 .LBB224_53
.LBB224_54:                             ;   in Loop: Header=BB224_36 Depth=3
	v_or_b32_e32 v37, v2, v41
	s_delay_alu instid0(VALU_DEP_1) | instskip(SKIP_4) | instid1(VALU_DEP_2)
	v_lshlrev_b32_e32 v39, 3, v37
	ds_load_b64 v[37:38], v39
	s_waitcnt lgkmcnt(0)
	v_fmac_f32_e32 v38, s35, v79
	v_fma_f32 v37, s33, v79, v37
	v_fmac_f32_e32 v38, s33, v80
	s_delay_alu instid0(VALU_DEP_2)
	v_fma_f32 v37, -s35, v80, v37
	ds_store_b64 v39, v[37:38]
	s_or_b32 exec_lo, exec_lo, s5
	s_and_saveexec_b32 s5, s62
	s_cbranch_execz .LBB224_43
.LBB224_55:                             ;   in Loop: Header=BB224_36 Depth=3
	s_and_not1_b32 vcc_lo, exec_lo, s58
	s_cbranch_vccnz .LBB224_60
; %bb.56:                               ;   in Loop: Header=BB224_36 Depth=3
	v_dual_mov_b32 v79, 0 :: v_dual_mov_b32 v80, 0
	s_and_not1_b32 vcc_lo, exec_lo, s59
	s_mov_b32 s54, 0
	s_cbranch_vccnz .LBB224_59
; %bb.57:                               ;   in Loop: Header=BB224_36 Depth=3
	v_dual_mov_b32 v79, 0 :: v_dual_mov_b32 v38, v26
	v_dual_mov_b32 v37, v25 :: v_dual_mov_b32 v40, v20
	;; [unrolled: 1-line block ×3, first 2 shown]
	s_mov_b32 s55, s30
	.p2align	6
.LBB224_58:                             ;   Parent Loop BB224_21 Depth=1
                                        ;     Parent Loop BB224_31 Depth=2
                                        ;       Parent Loop BB224_36 Depth=3
                                        ; =>      This Inner Loop Header: Depth=4
	global_load_b64 v[81:82], v[39:40], off offset:-4
	global_load_b64 v[83:84], v[37:38], off offset:-4
	v_add_co_u32 v39, vcc_lo, v39, s50
	v_add_co_ci_u32_e32 v40, vcc_lo, s51, v40, vcc_lo
	v_add_co_u32 v37, vcc_lo, v37, 8
	v_add_co_ci_u32_e32 v38, vcc_lo, 0, v38, vcc_lo
	s_add_i32 s55, s55, -1
	s_delay_alu instid0(SALU_CYCLE_1) | instskip(SKIP_3) | instid1(VALU_DEP_2)
	s_cmp_eq_u32 s55, 0
	s_waitcnt vmcnt(0)
	v_fmac_f32_e32 v79, v81, v83
	v_fmac_f32_e32 v80, v82, v83
	v_fma_f32 v79, -v82, v84, v79
	s_delay_alu instid0(VALU_DEP_2)
	v_fmac_f32_e32 v80, v81, v84
	s_cbranch_scc0 .LBB224_58
.LBB224_59:                             ;   in Loop: Header=BB224_36 Depth=3
	s_and_not1_b32 vcc_lo, exec_lo, s54
	s_cbranch_vccz .LBB224_61
	s_branch .LBB224_64
.LBB224_60:                             ;   in Loop: Header=BB224_36 Depth=3
                                        ; implicit-def: $vgpr79
                                        ; implicit-def: $vgpr80
.LBB224_61:                             ;   in Loop: Header=BB224_36 Depth=3
	v_dual_mov_b32 v79, 0 :: v_dual_mov_b32 v80, 0
	s_and_not1_b32 vcc_lo, exec_lo, s59
	s_cbranch_vccnz .LBB224_64
; %bb.62:                               ;   in Loop: Header=BB224_36 Depth=3
	v_dual_mov_b32 v79, 0 :: v_dual_mov_b32 v38, v18
	v_dual_mov_b32 v37, v17 :: v_dual_mov_b32 v40, v28
	;; [unrolled: 1-line block ×3, first 2 shown]
	s_mov_b32 s54, s30
	.p2align	6
.LBB224_63:                             ;   Parent Loop BB224_21 Depth=1
                                        ;     Parent Loop BB224_31 Depth=2
                                        ;       Parent Loop BB224_36 Depth=3
                                        ; =>      This Inner Loop Header: Depth=4
	global_load_b64 v[81:82], v[37:38], off offset:-4
	global_load_b64 v[83:84], v[39:40], off
	v_add_co_u32 v39, vcc_lo, v39, s50
	v_add_co_ci_u32_e32 v40, vcc_lo, s51, v40, vcc_lo
	v_add_co_u32 v37, vcc_lo, v37, 8
	v_add_co_ci_u32_e32 v38, vcc_lo, 0, v38, vcc_lo
	s_add_i32 s54, s54, -1
	s_delay_alu instid0(SALU_CYCLE_1) | instskip(SKIP_3) | instid1(VALU_DEP_2)
	s_cmp_eq_u32 s54, 0
	s_waitcnt vmcnt(0)
	v_fmac_f32_e32 v79, v81, v83
	v_fmac_f32_e32 v80, v82, v83
	v_fma_f32 v79, -v82, v84, v79
	s_delay_alu instid0(VALU_DEP_2)
	v_fmac_f32_e32 v80, v81, v84
	s_cbranch_scc0 .LBB224_63
.LBB224_64:                             ;   in Loop: Header=BB224_36 Depth=3
	v_add_lshl_u32 v39, v2, v41, 3
	ds_load_b64 v[37:38], v39 offset:64
	s_waitcnt lgkmcnt(0)
	v_fma_f32 v37, s33, v79, v37
	v_fmac_f32_e32 v38, s35, v79
	s_delay_alu instid0(VALU_DEP_2) | instskip(NEXT) | instid1(VALU_DEP_2)
	v_fma_f32 v37, -s35, v80, v37
	v_fmac_f32_e32 v38, s33, v80
	ds_store_b64 v39, v[37:38] offset:64
	s_or_b32 exec_lo, exec_lo, s5
	s_and_saveexec_b32 s5, s63
	s_cbranch_execz .LBB224_44
.LBB224_65:                             ;   in Loop: Header=BB224_36 Depth=3
	s_and_not1_b32 vcc_lo, exec_lo, s58
	s_cbranch_vccnz .LBB224_70
; %bb.66:                               ;   in Loop: Header=BB224_36 Depth=3
	v_dual_mov_b32 v79, 0 :: v_dual_mov_b32 v80, 0
	s_and_not1_b32 vcc_lo, exec_lo, s59
	s_mov_b32 s54, 0
	s_cbranch_vccnz .LBB224_69
; %bb.67:                               ;   in Loop: Header=BB224_36 Depth=3
	v_dual_mov_b32 v79, 0 :: v_dual_mov_b32 v38, v30
	v_dual_mov_b32 v37, v29 :: v_dual_mov_b32 v40, v20
	;; [unrolled: 1-line block ×3, first 2 shown]
	s_mov_b32 s55, s30
	.p2align	6
.LBB224_68:                             ;   Parent Loop BB224_21 Depth=1
                                        ;     Parent Loop BB224_31 Depth=2
                                        ;       Parent Loop BB224_36 Depth=3
                                        ; =>      This Inner Loop Header: Depth=4
	global_load_b64 v[81:82], v[39:40], off offset:-4
	global_load_b64 v[83:84], v[37:38], off offset:-4
	v_add_co_u32 v39, vcc_lo, v39, s50
	v_add_co_ci_u32_e32 v40, vcc_lo, s51, v40, vcc_lo
	v_add_co_u32 v37, vcc_lo, v37, 8
	v_add_co_ci_u32_e32 v38, vcc_lo, 0, v38, vcc_lo
	s_add_i32 s55, s55, -1
	s_delay_alu instid0(SALU_CYCLE_1) | instskip(SKIP_3) | instid1(VALU_DEP_2)
	s_cmp_eq_u32 s55, 0
	s_waitcnt vmcnt(0)
	v_fmac_f32_e32 v79, v81, v83
	v_fmac_f32_e32 v80, v82, v83
	v_fma_f32 v79, -v82, v84, v79
	s_delay_alu instid0(VALU_DEP_2)
	v_fmac_f32_e32 v80, v81, v84
	s_cbranch_scc0 .LBB224_68
.LBB224_69:                             ;   in Loop: Header=BB224_36 Depth=3
	s_and_not1_b32 vcc_lo, exec_lo, s54
	s_cbranch_vccz .LBB224_71
	s_branch .LBB224_74
.LBB224_70:                             ;   in Loop: Header=BB224_36 Depth=3
                                        ; implicit-def: $vgpr79
                                        ; implicit-def: $vgpr80
.LBB224_71:                             ;   in Loop: Header=BB224_36 Depth=3
	v_dual_mov_b32 v79, 0 :: v_dual_mov_b32 v80, 0
	s_and_not1_b32 vcc_lo, exec_lo, s59
	s_cbranch_vccnz .LBB224_74
; %bb.72:                               ;   in Loop: Header=BB224_36 Depth=3
	v_dual_mov_b32 v79, 0 :: v_dual_mov_b32 v38, v18
	v_dual_mov_b32 v37, v17 :: v_dual_mov_b32 v40, v32
	;; [unrolled: 1-line block ×3, first 2 shown]
	s_mov_b32 s54, s30
	.p2align	6
.LBB224_73:                             ;   Parent Loop BB224_21 Depth=1
                                        ;     Parent Loop BB224_31 Depth=2
                                        ;       Parent Loop BB224_36 Depth=3
                                        ; =>      This Inner Loop Header: Depth=4
	global_load_b64 v[81:82], v[37:38], off offset:-4
	global_load_b64 v[83:84], v[39:40], off
	v_add_co_u32 v39, vcc_lo, v39, s50
	v_add_co_ci_u32_e32 v40, vcc_lo, s51, v40, vcc_lo
	v_add_co_u32 v37, vcc_lo, v37, 8
	v_add_co_ci_u32_e32 v38, vcc_lo, 0, v38, vcc_lo
	s_add_i32 s54, s54, -1
	s_delay_alu instid0(SALU_CYCLE_1) | instskip(SKIP_3) | instid1(VALU_DEP_2)
	s_cmp_eq_u32 s54, 0
	s_waitcnt vmcnt(0)
	v_fmac_f32_e32 v79, v81, v83
	v_fmac_f32_e32 v80, v82, v83
	v_fma_f32 v79, -v82, v84, v79
	s_delay_alu instid0(VALU_DEP_2)
	v_fmac_f32_e32 v80, v81, v84
	s_cbranch_scc0 .LBB224_73
.LBB224_74:                             ;   in Loop: Header=BB224_36 Depth=3
	v_add_lshl_u32 v39, v2, v41, 3
	ds_load_b64 v[37:38], v39 offset:128
	s_waitcnt lgkmcnt(0)
	v_fma_f32 v37, s33, v79, v37
	v_fmac_f32_e32 v38, s35, v79
	s_delay_alu instid0(VALU_DEP_2) | instskip(NEXT) | instid1(VALU_DEP_2)
	v_fma_f32 v37, -s35, v80, v37
	v_fmac_f32_e32 v38, s33, v80
	ds_store_b64 v39, v[37:38] offset:128
	s_or_b32 exec_lo, exec_lo, s5
	s_and_saveexec_b32 s54, s64
	s_cbranch_execz .LBB224_85
.LBB224_75:                             ;   in Loop: Header=BB224_36 Depth=3
	v_cndmask_b32_e64 v37, 0, 1, s59
	s_and_not1_b32 vcc_lo, exec_lo, s58
	s_delay_alu instid0(VALU_DEP_1)
	v_cmp_ne_u32_e64 s5, 1, v37
	s_cbranch_vccnz .LBB224_80
; %bb.76:                               ;   in Loop: Header=BB224_36 Depth=3
	v_dual_mov_b32 v79, 0 :: v_dual_mov_b32 v80, 0
	s_delay_alu instid0(VALU_DEP_2)
	s_and_b32 vcc_lo, exec_lo, s5
	s_mov_b32 s5, 0
	s_cbranch_vccnz .LBB224_79
; %bb.77:                               ;   in Loop: Header=BB224_36 Depth=3
	v_dual_mov_b32 v79, 0 :: v_dual_mov_b32 v38, v34
	v_dual_mov_b32 v37, v33 :: v_dual_mov_b32 v40, v20
	;; [unrolled: 1-line block ×3, first 2 shown]
	s_mov_b32 s55, s30
	.p2align	6
.LBB224_78:                             ;   Parent Loop BB224_21 Depth=1
                                        ;     Parent Loop BB224_31 Depth=2
                                        ;       Parent Loop BB224_36 Depth=3
                                        ; =>      This Inner Loop Header: Depth=4
	global_load_b64 v[81:82], v[39:40], off offset:-4
	global_load_b64 v[83:84], v[37:38], off offset:-4
	v_add_co_u32 v39, vcc_lo, v39, s50
	v_add_co_ci_u32_e32 v40, vcc_lo, s51, v40, vcc_lo
	v_add_co_u32 v37, vcc_lo, v37, 8
	v_add_co_ci_u32_e32 v38, vcc_lo, 0, v38, vcc_lo
	s_add_i32 s55, s55, -1
	s_delay_alu instid0(SALU_CYCLE_1) | instskip(SKIP_3) | instid1(VALU_DEP_2)
	s_cmp_eq_u32 s55, 0
	s_waitcnt vmcnt(0)
	v_fmac_f32_e32 v79, v81, v83
	v_fmac_f32_e32 v80, v82, v83
	v_fma_f32 v79, -v82, v84, v79
	s_delay_alu instid0(VALU_DEP_2)
	v_fmac_f32_e32 v80, v81, v84
	s_cbranch_scc0 .LBB224_78
.LBB224_79:                             ;   in Loop: Header=BB224_36 Depth=3
	s_and_not1_b32 vcc_lo, exec_lo, s5
	s_cbranch_vccz .LBB224_81
	s_branch .LBB224_84
.LBB224_80:                             ;   in Loop: Header=BB224_36 Depth=3
                                        ; implicit-def: $vgpr79
                                        ; implicit-def: $vgpr80
.LBB224_81:                             ;   in Loop: Header=BB224_36 Depth=3
	v_dual_mov_b32 v79, 0 :: v_dual_mov_b32 v80, 0
	s_and_not1_b32 vcc_lo, exec_lo, s59
	s_cbranch_vccnz .LBB224_84
; %bb.82:                               ;   in Loop: Header=BB224_36 Depth=3
	v_dual_mov_b32 v79, 0 :: v_dual_mov_b32 v38, v18
	v_dual_mov_b32 v37, v17 :: v_dual_mov_b32 v40, v36
	;; [unrolled: 1-line block ×3, first 2 shown]
	s_mov_b32 s5, s30
	.p2align	6
.LBB224_83:                             ;   Parent Loop BB224_21 Depth=1
                                        ;     Parent Loop BB224_31 Depth=2
                                        ;       Parent Loop BB224_36 Depth=3
                                        ; =>      This Inner Loop Header: Depth=4
	global_load_b64 v[81:82], v[37:38], off offset:-4
	global_load_b64 v[83:84], v[39:40], off
	v_add_co_u32 v39, vcc_lo, v39, s50
	v_add_co_ci_u32_e32 v40, vcc_lo, s51, v40, vcc_lo
	v_add_co_u32 v37, vcc_lo, v37, 8
	v_add_co_ci_u32_e32 v38, vcc_lo, 0, v38, vcc_lo
	s_add_i32 s5, s5, -1
	s_delay_alu instid0(SALU_CYCLE_1) | instskip(SKIP_3) | instid1(VALU_DEP_2)
	s_cmp_eq_u32 s5, 0
	s_waitcnt vmcnt(0)
	v_fmac_f32_e32 v79, v81, v83
	v_fmac_f32_e32 v80, v82, v83
	v_fma_f32 v79, -v82, v84, v79
	s_delay_alu instid0(VALU_DEP_2)
	v_fmac_f32_e32 v80, v81, v84
	s_cbranch_scc0 .LBB224_83
.LBB224_84:                             ;   in Loop: Header=BB224_36 Depth=3
	v_add_lshl_u32 v2, v2, v41, 3
	ds_load_b64 v[37:38], v2 offset:192
	s_waitcnt lgkmcnt(0)
	v_fma_f32 v37, s33, v79, v37
	v_fmac_f32_e32 v38, s35, v79
	s_delay_alu instid0(VALU_DEP_2) | instskip(NEXT) | instid1(VALU_DEP_2)
	v_fma_f32 v37, -s35, v80, v37
	v_fmac_f32_e32 v38, s33, v80
	ds_store_b64 v2, v[37:38] offset:192
.LBB224_85:                             ;   in Loop: Header=BB224_36 Depth=3
	s_or_b32 exec_lo, exec_lo, s54
	s_mov_b32 s74, -1
	s_mov_b32 s5, s73
	s_mov_b64 s[54:55], s[24:25]
	s_waitcnt lgkmcnt(0)
	s_waitcnt_vscnt null, 0x0
	s_barrier
	buffer_gl0_inv
.LBB224_86:                             ;   in Loop: Header=BB224_36 Depth=3
	v_add_co_u32 v21, vcc_lo, v21, s40
	v_add_co_ci_u32_e32 v22, vcc_lo, s41, v22, vcc_lo
	v_add_co_u32 v23, vcc_lo, v23, s40
	v_add_co_ci_u32_e32 v24, vcc_lo, s41, v24, vcc_lo
	;; [unrolled: 2-line block ×5, first 2 shown]
	s_add_u32 s26, s26, 1
	v_add_co_u32 v31, vcc_lo, v31, s40
	s_addc_u32 s27, s27, 0
	v_add_co_ci_u32_e32 v32, vcc_lo, s41, v32, vcc_lo
	v_cmp_lt_i64_e64 s24, s[26:27], s[22:23]
	v_add_co_u32 v33, vcc_lo, v33, s40
	v_add_co_ci_u32_e32 v34, vcc_lo, s41, v34, vcc_lo
	v_add_co_u32 v35, vcc_lo, v35, s40
	v_add_co_ci_u32_e32 v36, vcc_lo, s41, v36, vcc_lo
	s_and_b32 s24, s74, s24
	s_delay_alu instid0(SALU_CYCLE_1)
	s_and_b32 vcc_lo, exec_lo, s24
	s_cbranch_vccz .LBB224_89
; %bb.87:                               ;   in Loop: Header=BB224_36 Depth=3
	s_mov_b32 s73, s5
	s_mov_b64 s[24:25], s[54:55]
	s_branch .LBB224_36
.LBB224_88:                             ;   in Loop: Header=BB224_31 Depth=2
	s_mov_b32 s5, s73
	s_mov_b64 s[54:55], s[24:25]
.LBB224_89:                             ;   in Loop: Header=BB224_31 Depth=2
	s_lshl_b64 s[22:23], s[12:13], 3
	v_add_co_u32 v19, vcc_lo, v19, s40
	s_add_u32 s22, s6, s22
	s_addc_u32 s23, s7, s23
	s_add_u32 s12, s12, 1
	s_addc_u32 s13, s13, 0
	v_add_co_ci_u32_e32 v20, vcc_lo, s41, v20, vcc_lo
	v_cmp_lt_i64_e64 s24, s[12:13], s[46:47]
	v_add_co_u32 v17, vcc_lo, v17, s40
	v_dual_mov_b32 v21, s54 :: v_dual_mov_b32 v22, s55
	v_add_co_ci_u32_e32 v18, vcc_lo, s41, v18, vcc_lo
	s_delay_alu instid0(VALU_DEP_4)
	s_and_b32 vcc_lo, exec_lo, s24
	global_store_b64 v1, v[21:22], s[22:23]
	s_cbranch_vccz .LBB224_92
; %bb.90:                               ;   in Loop: Header=BB224_31 Depth=2
	s_mov_b32 s73, s5
	s_branch .LBB224_31
.LBB224_91:                             ;   in Loop: Header=BB224_31 Depth=2
                                        ; implicit-def: $sgpr24_sgpr25
	s_branch .LBB224_33
.LBB224_92:                             ;   in Loop: Header=BB224_21 Depth=1
	s_and_not1_b32 vcc_lo, exec_lo, s34
	s_cbranch_vccnz .LBB224_110
; %bb.93:                               ;   in Loop: Header=BB224_21 Depth=1
	s_load_b128 s[24:27], s[36:37], 0x0
	s_waitcnt lgkmcnt(0)
	v_cmp_ge_i64_e64 s12, s[24:25], s[26:27]
	s_delay_alu instid0(VALU_DEP_1)
	s_and_b32 vcc_lo, exec_lo, s12
	s_cbranch_vccnz .LBB224_110
; %bb.94:                               ;   in Loop: Header=BB224_21 Depth=1
	s_sub_u32 s12, s26, s48
	s_subb_u32 s13, s27, 0
	s_sub_u32 s26, s24, s48
	s_subb_u32 s27, s25, 0
	s_lshl_b64 s[22:23], s[24:25], 2
	s_mul_i32 s27, s40, s27
	s_mul_hi_u32 s54, s40, s26
	s_add_u32 s22, s31, s22
	s_addc_u32 s23, s49, s23
	s_add_i32 s27, s54, s27
	s_mul_i32 s54, s41, s26
	s_mul_i32 s26, s40, s26
	s_add_i32 s27, s27, s54
	s_add_u32 s26, s14, s26
	s_addc_u32 s27, s15, s27
	s_add_u32 s24, s69, s24
	s_addc_u32 s25, s70, s25
.LBB224_95:                             ;   Parent Loop BB224_21 Depth=1
                                        ; =>  This Inner Loop Header: Depth=2
	s_load_b32 s54, s[22:23], 0x0
	s_waitcnt lgkmcnt(0)
	s_sub_i32 s72, s54, s11
	s_delay_alu instid0(SALU_CYCLE_1)
	s_cmp_lt_i32 s72, s17
	s_cselect_b32 s54, -1, 0
	s_cmp_lt_i32 s72, s71
	s_cselect_b32 s55, -1, 0
	s_cmp_ge_i32 s72, s71
	s_cselect_b32 s73, -1, 0
	s_delay_alu instid0(SALU_CYCLE_1)
	s_or_b32 s54, s54, s73
	s_mov_b32 s73, -1
	s_and_b32 vcc_lo, exec_lo, s54
                                        ; implicit-def: $sgpr54
	s_cbranch_vccz .LBB224_97
; %bb.96:                               ;   in Loop: Header=BB224_95 Depth=2
	s_min_i32 s54, s72, s5
	s_and_b32 s73, s55, exec_lo
	s_cselect_b32 s54, s5, s54
	s_mov_b32 s73, 0
.LBB224_97:                             ;   in Loop: Header=BB224_95 Depth=2
	s_delay_alu instid0(SALU_CYCLE_1)
	s_and_not1_b32 vcc_lo, exec_lo, s73
	s_cbranch_vccnz .LBB224_104
; %bb.98:                               ;   in Loop: Header=BB224_95 Depth=2
	s_sub_i32 s54, s72, s17
	s_delay_alu instid0(SALU_CYCLE_1)
	v_mov_b32_e32 v17, s54
	v_lshl_or_b32 v2, s54, 10, v44
	ds_store_b8 v17, v76 offset:16384
	s_and_saveexec_b32 s54, s61
	s_cbranch_execnz .LBB224_106
; %bb.99:                               ;   in Loop: Header=BB224_95 Depth=2
	s_or_b32 exec_lo, exec_lo, s54
	v_add_lshl_u32 v2, v2, v41, 3
	s_and_saveexec_b32 s54, s62
	s_cbranch_execnz .LBB224_107
.LBB224_100:                            ;   in Loop: Header=BB224_95 Depth=2
	s_or_b32 exec_lo, exec_lo, s54
	s_and_saveexec_b32 s54, s63
	s_cbranch_execnz .LBB224_108
.LBB224_101:                            ;   in Loop: Header=BB224_95 Depth=2
	s_or_b32 exec_lo, exec_lo, s54
	s_and_saveexec_b32 s54, s64
	s_cbranch_execz .LBB224_103
.LBB224_102:                            ;   in Loop: Header=BB224_95 Depth=2
	v_add_co_u32 v17, vcc_lo, s26, v42
	v_add_co_ci_u32_e32 v18, vcc_lo, s27, v43, vcc_lo
	s_delay_alu instid0(VALU_DEP_2) | instskip(NEXT) | instid1(VALU_DEP_2)
	v_add_co_u32 v17, vcc_lo, 0xc0, v17
	v_add_co_ci_u32_e32 v18, vcc_lo, 0, v18, vcc_lo
	v_add_co_u32 v19, vcc_lo, s26, v74
	v_add_co_ci_u32_e32 v20, vcc_lo, s27, v75, vcc_lo
	s_delay_alu instid0(VALU_DEP_2) | instskip(NEXT) | instid1(VALU_DEP_2)
	v_cndmask_b32_e64 v17, v19, v17, s1
	v_cndmask_b32_e64 v18, v20, v18, s1
	ds_load_b64 v[19:20], v2 offset:192
	global_load_b64 v[17:18], v[17:18], off
	s_waitcnt vmcnt(0) lgkmcnt(0)
	v_fma_f32 v19, s56, v17, v19
	v_fmac_f32_e32 v20, s57, v17
	s_delay_alu instid0(VALU_DEP_2) | instskip(NEXT) | instid1(VALU_DEP_2)
	v_fma_f32 v19, -s57, v18, v19
	v_fmac_f32_e32 v20, s56, v18
	ds_store_b64 v2, v[19:20] offset:192
.LBB224_103:                            ;   in Loop: Header=BB224_95 Depth=2
	s_or_b32 exec_lo, exec_lo, s54
	s_mov_b32 s55, -1
	s_mov_b32 s54, s5
	s_waitcnt lgkmcnt(0)
	s_waitcnt_vscnt null, 0x0
	s_barrier
	buffer_gl0_inv
.LBB224_104:                            ;   in Loop: Header=BB224_95 Depth=2
	v_cmp_lt_i64_e64 s5, s[24:25], s[12:13]
	s_delay_alu instid0(VALU_DEP_1)
	s_and_b32 s5, s55, s5
	s_add_u32 s22, s22, 4
	s_addc_u32 s23, s23, 0
	s_add_u32 s26, s26, s40
	s_addc_u32 s27, s27, s41
	;; [unrolled: 2-line block ×3, first 2 shown]
	s_and_b32 vcc_lo, exec_lo, s5
	s_cbranch_vccz .LBB224_109
; %bb.105:                              ;   in Loop: Header=BB224_95 Depth=2
	s_mov_b32 s5, s54
	s_branch .LBB224_95
.LBB224_106:                            ;   in Loop: Header=BB224_95 Depth=2
	v_add_co_u32 v17, vcc_lo, s26, v78
	v_add_co_ci_u32_e32 v18, vcc_lo, s27, v77, vcc_lo
	v_or_b32_e32 v19, v2, v41
	global_load_b64 v[17:18], v[17:18], off
	v_lshlrev_b32_e32 v21, 3, v19
	ds_load_b64 v[19:20], v21
	s_waitcnt vmcnt(0) lgkmcnt(0)
	v_fmac_f32_e32 v20, s57, v17
	v_fma_f32 v19, s56, v17, v19
	s_delay_alu instid0(VALU_DEP_2) | instskip(NEXT) | instid1(VALU_DEP_2)
	v_fmac_f32_e32 v20, s56, v18
	v_fma_f32 v19, -s57, v18, v19
	ds_store_b64 v21, v[19:20]
	s_or_b32 exec_lo, exec_lo, s54
	v_add_lshl_u32 v2, v2, v41, 3
	s_and_saveexec_b32 s54, s62
	s_cbranch_execz .LBB224_100
.LBB224_107:                            ;   in Loop: Header=BB224_95 Depth=2
	v_add_co_u32 v17, vcc_lo, s26, v42
	v_add_co_ci_u32_e32 v18, vcc_lo, s27, v43, vcc_lo
	s_delay_alu instid0(VALU_DEP_2) | instskip(NEXT) | instid1(VALU_DEP_2)
	v_add_co_u32 v17, vcc_lo, v17, 64
	v_add_co_ci_u32_e32 v18, vcc_lo, 0, v18, vcc_lo
	v_add_co_u32 v19, vcc_lo, s26, v70
	v_add_co_ci_u32_e32 v20, vcc_lo, s27, v71, vcc_lo
	s_delay_alu instid0(VALU_DEP_2) | instskip(NEXT) | instid1(VALU_DEP_2)
	v_cndmask_b32_e64 v17, v19, v17, s1
	v_cndmask_b32_e64 v18, v20, v18, s1
	ds_load_b64 v[19:20], v2 offset:64
	global_load_b64 v[17:18], v[17:18], off
	s_waitcnt vmcnt(0) lgkmcnt(0)
	v_fma_f32 v19, s56, v17, v19
	v_fmac_f32_e32 v20, s57, v17
	s_delay_alu instid0(VALU_DEP_2) | instskip(NEXT) | instid1(VALU_DEP_2)
	v_fma_f32 v19, -s57, v18, v19
	v_fmac_f32_e32 v20, s56, v18
	ds_store_b64 v2, v[19:20] offset:64
	s_or_b32 exec_lo, exec_lo, s54
	s_and_saveexec_b32 s54, s63
	s_cbranch_execz .LBB224_101
.LBB224_108:                            ;   in Loop: Header=BB224_95 Depth=2
	v_add_co_u32 v17, vcc_lo, s26, v42
	v_add_co_ci_u32_e32 v18, vcc_lo, s27, v43, vcc_lo
	s_delay_alu instid0(VALU_DEP_2) | instskip(NEXT) | instid1(VALU_DEP_2)
	v_add_co_u32 v17, vcc_lo, 0x80, v17
	v_add_co_ci_u32_e32 v18, vcc_lo, 0, v18, vcc_lo
	v_add_co_u32 v19, vcc_lo, s26, v72
	v_add_co_ci_u32_e32 v20, vcc_lo, s27, v73, vcc_lo
	s_delay_alu instid0(VALU_DEP_2) | instskip(NEXT) | instid1(VALU_DEP_2)
	v_cndmask_b32_e64 v17, v19, v17, s1
	v_cndmask_b32_e64 v18, v20, v18, s1
	ds_load_b64 v[19:20], v2 offset:128
	global_load_b64 v[17:18], v[17:18], off
	s_waitcnt vmcnt(0) lgkmcnt(0)
	v_fma_f32 v19, s56, v17, v19
	v_fmac_f32_e32 v20, s57, v17
	s_delay_alu instid0(VALU_DEP_2) | instskip(NEXT) | instid1(VALU_DEP_2)
	v_fma_f32 v19, -s57, v18, v19
	v_fmac_f32_e32 v20, s56, v18
	ds_store_b64 v2, v[19:20] offset:128
	s_or_b32 exec_lo, exec_lo, s54
	s_and_saveexec_b32 s54, s64
	s_cbranch_execnz .LBB224_102
	s_branch .LBB224_103
.LBB224_109:                            ;   in Loop: Header=BB224_21 Depth=1
	s_mov_b32 s5, s54
.LBB224_110:                            ;   in Loop: Header=BB224_21 Depth=1
	s_waitcnt_vscnt null, 0x0
	s_barrier
	buffer_gl0_inv
	ds_load_u8 v2, v1 offset:16384
	s_add_i32 s17, s17, s10
	s_mov_b32 s22, 0
	s_waitcnt lgkmcnt(0)
	v_cmp_eq_u32_e32 vcc_lo, 0, v2
	s_cbranch_vccnz .LBB224_117
; %bb.111:                              ;   in Loop: Header=BB224_21 Depth=1
	s_lshl_b64 s[12:13], s[52:53], 2
	s_mul_i32 s22, s53, s16
	s_mul_hi_u32 s23, s52, s16
	s_add_u32 s12, s18, s12
	s_addc_u32 s13, s19, s13
	s_add_i32 s23, s23, s22
	s_mul_i32 s22, s52, s16
	v_mov_b32_e32 v20, s17
	s_lshl_b64 s[22:23], s[22:23], 3
	s_delay_alu instid0(SALU_CYCLE_1)
	v_add_co_u32 v2, vcc_lo, v45, s22
	v_add_co_ci_u32_e32 v17, vcc_lo, s23, v46, vcc_lo
	v_add_co_u32 v18, vcc_lo, v47, s22
	v_add_co_ci_u32_e32 v19, vcc_lo, s23, v48, vcc_lo
	global_store_b32 v1, v20, s[12:13]
	s_and_saveexec_b32 s12, s61
	s_cbranch_execnz .LBB224_124
; %bb.112:                              ;   in Loop: Header=BB224_21 Depth=1
	s_or_b32 exec_lo, exec_lo, s12
	s_and_saveexec_b32 s12, s62
	s_cbranch_execnz .LBB224_125
.LBB224_113:                            ;   in Loop: Header=BB224_21 Depth=1
	s_or_b32 exec_lo, exec_lo, s12
	s_and_saveexec_b32 s12, s63
	s_cbranch_execnz .LBB224_126
.LBB224_114:                            ;   in Loop: Header=BB224_21 Depth=1
	s_or_b32 exec_lo, exec_lo, s12
	s_and_saveexec_b32 s12, s64
	s_cbranch_execz .LBB224_116
.LBB224_115:                            ;   in Loop: Header=BB224_21 Depth=1
	v_lshlrev_b32_e32 v22, 3, v41
	ds_load_b64 v[20:21], v49 offset:192
	v_add_co_u32 v18, vcc_lo, v18, v22
	v_add_co_ci_u32_e32 v19, vcc_lo, 0, v19, vcc_lo
	v_add_co_u32 v2, vcc_lo, v2, v13
	v_add_co_ci_u32_e32 v17, vcc_lo, v17, v14, vcc_lo
	s_delay_alu instid0(VALU_DEP_4) | instskip(NEXT) | instid1(VALU_DEP_4)
	v_add_co_u32 v22, vcc_lo, 0xc0, v18
	v_add_co_ci_u32_e32 v18, vcc_lo, 0, v19, vcc_lo
	s_delay_alu instid0(VALU_DEP_1) | instskip(NEXT) | instid1(VALU_DEP_3)
	v_cndmask_b32_e64 v18, v17, v18, s1
	v_cndmask_b32_e64 v17, v2, v22, s1
	s_waitcnt lgkmcnt(0)
	global_store_b64 v[17:18], v[20:21], off
.LBB224_116:                            ;   in Loop: Header=BB224_21 Depth=1
	s_or_b32 exec_lo, exec_lo, s12
	s_mov_b32 s22, 1
.LBB224_117:                            ;   in Loop: Header=BB224_21 Depth=1
	ds_load_u8 v2, v1 offset:16385
	s_mov_b32 s23, -1
                                        ; implicit-def: $sgpr12_sgpr13
	s_waitcnt lgkmcnt(0)
	v_and_b32_e32 v2, 1, v2
	s_delay_alu instid0(VALU_DEP_1)
	v_cmp_eq_u32_e32 vcc_lo, 1, v2
	s_cbranch_vccnz .LBB224_119
; %bb.118:                              ;   in Loop: Header=BB224_21 Depth=1
	s_add_u32 s12, s22, s52
	s_mov_b32 s23, 0
	s_addc_u32 s13, 0, s53
.LBB224_119:                            ;   in Loop: Header=BB224_21 Depth=1
	s_and_not1_b32 vcc_lo, exec_lo, s23
	s_cbranch_vccnz .LBB224_20
; %bb.120:                              ;   in Loop: Header=BB224_21 Depth=1
	s_add_i32 s12, s22, 1
	v_lshlrev_b32_e32 v20, 3, v41
	s_add_u32 s12, s52, s12
	s_addc_u32 s13, s53, 0
	s_add_u32 s24, s12, -1
	s_addc_u32 s25, s13, -1
	s_lshl_b64 s[22:23], s[12:13], 2
	s_add_i32 s17, s17, 1
	s_mul_i32 s25, s25, s16
	s_mul_hi_u32 s26, s24, s16
	s_add_u32 s22, s67, s22
	s_addc_u32 s23, s68, s23
	s_add_i32 s25, s26, s25
	s_mul_i32 s24, s24, s16
	v_mov_b32_e32 v21, s17
	s_lshl_b64 s[24:25], s[24:25], 3
	s_delay_alu instid0(SALU_CYCLE_1)
	v_add_co_u32 v2, vcc_lo, v45, s24
	v_add_co_ci_u32_e32 v17, vcc_lo, s25, v46, vcc_lo
	v_add_co_u32 v18, vcc_lo, v47, s24
	v_add_co_ci_u32_e32 v19, vcc_lo, s25, v48, vcc_lo
	global_store_b32 v1, v21, s[22:23]
	s_and_saveexec_b32 s17, s61
	s_cbranch_execnz .LBB224_127
; %bb.121:                              ;   in Loop: Header=BB224_21 Depth=1
	s_or_b32 exec_lo, exec_lo, s17
	s_and_saveexec_b32 s17, s62
	s_cbranch_execnz .LBB224_128
.LBB224_122:                            ;   in Loop: Header=BB224_21 Depth=1
	s_or_b32 exec_lo, exec_lo, s17
	s_and_saveexec_b32 s17, s63
	s_cbranch_execnz .LBB224_129
.LBB224_123:                            ;   in Loop: Header=BB224_21 Depth=1
	s_or_b32 exec_lo, exec_lo, s17
	s_and_saveexec_b32 s17, s64
	s_cbranch_execz .LBB224_19
	s_branch .LBB224_130
.LBB224_124:                            ;   in Loop: Header=BB224_21 Depth=1
	v_lshlrev_b32_e32 v22, 3, v41
	ds_load_b64 v[20:21], v49
	v_add_co_u32 v22, vcc_lo, v18, v22
	v_add_co_ci_u32_e32 v23, vcc_lo, 0, v19, vcc_lo
	v_add_co_u32 v24, vcc_lo, v2, v3
	v_add_co_ci_u32_e32 v25, vcc_lo, v17, v4, vcc_lo
	s_delay_alu instid0(VALU_DEP_2) | instskip(NEXT) | instid1(VALU_DEP_2)
	v_cndmask_b32_e64 v22, v24, v22, s1
	v_cndmask_b32_e64 v23, v25, v23, s1
	s_waitcnt lgkmcnt(0)
	global_store_b64 v[22:23], v[20:21], off
	s_or_b32 exec_lo, exec_lo, s12
	s_and_saveexec_b32 s12, s62
	s_cbranch_execz .LBB224_113
.LBB224_125:                            ;   in Loop: Header=BB224_21 Depth=1
	v_lshlrev_b32_e32 v22, 3, v41
	ds_load_b64 v[20:21], v49 offset:64
	v_add_co_u32 v22, vcc_lo, v18, v22
	v_add_co_ci_u32_e32 v23, vcc_lo, 0, v19, vcc_lo
	v_add_co_u32 v24, vcc_lo, v2, v9
	v_add_co_ci_u32_e32 v25, vcc_lo, v17, v10, vcc_lo
	s_delay_alu instid0(VALU_DEP_4) | instskip(NEXT) | instid1(VALU_DEP_4)
	v_add_co_u32 v22, vcc_lo, v22, 64
	v_add_co_ci_u32_e32 v23, vcc_lo, 0, v23, vcc_lo
	s_delay_alu instid0(VALU_DEP_2) | instskip(NEXT) | instid1(VALU_DEP_2)
	v_cndmask_b32_e64 v22, v24, v22, s1
	v_cndmask_b32_e64 v23, v25, v23, s1
	s_waitcnt lgkmcnt(0)
	global_store_b64 v[22:23], v[20:21], off
	s_or_b32 exec_lo, exec_lo, s12
	s_and_saveexec_b32 s12, s63
	s_cbranch_execz .LBB224_114
.LBB224_126:                            ;   in Loop: Header=BB224_21 Depth=1
	v_lshlrev_b32_e32 v22, 3, v41
	ds_load_b64 v[20:21], v49 offset:128
	v_add_co_u32 v22, vcc_lo, v18, v22
	v_add_co_ci_u32_e32 v23, vcc_lo, 0, v19, vcc_lo
	v_add_co_u32 v24, vcc_lo, v2, v11
	v_add_co_ci_u32_e32 v25, vcc_lo, v17, v12, vcc_lo
	s_delay_alu instid0(VALU_DEP_4) | instskip(NEXT) | instid1(VALU_DEP_4)
	v_add_co_u32 v22, vcc_lo, 0x80, v22
	v_add_co_ci_u32_e32 v23, vcc_lo, 0, v23, vcc_lo
	s_delay_alu instid0(VALU_DEP_2) | instskip(NEXT) | instid1(VALU_DEP_2)
	v_cndmask_b32_e64 v22, v24, v22, s1
	v_cndmask_b32_e64 v23, v25, v23, s1
	s_waitcnt lgkmcnt(0)
	global_store_b64 v[22:23], v[20:21], off
	s_or_b32 exec_lo, exec_lo, s12
	s_and_saveexec_b32 s12, s64
	s_cbranch_execnz .LBB224_115
	s_branch .LBB224_116
.LBB224_127:                            ;   in Loop: Header=BB224_21 Depth=1
	ds_load_b64 v[21:22], v49 offset:8192
	v_add_co_u32 v23, vcc_lo, v18, v20
	v_add_co_ci_u32_e32 v24, vcc_lo, 0, v19, vcc_lo
	v_add_co_u32 v25, vcc_lo, v2, v3
	v_add_co_ci_u32_e32 v26, vcc_lo, v17, v4, vcc_lo
	s_delay_alu instid0(VALU_DEP_2) | instskip(NEXT) | instid1(VALU_DEP_2)
	v_cndmask_b32_e64 v23, v25, v23, s1
	v_cndmask_b32_e64 v24, v26, v24, s1
	s_waitcnt lgkmcnt(0)
	global_store_b64 v[23:24], v[21:22], off
	s_or_b32 exec_lo, exec_lo, s17
	s_and_saveexec_b32 s17, s62
	s_cbranch_execz .LBB224_122
.LBB224_128:                            ;   in Loop: Header=BB224_21 Depth=1
	v_add_co_u32 v23, vcc_lo, v18, v20
	ds_load_b64 v[21:22], v50 offset:8192
	v_add_co_ci_u32_e32 v24, vcc_lo, 0, v19, vcc_lo
	v_add_co_u32 v23, vcc_lo, v23, 64
	s_delay_alu instid0(VALU_DEP_2) | instskip(SKIP_2) | instid1(VALU_DEP_2)
	v_add_co_ci_u32_e32 v24, vcc_lo, 0, v24, vcc_lo
	v_add_co_u32 v25, vcc_lo, v2, v9
	v_add_co_ci_u32_e32 v26, vcc_lo, v17, v10, vcc_lo
	v_cndmask_b32_e64 v23, v25, v23, s1
	s_delay_alu instid0(VALU_DEP_2)
	v_cndmask_b32_e64 v24, v26, v24, s1
	s_waitcnt lgkmcnt(0)
	global_store_b64 v[23:24], v[21:22], off
	s_or_b32 exec_lo, exec_lo, s17
	s_and_saveexec_b32 s17, s63
	s_cbranch_execz .LBB224_123
.LBB224_129:                            ;   in Loop: Header=BB224_21 Depth=1
	v_add_co_u32 v23, vcc_lo, v18, v20
	ds_load_b64 v[21:22], v51 offset:8192
	v_add_co_ci_u32_e32 v24, vcc_lo, 0, v19, vcc_lo
	v_add_co_u32 v23, vcc_lo, 0x80, v23
	s_delay_alu instid0(VALU_DEP_2) | instskip(SKIP_2) | instid1(VALU_DEP_2)
	v_add_co_ci_u32_e32 v24, vcc_lo, 0, v24, vcc_lo
	v_add_co_u32 v25, vcc_lo, v2, v11
	v_add_co_ci_u32_e32 v26, vcc_lo, v17, v12, vcc_lo
	v_cndmask_b32_e64 v23, v25, v23, s1
	s_delay_alu instid0(VALU_DEP_2)
	v_cndmask_b32_e64 v24, v26, v24, s1
	s_waitcnt lgkmcnt(0)
	global_store_b64 v[23:24], v[21:22], off
	s_or_b32 exec_lo, exec_lo, s17
	s_and_saveexec_b32 s17, s64
	s_cbranch_execz .LBB224_19
.LBB224_130:                            ;   in Loop: Header=BB224_21 Depth=1
	v_add_co_u32 v20, vcc_lo, v18, v20
	v_add_co_ci_u32_e32 v21, vcc_lo, 0, v19, vcc_lo
	ds_load_b64 v[18:19], v52 offset:8192
	v_add_co_u32 v20, vcc_lo, 0xc0, v20
	v_add_co_ci_u32_e32 v21, vcc_lo, 0, v21, vcc_lo
	v_add_co_u32 v2, vcc_lo, v2, v13
	v_add_co_ci_u32_e32 v17, vcc_lo, v17, v14, vcc_lo
	s_delay_alu instid0(VALU_DEP_2) | instskip(NEXT) | instid1(VALU_DEP_2)
	v_cndmask_b32_e64 v20, v2, v20, s1
	v_cndmask_b32_e64 v21, v17, v21, s1
	s_waitcnt lgkmcnt(0)
	global_store_b64 v[20:21], v[18:19], off
	s_branch .LBB224_19
.LBB224_131:
	s_endpgm
	.section	.rodata,"a",@progbits
	.p2align	6, 0x0
	.amdhsa_kernel _ZN9rocsparseL31bsrgemm_block_per_row_multipassILj256ELj2ELj32Eli21rocsparse_complex_numIfEEEv20rocsparse_direction_T3_S4_PKS4_S6_NS_24const_host_device_scalarIT4_EEPKT2_S6_PKS8_SC_S6_SE_S9_SC_S6_SE_SC_PS4_PS8_PSA_21rocsparse_index_base_SI_SI_SI_bbb
		.amdhsa_group_segment_fixed_size 16388
		.amdhsa_private_segment_fixed_size 0
		.amdhsa_kernarg_size 172
		.amdhsa_user_sgpr_count 15
		.amdhsa_user_sgpr_dispatch_ptr 0
		.amdhsa_user_sgpr_queue_ptr 0
		.amdhsa_user_sgpr_kernarg_segment_ptr 1
		.amdhsa_user_sgpr_dispatch_id 0
		.amdhsa_user_sgpr_private_segment_size 0
		.amdhsa_wavefront_size32 1
		.amdhsa_uses_dynamic_stack 0
		.amdhsa_enable_private_segment 0
		.amdhsa_system_sgpr_workgroup_id_x 1
		.amdhsa_system_sgpr_workgroup_id_y 0
		.amdhsa_system_sgpr_workgroup_id_z 0
		.amdhsa_system_sgpr_workgroup_info 0
		.amdhsa_system_vgpr_workitem_id 0
		.amdhsa_next_free_vgpr 85
		.amdhsa_next_free_sgpr 78
		.amdhsa_reserve_vcc 1
		.amdhsa_float_round_mode_32 0
		.amdhsa_float_round_mode_16_64 0
		.amdhsa_float_denorm_mode_32 3
		.amdhsa_float_denorm_mode_16_64 3
		.amdhsa_dx10_clamp 1
		.amdhsa_ieee_mode 1
		.amdhsa_fp16_overflow 0
		.amdhsa_workgroup_processor_mode 1
		.amdhsa_memory_ordered 1
		.amdhsa_forward_progress 0
		.amdhsa_shared_vgpr_count 0
		.amdhsa_exception_fp_ieee_invalid_op 0
		.amdhsa_exception_fp_denorm_src 0
		.amdhsa_exception_fp_ieee_div_zero 0
		.amdhsa_exception_fp_ieee_overflow 0
		.amdhsa_exception_fp_ieee_underflow 0
		.amdhsa_exception_fp_ieee_inexact 0
		.amdhsa_exception_int_div_zero 0
	.end_amdhsa_kernel
	.section	.text._ZN9rocsparseL31bsrgemm_block_per_row_multipassILj256ELj2ELj32Eli21rocsparse_complex_numIfEEEv20rocsparse_direction_T3_S4_PKS4_S6_NS_24const_host_device_scalarIT4_EEPKT2_S6_PKS8_SC_S6_SE_S9_SC_S6_SE_SC_PS4_PS8_PSA_21rocsparse_index_base_SI_SI_SI_bbb,"axG",@progbits,_ZN9rocsparseL31bsrgemm_block_per_row_multipassILj256ELj2ELj32Eli21rocsparse_complex_numIfEEEv20rocsparse_direction_T3_S4_PKS4_S6_NS_24const_host_device_scalarIT4_EEPKT2_S6_PKS8_SC_S6_SE_S9_SC_S6_SE_SC_PS4_PS8_PSA_21rocsparse_index_base_SI_SI_SI_bbb,comdat
.Lfunc_end224:
	.size	_ZN9rocsparseL31bsrgemm_block_per_row_multipassILj256ELj2ELj32Eli21rocsparse_complex_numIfEEEv20rocsparse_direction_T3_S4_PKS4_S6_NS_24const_host_device_scalarIT4_EEPKT2_S6_PKS8_SC_S6_SE_S9_SC_S6_SE_SC_PS4_PS8_PSA_21rocsparse_index_base_SI_SI_SI_bbb, .Lfunc_end224-_ZN9rocsparseL31bsrgemm_block_per_row_multipassILj256ELj2ELj32Eli21rocsparse_complex_numIfEEEv20rocsparse_direction_T3_S4_PKS4_S6_NS_24const_host_device_scalarIT4_EEPKT2_S6_PKS8_SC_S6_SE_S9_SC_S6_SE_SC_PS4_PS8_PSA_21rocsparse_index_base_SI_SI_SI_bbb
                                        ; -- End function
	.section	.AMDGPU.csdata,"",@progbits
; Kernel info:
; codeLenInByte = 5680
; NumSgprs: 80
; NumVgprs: 85
; ScratchSize: 0
; MemoryBound: 1
; FloatMode: 240
; IeeeMode: 1
; LDSByteSize: 16388 bytes/workgroup (compile time only)
; SGPRBlocks: 9
; VGPRBlocks: 10
; NumSGPRsForWavesPerEU: 80
; NumVGPRsForWavesPerEU: 85
; Occupancy: 14
; WaveLimiterHint : 1
; COMPUTE_PGM_RSRC2:SCRATCH_EN: 0
; COMPUTE_PGM_RSRC2:USER_SGPR: 15
; COMPUTE_PGM_RSRC2:TRAP_HANDLER: 0
; COMPUTE_PGM_RSRC2:TGID_X_EN: 1
; COMPUTE_PGM_RSRC2:TGID_Y_EN: 0
; COMPUTE_PGM_RSRC2:TGID_Z_EN: 0
; COMPUTE_PGM_RSRC2:TIDIG_COMP_CNT: 0
	.section	.text._ZN9rocsparseL26bsrgemm_group_reduce_part2ILj256ELj8ELj2E21rocsparse_complex_numIdEliEEvT4_PKT3_PS3_Pi,"axG",@progbits,_ZN9rocsparseL26bsrgemm_group_reduce_part2ILj256ELj8ELj2E21rocsparse_complex_numIdEliEEvT4_PKT3_PS3_Pi,comdat
	.globl	_ZN9rocsparseL26bsrgemm_group_reduce_part2ILj256ELj8ELj2E21rocsparse_complex_numIdEliEEvT4_PKT3_PS3_Pi ; -- Begin function _ZN9rocsparseL26bsrgemm_group_reduce_part2ILj256ELj8ELj2E21rocsparse_complex_numIdEliEEvT4_PKT3_PS3_Pi
	.p2align	8
	.type	_ZN9rocsparseL26bsrgemm_group_reduce_part2ILj256ELj8ELj2E21rocsparse_complex_numIdEliEEvT4_PKT3_PS3_Pi,@function
_ZN9rocsparseL26bsrgemm_group_reduce_part2ILj256ELj8ELj2E21rocsparse_complex_numIdEliEEvT4_PKT3_PS3_Pi: ; @_ZN9rocsparseL26bsrgemm_group_reduce_part2ILj256ELj8ELj2E21rocsparse_complex_numIdEliEEvT4_PKT3_PS3_Pi
; %bb.0:
	s_clause 0x1
	s_load_b32 s10, s[0:1], 0x0
	s_load_b64 s[2:3], s[0:1], 0x10
	s_mov_b32 s4, 0
	v_lshl_or_b32 v1, s15, 8, v0
	s_mov_b32 s7, s4
	s_mov_b32 s5, s4
	;; [unrolled: 1-line block ×3, first 2 shown]
	v_dual_mov_b32 v9, s7 :: v_dual_mov_b32 v6, s4
	v_dual_mov_b32 v8, s6 :: v_dual_lshlrev_b32 v5, 5, v0
	v_mov_b32_e32 v7, s5
	s_mov_b32 s5, exec_lo
	ds_store_b128 v5, v[6:9]
	ds_store_b128 v5, v[6:9] offset:16
	s_waitcnt lgkmcnt(0)
	buffer_gl0_inv
	v_cmpx_gt_i32_e64 s10, v1
	s_cbranch_execz .LBB225_27
; %bb.1:
	s_clause 0x2
	s_load_b32 s11, s[0:1], 0x20
	s_load_b64 s[6:7], s[0:1], 0x8
	s_load_b64 s[8:9], s[0:1], 0x18
	v_dual_mov_b32 v6, 7 :: v_dual_mov_b32 v7, 5
	v_dual_mov_b32 v8, 4 :: v_dual_mov_b32 v9, 3
	;; [unrolled: 1-line block ×3, first 2 shown]
	v_mov_b32_e32 v12, 0
	s_waitcnt lgkmcnt(0)
	s_lshl_b32 s1, s11, 8
	s_branch .LBB225_3
.LBB225_2:                              ;   in Loop: Header=BB225_3 Depth=1
	s_or_b32 exec_lo, exec_lo, s0
	v_add_nc_u32_e32 v1, s1, v1
	s_delay_alu instid0(VALU_DEP_1) | instskip(SKIP_1) | instid1(SALU_CYCLE_1)
	v_cmp_le_i32_e32 vcc_lo, s10, v1
	s_or_b32 s4, vcc_lo, s4
	s_and_not1_b32 exec_lo, exec_lo, s4
	s_cbranch_execz .LBB225_27
.LBB225_3:                              ; =>This Inner Loop Header: Depth=1
	v_ashrrev_i32_e32 v2, 31, v1
	s_mov_b32 s0, exec_lo
	s_delay_alu instid0(VALU_DEP_1) | instskip(NEXT) | instid1(VALU_DEP_1)
	v_lshlrev_b64 v[3:4], 3, v[1:2]
	v_add_co_u32 v3, vcc_lo, s6, v3
	s_delay_alu instid0(VALU_DEP_2) | instskip(SKIP_4) | instid1(VALU_DEP_1)
	v_add_co_ci_u32_e32 v4, vcc_lo, s7, v4, vcc_lo
	global_load_b128 v[13:16], v[3:4], off
	s_waitcnt vmcnt(0)
	v_sub_co_u32 v3, vcc_lo, v15, v13
	v_sub_co_ci_u32_e32 v4, vcc_lo, v16, v14, vcc_lo
	v_cmpx_lt_i64_e32 8, v[3:4]
	s_xor_b32 s11, exec_lo, s0
	s_cbranch_execz .LBB225_25
; %bb.4:                                ;   in Loop: Header=BB225_3 Depth=1
	s_mov_b32 s0, exec_lo
	v_cmpx_lt_u64_e32 16, v[3:4]
	s_xor_b32 s12, exec_lo, s0
	s_cbranch_execz .LBB225_22
; %bb.5:                                ;   in Loop: Header=BB225_3 Depth=1
	s_mov_b32 s0, exec_lo
	v_cmpx_lt_u64_e32 32, v[3:4]
	;; [unrolled: 5-line block ×4, first 2 shown]
	s_xor_b32 s16, exec_lo, s0
	s_cbranch_execz .LBB225_13
; %bb.8:                                ;   in Loop: Header=BB225_3 Depth=1
	v_lshlrev_b64 v[13:14], 2, v[1:2]
	v_cmp_lt_u64_e32 vcc_lo, 0x100, v[3:4]
	s_delay_alu instid0(VALU_DEP_2) | instskip(NEXT) | instid1(VALU_DEP_1)
	v_add_co_u32 v3, s0, s8, v13
	v_add_co_ci_u32_e64 v4, s0, s9, v14, s0
	s_and_saveexec_b32 s0, vcc_lo
	s_delay_alu instid0(SALU_CYCLE_1)
	s_xor_b32 s0, exec_lo, s0
	s_cbranch_execz .LBB225_10
; %bb.9:                                ;   in Loop: Header=BB225_3 Depth=1
	ds_load_b32 v13, v5 offset:28
	global_store_b32 v[3:4], v6, off
                                        ; implicit-def: $vgpr3_vgpr4
	s_waitcnt lgkmcnt(0)
	v_add_nc_u32_e32 v13, 1, v13
	ds_store_b32 v5, v13 offset:28
.LBB225_10:                             ;   in Loop: Header=BB225_3 Depth=1
	s_and_not1_saveexec_b32 s0, s0
	s_cbranch_execz .LBB225_12
; %bb.11:                               ;   in Loop: Header=BB225_3 Depth=1
	ds_load_b32 v13, v5 offset:20
	global_store_b32 v[3:4], v7, off
	s_waitcnt lgkmcnt(0)
	v_add_nc_u32_e32 v13, 1, v13
	ds_store_b32 v5, v13 offset:20
.LBB225_12:                             ;   in Loop: Header=BB225_3 Depth=1
	s_or_b32 exec_lo, exec_lo, s0
.LBB225_13:                             ;   in Loop: Header=BB225_3 Depth=1
	s_and_not1_saveexec_b32 s0, s16
	s_cbranch_execz .LBB225_15
; %bb.14:                               ;   in Loop: Header=BB225_3 Depth=1
	ds_load_b32 v13, v5 offset:16
	v_lshlrev_b64 v[3:4], 2, v[1:2]
	s_delay_alu instid0(VALU_DEP_1) | instskip(NEXT) | instid1(VALU_DEP_2)
	v_add_co_u32 v3, vcc_lo, s8, v3
	v_add_co_ci_u32_e32 v4, vcc_lo, s9, v4, vcc_lo
	global_store_b32 v[3:4], v8, off
	s_waitcnt lgkmcnt(0)
	v_add_nc_u32_e32 v13, 1, v13
	ds_store_b32 v5, v13 offset:16
.LBB225_15:                             ;   in Loop: Header=BB225_3 Depth=1
	s_or_b32 exec_lo, exec_lo, s0
.LBB225_16:                             ;   in Loop: Header=BB225_3 Depth=1
	s_and_not1_saveexec_b32 s0, s14
	s_cbranch_execz .LBB225_18
; %bb.17:                               ;   in Loop: Header=BB225_3 Depth=1
	ds_load_b32 v13, v5 offset:12
	v_lshlrev_b64 v[3:4], 2, v[1:2]
	s_delay_alu instid0(VALU_DEP_1) | instskip(NEXT) | instid1(VALU_DEP_2)
	v_add_co_u32 v3, vcc_lo, s8, v3
	v_add_co_ci_u32_e32 v4, vcc_lo, s9, v4, vcc_lo
	global_store_b32 v[3:4], v9, off
	s_waitcnt lgkmcnt(0)
	v_add_nc_u32_e32 v13, 1, v13
	ds_store_b32 v5, v13 offset:12
.LBB225_18:                             ;   in Loop: Header=BB225_3 Depth=1
	s_or_b32 exec_lo, exec_lo, s0
.LBB225_19:                             ;   in Loop: Header=BB225_3 Depth=1
	s_and_not1_saveexec_b32 s0, s13
	s_cbranch_execz .LBB225_21
; %bb.20:                               ;   in Loop: Header=BB225_3 Depth=1
	ds_load_b32 v13, v5 offset:8
	v_lshlrev_b64 v[3:4], 2, v[1:2]
	s_delay_alu instid0(VALU_DEP_1) | instskip(NEXT) | instid1(VALU_DEP_2)
	v_add_co_u32 v3, vcc_lo, s8, v3
	v_add_co_ci_u32_e32 v4, vcc_lo, s9, v4, vcc_lo
	global_store_b32 v[3:4], v10, off
	s_waitcnt lgkmcnt(0)
	v_add_nc_u32_e32 v13, 1, v13
	ds_store_b32 v5, v13 offset:8
.LBB225_21:                             ;   in Loop: Header=BB225_3 Depth=1
	s_or_b32 exec_lo, exec_lo, s0
.LBB225_22:                             ;   in Loop: Header=BB225_3 Depth=1
	s_and_not1_saveexec_b32 s0, s12
	s_cbranch_execz .LBB225_24
; %bb.23:                               ;   in Loop: Header=BB225_3 Depth=1
	ds_load_b32 v13, v5 offset:4
	v_lshlrev_b64 v[3:4], 2, v[1:2]
	s_delay_alu instid0(VALU_DEP_1) | instskip(NEXT) | instid1(VALU_DEP_2)
	v_add_co_u32 v3, vcc_lo, s8, v3
	v_add_co_ci_u32_e32 v4, vcc_lo, s9, v4, vcc_lo
	global_store_b32 v[3:4], v11, off
	s_waitcnt lgkmcnt(0)
	v_add_nc_u32_e32 v13, 1, v13
	ds_store_b32 v5, v13 offset:4
.LBB225_24:                             ;   in Loop: Header=BB225_3 Depth=1
	s_or_b32 exec_lo, exec_lo, s0
.LBB225_25:                             ;   in Loop: Header=BB225_3 Depth=1
	s_and_not1_saveexec_b32 s0, s11
	s_cbranch_execz .LBB225_2
; %bb.26:                               ;   in Loop: Header=BB225_3 Depth=1
	ds_load_b32 v4, v5
	v_lshlrev_b64 v[2:3], 2, v[1:2]
	s_delay_alu instid0(VALU_DEP_1) | instskip(NEXT) | instid1(VALU_DEP_2)
	v_add_co_u32 v2, vcc_lo, s8, v2
	v_add_co_ci_u32_e32 v3, vcc_lo, s9, v3, vcc_lo
	global_store_b32 v[2:3], v12, off
	s_waitcnt lgkmcnt(0)
	v_add_nc_u32_e32 v4, 1, v4
	ds_store_b32 v5, v4
	s_branch .LBB225_2
.LBB225_27:
	s_or_b32 exec_lo, exec_lo, s5
	s_delay_alu instid0(SALU_CYCLE_1)
	s_mov_b32 s0, exec_lo
	s_waitcnt lgkmcnt(0)
	s_waitcnt_vscnt null, 0x0
	s_barrier
	buffer_gl0_inv
	s_barrier
	buffer_gl0_inv
	;; [unrolled: 2-line block ×3, first 2 shown]
	v_cmpx_gt_u32_e32 0x80, v0
	s_cbranch_execz .LBB225_29
; %bb.28:
	ds_load_b128 v[1:4], v5 offset:4096
	ds_load_b128 v[6:9], v5
	ds_load_b128 v[10:13], v5 offset:16
	ds_load_b128 v[14:17], v5 offset:4112
	s_waitcnt lgkmcnt(2)
	v_add_nc_u32_e32 v1, v6, v1
	v_add_nc_u32_e32 v2, v7, v2
	v_add_nc_u32_e32 v3, v8, v3
	v_add_nc_u32_e32 v4, v9, v4
	s_waitcnt lgkmcnt(0)
	v_add_nc_u32_e32 v6, v10, v14
	v_add_nc_u32_e32 v7, v11, v15
	v_add_nc_u32_e32 v8, v12, v16
	v_add_nc_u32_e32 v9, v13, v17
	ds_store_b128 v5, v[1:4]
	ds_store_b128 v5, v[6:9] offset:16
.LBB225_29:
	s_or_b32 exec_lo, exec_lo, s0
	s_delay_alu instid0(SALU_CYCLE_1)
	s_mov_b32 s0, exec_lo
	s_waitcnt lgkmcnt(0)
	s_barrier
	buffer_gl0_inv
	v_cmpx_gt_u32_e32 64, v0
	s_cbranch_execz .LBB225_31
; %bb.30:
	ds_load_b128 v[1:4], v5 offset:2048
	ds_load_b128 v[6:9], v5
	ds_load_b128 v[10:13], v5 offset:16
	ds_load_b128 v[14:17], v5 offset:2064
	s_waitcnt lgkmcnt(2)
	v_add_nc_u32_e32 v1, v6, v1
	v_add_nc_u32_e32 v2, v7, v2
	v_add_nc_u32_e32 v3, v8, v3
	v_add_nc_u32_e32 v4, v9, v4
	s_waitcnt lgkmcnt(0)
	v_add_nc_u32_e32 v6, v10, v14
	v_add_nc_u32_e32 v7, v11, v15
	v_add_nc_u32_e32 v8, v12, v16
	v_add_nc_u32_e32 v9, v13, v17
	ds_store_b128 v5, v[1:4]
	ds_store_b128 v5, v[6:9] offset:16
.LBB225_31:
	s_or_b32 exec_lo, exec_lo, s0
	s_delay_alu instid0(SALU_CYCLE_1)
	s_mov_b32 s0, exec_lo
	s_waitcnt lgkmcnt(0)
	s_barrier
	buffer_gl0_inv
	;; [unrolled: 26-line block ×3, first 2 shown]
	v_cmpx_gt_u32_e32 16, v0
	s_cbranch_execz .LBB225_35
; %bb.34:
	ds_load_b128 v[1:4], v5 offset:512
	ds_load_b128 v[6:9], v5
	ds_load_b128 v[10:13], v5 offset:16
	ds_load_b128 v[14:17], v5 offset:528
	s_waitcnt lgkmcnt(2)
	v_add_nc_u32_e32 v1, v6, v1
	v_add_nc_u32_e32 v2, v7, v2
	;; [unrolled: 1-line block ×4, first 2 shown]
	s_waitcnt lgkmcnt(0)
	v_add_nc_u32_e32 v6, v10, v14
	v_add_nc_u32_e32 v7, v11, v15
	v_add_nc_u32_e32 v8, v12, v16
	v_add_nc_u32_e32 v9, v13, v17
	ds_store_b128 v5, v[1:4]
	ds_store_b128 v5, v[6:9] offset:16
.LBB225_35:
	s_or_b32 exec_lo, exec_lo, s0
	v_cmp_gt_u32_e32 vcc_lo, 8, v0
	s_waitcnt lgkmcnt(0)
	s_barrier
	buffer_gl0_inv
	s_and_saveexec_b32 s0, vcc_lo
	s_cbranch_execz .LBB225_37
; %bb.36:
	ds_load_b128 v[1:4], v5 offset:256
	ds_load_b128 v[6:9], v5
	ds_load_b128 v[10:13], v5 offset:16
	ds_load_b128 v[14:17], v5 offset:272
	s_waitcnt lgkmcnt(2)
	v_add_nc_u32_e32 v1, v6, v1
	v_add_nc_u32_e32 v2, v7, v2
	;; [unrolled: 1-line block ×4, first 2 shown]
	s_waitcnt lgkmcnt(0)
	v_add_nc_u32_e32 v6, v10, v14
	v_add_nc_u32_e32 v7, v11, v15
	;; [unrolled: 1-line block ×4, first 2 shown]
	ds_store_b128 v5, v[1:4]
	ds_store_b128 v5, v[6:9] offset:16
.LBB225_37:
	s_or_b32 exec_lo, exec_lo, s0
	s_delay_alu instid0(SALU_CYCLE_1)
	s_mov_b32 s1, exec_lo
	s_waitcnt lgkmcnt(0)
	s_barrier
	buffer_gl0_inv
	v_cmpx_gt_u32_e32 4, v0
	s_cbranch_execz .LBB225_39
; %bb.38:
	ds_load_b128 v[1:4], v5 offset:128
	ds_load_b128 v[6:9], v5
	ds_load_b128 v[10:13], v5 offset:16
	ds_load_b128 v[14:17], v5 offset:144
	s_waitcnt lgkmcnt(2)
	v_add_nc_u32_e32 v1, v6, v1
	v_add_nc_u32_e32 v2, v7, v2
	;; [unrolled: 1-line block ×4, first 2 shown]
	s_waitcnt lgkmcnt(0)
	v_add_nc_u32_e32 v6, v10, v14
	v_add_nc_u32_e32 v7, v11, v15
	;; [unrolled: 1-line block ×4, first 2 shown]
	ds_store_b128 v5, v[1:4]
	ds_store_b128 v5, v[6:9] offset:16
.LBB225_39:
	s_or_b32 exec_lo, exec_lo, s1
	s_delay_alu instid0(SALU_CYCLE_1)
	s_mov_b32 s1, exec_lo
	s_waitcnt lgkmcnt(0)
	s_barrier
	buffer_gl0_inv
	v_cmpx_gt_u32_e32 2, v0
	s_cbranch_execz .LBB225_41
; %bb.40:
	ds_load_b128 v[1:4], v5 offset:64
	ds_load_b128 v[6:9], v5
	ds_load_b128 v[10:13], v5 offset:16
	ds_load_b128 v[14:17], v5 offset:80
	s_waitcnt lgkmcnt(2)
	v_add_nc_u32_e32 v1, v6, v1
	v_add_nc_u32_e32 v2, v7, v2
	;; [unrolled: 1-line block ×4, first 2 shown]
	s_waitcnt lgkmcnt(0)
	v_add_nc_u32_e32 v6, v10, v14
	v_add_nc_u32_e32 v7, v11, v15
	;; [unrolled: 1-line block ×4, first 2 shown]
	ds_store_b128 v5, v[1:4]
	ds_store_b128 v5, v[6:9] offset:16
.LBB225_41:
	s_or_b32 exec_lo, exec_lo, s1
	s_delay_alu instid0(SALU_CYCLE_1)
	s_mov_b32 s1, exec_lo
	s_waitcnt lgkmcnt(0)
	s_barrier
	buffer_gl0_inv
	v_cmpx_eq_u32_e32 0, v0
	s_cbranch_execz .LBB225_43
; %bb.42:
	v_mov_b32_e32 v17, 0
	ds_load_b128 v[1:4], v17 offset:32
	ds_load_b128 v[5:8], v17
	ds_load_b128 v[9:12], v17 offset:16
	ds_load_b128 v[13:16], v17 offset:48
	s_waitcnt lgkmcnt(2)
	v_add_nc_u32_e32 v2, v6, v2
	v_add_nc_u32_e32 v1, v5, v1
	;; [unrolled: 1-line block ×4, first 2 shown]
	s_waitcnt lgkmcnt(0)
	v_add_nc_u32_e32 v5, v9, v13
	v_add_nc_u32_e32 v6, v10, v14
	;; [unrolled: 1-line block ×4, first 2 shown]
	ds_store_b128 v17, v[1:4]
	ds_store_b128 v17, v[5:8] offset:16
.LBB225_43:
	s_or_b32 exec_lo, exec_lo, s1
	s_waitcnt lgkmcnt(0)
	s_barrier
	buffer_gl0_inv
	s_and_saveexec_b32 s0, vcc_lo
	s_cbranch_execz .LBB225_45
; %bb.44:
	v_lshlrev_b32_e32 v1, 2, v0
	v_lshl_or_b32 v0, s15, 3, v0
	ds_load_b32 v2, v1
	v_mov_b32_e32 v1, 0
	s_delay_alu instid0(VALU_DEP_1) | instskip(NEXT) | instid1(VALU_DEP_1)
	v_lshlrev_b64 v[0:1], 2, v[0:1]
	v_add_co_u32 v0, vcc_lo, s2, v0
	s_delay_alu instid0(VALU_DEP_2)
	v_add_co_ci_u32_e32 v1, vcc_lo, s3, v1, vcc_lo
	s_waitcnt lgkmcnt(0)
	global_store_b32 v[0:1], v2, off
.LBB225_45:
	s_nop 0
	s_sendmsg sendmsg(MSG_DEALLOC_VGPRS)
	s_endpgm
	.section	.rodata,"a",@progbits
	.p2align	6, 0x0
	.amdhsa_kernel _ZN9rocsparseL26bsrgemm_group_reduce_part2ILj256ELj8ELj2E21rocsparse_complex_numIdEliEEvT4_PKT3_PS3_Pi
		.amdhsa_group_segment_fixed_size 8192
		.amdhsa_private_segment_fixed_size 0
		.amdhsa_kernarg_size 288
		.amdhsa_user_sgpr_count 15
		.amdhsa_user_sgpr_dispatch_ptr 0
		.amdhsa_user_sgpr_queue_ptr 0
		.amdhsa_user_sgpr_kernarg_segment_ptr 1
		.amdhsa_user_sgpr_dispatch_id 0
		.amdhsa_user_sgpr_private_segment_size 0
		.amdhsa_wavefront_size32 1
		.amdhsa_uses_dynamic_stack 0
		.amdhsa_enable_private_segment 0
		.amdhsa_system_sgpr_workgroup_id_x 1
		.amdhsa_system_sgpr_workgroup_id_y 0
		.amdhsa_system_sgpr_workgroup_id_z 0
		.amdhsa_system_sgpr_workgroup_info 0
		.amdhsa_system_vgpr_workitem_id 0
		.amdhsa_next_free_vgpr 18
		.amdhsa_next_free_sgpr 17
		.amdhsa_reserve_vcc 1
		.amdhsa_float_round_mode_32 0
		.amdhsa_float_round_mode_16_64 0
		.amdhsa_float_denorm_mode_32 3
		.amdhsa_float_denorm_mode_16_64 3
		.amdhsa_dx10_clamp 1
		.amdhsa_ieee_mode 1
		.amdhsa_fp16_overflow 0
		.amdhsa_workgroup_processor_mode 1
		.amdhsa_memory_ordered 1
		.amdhsa_forward_progress 0
		.amdhsa_shared_vgpr_count 0
		.amdhsa_exception_fp_ieee_invalid_op 0
		.amdhsa_exception_fp_denorm_src 0
		.amdhsa_exception_fp_ieee_div_zero 0
		.amdhsa_exception_fp_ieee_overflow 0
		.amdhsa_exception_fp_ieee_underflow 0
		.amdhsa_exception_fp_ieee_inexact 0
		.amdhsa_exception_int_div_zero 0
	.end_amdhsa_kernel
	.section	.text._ZN9rocsparseL26bsrgemm_group_reduce_part2ILj256ELj8ELj2E21rocsparse_complex_numIdEliEEvT4_PKT3_PS3_Pi,"axG",@progbits,_ZN9rocsparseL26bsrgemm_group_reduce_part2ILj256ELj8ELj2E21rocsparse_complex_numIdEliEEvT4_PKT3_PS3_Pi,comdat
.Lfunc_end225:
	.size	_ZN9rocsparseL26bsrgemm_group_reduce_part2ILj256ELj8ELj2E21rocsparse_complex_numIdEliEEvT4_PKT3_PS3_Pi, .Lfunc_end225-_ZN9rocsparseL26bsrgemm_group_reduce_part2ILj256ELj8ELj2E21rocsparse_complex_numIdEliEEvT4_PKT3_PS3_Pi
                                        ; -- End function
	.section	.AMDGPU.csdata,"",@progbits
; Kernel info:
; codeLenInByte = 1940
; NumSgprs: 19
; NumVgprs: 18
; ScratchSize: 0
; MemoryBound: 0
; FloatMode: 240
; IeeeMode: 1
; LDSByteSize: 8192 bytes/workgroup (compile time only)
; SGPRBlocks: 2
; VGPRBlocks: 2
; NumSGPRsForWavesPerEU: 19
; NumVGPRsForWavesPerEU: 18
; Occupancy: 16
; WaveLimiterHint : 0
; COMPUTE_PGM_RSRC2:SCRATCH_EN: 0
; COMPUTE_PGM_RSRC2:USER_SGPR: 15
; COMPUTE_PGM_RSRC2:TRAP_HANDLER: 0
; COMPUTE_PGM_RSRC2:TGID_X_EN: 1
; COMPUTE_PGM_RSRC2:TGID_Y_EN: 0
; COMPUTE_PGM_RSRC2:TGID_Z_EN: 0
; COMPUTE_PGM_RSRC2:TIDIG_COMP_CNT: 0
	.section	.text._ZN9rocsparseL26bsrgemm_group_reduce_part2ILj256ELj8ELj8E21rocsparse_complex_numIdEliEEvT4_PKT3_PS3_Pi,"axG",@progbits,_ZN9rocsparseL26bsrgemm_group_reduce_part2ILj256ELj8ELj8E21rocsparse_complex_numIdEliEEvT4_PKT3_PS3_Pi,comdat
	.globl	_ZN9rocsparseL26bsrgemm_group_reduce_part2ILj256ELj8ELj8E21rocsparse_complex_numIdEliEEvT4_PKT3_PS3_Pi ; -- Begin function _ZN9rocsparseL26bsrgemm_group_reduce_part2ILj256ELj8ELj8E21rocsparse_complex_numIdEliEEvT4_PKT3_PS3_Pi
	.p2align	8
	.type	_ZN9rocsparseL26bsrgemm_group_reduce_part2ILj256ELj8ELj8E21rocsparse_complex_numIdEliEEvT4_PKT3_PS3_Pi,@function
_ZN9rocsparseL26bsrgemm_group_reduce_part2ILj256ELj8ELj8E21rocsparse_complex_numIdEliEEvT4_PKT3_PS3_Pi: ; @_ZN9rocsparseL26bsrgemm_group_reduce_part2ILj256ELj8ELj8E21rocsparse_complex_numIdEliEEvT4_PKT3_PS3_Pi
; %bb.0:
	s_clause 0x1
	s_load_b32 s10, s[0:1], 0x0
	s_load_b64 s[2:3], s[0:1], 0x10
	s_mov_b32 s4, 0
	v_lshl_or_b32 v1, s15, 8, v0
	s_mov_b32 s7, s4
	s_mov_b32 s5, s4
	s_mov_b32 s6, s4
	v_dual_mov_b32 v9, s7 :: v_dual_mov_b32 v6, s4
	v_dual_mov_b32 v8, s6 :: v_dual_lshlrev_b32 v5, 5, v0
	v_mov_b32_e32 v7, s5
	s_mov_b32 s5, exec_lo
	ds_store_b128 v5, v[6:9]
	ds_store_b128 v5, v[6:9] offset:16
	s_waitcnt lgkmcnt(0)
	buffer_gl0_inv
	v_cmpx_gt_i32_e64 s10, v1
	s_cbranch_execz .LBB226_31
; %bb.1:
	s_clause 0x2
	s_load_b32 s11, s[0:1], 0x20
	s_load_b64 s[6:7], s[0:1], 0x8
	s_load_b64 s[8:9], s[0:1], 0x18
	v_dual_mov_b32 v6, 7 :: v_dual_mov_b32 v7, 6
	v_dual_mov_b32 v8, 5 :: v_dual_mov_b32 v9, 4
	;; [unrolled: 1-line block ×4, first 2 shown]
	s_waitcnt lgkmcnt(0)
	s_lshl_b32 s1, s11, 8
	s_branch .LBB226_3
.LBB226_2:                              ;   in Loop: Header=BB226_3 Depth=1
	s_or_b32 exec_lo, exec_lo, s0
	v_add_nc_u32_e32 v1, s1, v1
	s_delay_alu instid0(VALU_DEP_1) | instskip(SKIP_1) | instid1(SALU_CYCLE_1)
	v_cmp_le_i32_e32 vcc_lo, s10, v1
	s_or_b32 s4, vcc_lo, s4
	s_and_not1_b32 exec_lo, exec_lo, s4
	s_cbranch_execz .LBB226_31
.LBB226_3:                              ; =>This Inner Loop Header: Depth=1
	v_ashrrev_i32_e32 v2, 31, v1
	s_mov_b32 s0, exec_lo
	s_delay_alu instid0(VALU_DEP_1) | instskip(NEXT) | instid1(VALU_DEP_1)
	v_lshlrev_b64 v[3:4], 3, v[1:2]
	v_add_co_u32 v3, vcc_lo, s6, v3
	s_delay_alu instid0(VALU_DEP_2) | instskip(SKIP_4) | instid1(VALU_DEP_1)
	v_add_co_ci_u32_e32 v4, vcc_lo, s7, v4, vcc_lo
	global_load_b128 v[14:17], v[3:4], off
	s_waitcnt vmcnt(0)
	v_sub_co_u32 v3, vcc_lo, v16, v14
	v_sub_co_ci_u32_e32 v4, vcc_lo, v17, v15, vcc_lo
	v_cmpx_lt_i64_e32 8, v[3:4]
	s_xor_b32 s11, exec_lo, s0
	s_cbranch_execz .LBB226_29
; %bb.4:                                ;   in Loop: Header=BB226_3 Depth=1
	s_mov_b32 s0, exec_lo
	v_cmpx_lt_u64_e32 16, v[3:4]
	s_xor_b32 s12, exec_lo, s0
	s_cbranch_execz .LBB226_26
; %bb.5:                                ;   in Loop: Header=BB226_3 Depth=1
	s_mov_b32 s0, exec_lo
	v_cmpx_lt_u64_e32 32, v[3:4]
	;; [unrolled: 5-line block ×5, first 2 shown]
	s_xor_b32 s17, exec_lo, s0
	s_cbranch_execz .LBB226_14
; %bb.9:                                ;   in Loop: Header=BB226_3 Depth=1
	v_lshlrev_b64 v[14:15], 2, v[1:2]
	v_cmp_lt_u64_e32 vcc_lo, 0x200, v[3:4]
	s_delay_alu instid0(VALU_DEP_2) | instskip(NEXT) | instid1(VALU_DEP_1)
	v_add_co_u32 v3, s0, s8, v14
	v_add_co_ci_u32_e64 v4, s0, s9, v15, s0
	s_and_saveexec_b32 s0, vcc_lo
	s_delay_alu instid0(SALU_CYCLE_1)
	s_xor_b32 s0, exec_lo, s0
	s_cbranch_execz .LBB226_11
; %bb.10:                               ;   in Loop: Header=BB226_3 Depth=1
	ds_load_b32 v14, v5 offset:28
	global_store_b32 v[3:4], v6, off
                                        ; implicit-def: $vgpr3_vgpr4
	s_waitcnt lgkmcnt(0)
	v_add_nc_u32_e32 v14, 1, v14
	ds_store_b32 v5, v14 offset:28
.LBB226_11:                             ;   in Loop: Header=BB226_3 Depth=1
	s_and_not1_saveexec_b32 s0, s0
	s_cbranch_execz .LBB226_13
; %bb.12:                               ;   in Loop: Header=BB226_3 Depth=1
	ds_load_b32 v14, v5 offset:24
	global_store_b32 v[3:4], v7, off
	s_waitcnt lgkmcnt(0)
	v_add_nc_u32_e32 v14, 1, v14
	ds_store_b32 v5, v14 offset:24
.LBB226_13:                             ;   in Loop: Header=BB226_3 Depth=1
	s_or_b32 exec_lo, exec_lo, s0
.LBB226_14:                             ;   in Loop: Header=BB226_3 Depth=1
	s_and_not1_saveexec_b32 s0, s17
	s_cbranch_execz .LBB226_16
; %bb.15:                               ;   in Loop: Header=BB226_3 Depth=1
	ds_load_b32 v14, v5 offset:20
	v_lshlrev_b64 v[3:4], 2, v[1:2]
	s_delay_alu instid0(VALU_DEP_1) | instskip(NEXT) | instid1(VALU_DEP_2)
	v_add_co_u32 v3, vcc_lo, s8, v3
	v_add_co_ci_u32_e32 v4, vcc_lo, s9, v4, vcc_lo
	global_store_b32 v[3:4], v8, off
	s_waitcnt lgkmcnt(0)
	v_add_nc_u32_e32 v14, 1, v14
	ds_store_b32 v5, v14 offset:20
.LBB226_16:                             ;   in Loop: Header=BB226_3 Depth=1
	s_or_b32 exec_lo, exec_lo, s0
.LBB226_17:                             ;   in Loop: Header=BB226_3 Depth=1
	s_and_not1_saveexec_b32 s0, s16
	s_cbranch_execz .LBB226_19
; %bb.18:                               ;   in Loop: Header=BB226_3 Depth=1
	ds_load_b32 v14, v5 offset:16
	v_lshlrev_b64 v[3:4], 2, v[1:2]
	s_delay_alu instid0(VALU_DEP_1) | instskip(NEXT) | instid1(VALU_DEP_2)
	v_add_co_u32 v3, vcc_lo, s8, v3
	v_add_co_ci_u32_e32 v4, vcc_lo, s9, v4, vcc_lo
	global_store_b32 v[3:4], v9, off
	s_waitcnt lgkmcnt(0)
	v_add_nc_u32_e32 v14, 1, v14
	ds_store_b32 v5, v14 offset:16
.LBB226_19:                             ;   in Loop: Header=BB226_3 Depth=1
	s_or_b32 exec_lo, exec_lo, s0
.LBB226_20:                             ;   in Loop: Header=BB226_3 Depth=1
	s_and_not1_saveexec_b32 s0, s14
	s_cbranch_execz .LBB226_22
; %bb.21:                               ;   in Loop: Header=BB226_3 Depth=1
	ds_load_b32 v14, v5 offset:12
	v_lshlrev_b64 v[3:4], 2, v[1:2]
	s_delay_alu instid0(VALU_DEP_1) | instskip(NEXT) | instid1(VALU_DEP_2)
	v_add_co_u32 v3, vcc_lo, s8, v3
	v_add_co_ci_u32_e32 v4, vcc_lo, s9, v4, vcc_lo
	global_store_b32 v[3:4], v10, off
	s_waitcnt lgkmcnt(0)
	v_add_nc_u32_e32 v14, 1, v14
	ds_store_b32 v5, v14 offset:12
.LBB226_22:                             ;   in Loop: Header=BB226_3 Depth=1
	s_or_b32 exec_lo, exec_lo, s0
.LBB226_23:                             ;   in Loop: Header=BB226_3 Depth=1
	s_and_not1_saveexec_b32 s0, s13
	s_cbranch_execz .LBB226_25
; %bb.24:                               ;   in Loop: Header=BB226_3 Depth=1
	ds_load_b32 v14, v5 offset:8
	v_lshlrev_b64 v[3:4], 2, v[1:2]
	s_delay_alu instid0(VALU_DEP_1) | instskip(NEXT) | instid1(VALU_DEP_2)
	v_add_co_u32 v3, vcc_lo, s8, v3
	v_add_co_ci_u32_e32 v4, vcc_lo, s9, v4, vcc_lo
	global_store_b32 v[3:4], v11, off
	s_waitcnt lgkmcnt(0)
	v_add_nc_u32_e32 v14, 1, v14
	ds_store_b32 v5, v14 offset:8
.LBB226_25:                             ;   in Loop: Header=BB226_3 Depth=1
	s_or_b32 exec_lo, exec_lo, s0
.LBB226_26:                             ;   in Loop: Header=BB226_3 Depth=1
	s_and_not1_saveexec_b32 s0, s12
	s_cbranch_execz .LBB226_28
; %bb.27:                               ;   in Loop: Header=BB226_3 Depth=1
	ds_load_b32 v14, v5 offset:4
	v_lshlrev_b64 v[3:4], 2, v[1:2]
	s_delay_alu instid0(VALU_DEP_1) | instskip(NEXT) | instid1(VALU_DEP_2)
	v_add_co_u32 v3, vcc_lo, s8, v3
	v_add_co_ci_u32_e32 v4, vcc_lo, s9, v4, vcc_lo
	global_store_b32 v[3:4], v12, off
	s_waitcnt lgkmcnt(0)
	v_add_nc_u32_e32 v14, 1, v14
	ds_store_b32 v5, v14 offset:4
.LBB226_28:                             ;   in Loop: Header=BB226_3 Depth=1
	s_or_b32 exec_lo, exec_lo, s0
.LBB226_29:                             ;   in Loop: Header=BB226_3 Depth=1
	s_and_not1_saveexec_b32 s0, s11
	s_cbranch_execz .LBB226_2
; %bb.30:                               ;   in Loop: Header=BB226_3 Depth=1
	ds_load_b32 v4, v5
	v_lshlrev_b64 v[2:3], 2, v[1:2]
	s_delay_alu instid0(VALU_DEP_1) | instskip(NEXT) | instid1(VALU_DEP_2)
	v_add_co_u32 v2, vcc_lo, s8, v2
	v_add_co_ci_u32_e32 v3, vcc_lo, s9, v3, vcc_lo
	global_store_b32 v[2:3], v13, off
	s_waitcnt lgkmcnt(0)
	v_add_nc_u32_e32 v4, 1, v4
	ds_store_b32 v5, v4
	s_branch .LBB226_2
.LBB226_31:
	s_or_b32 exec_lo, exec_lo, s5
	s_delay_alu instid0(SALU_CYCLE_1)
	s_mov_b32 s0, exec_lo
	s_waitcnt lgkmcnt(0)
	s_waitcnt_vscnt null, 0x0
	s_barrier
	buffer_gl0_inv
	s_barrier
	buffer_gl0_inv
	;; [unrolled: 2-line block ×3, first 2 shown]
	v_cmpx_gt_u32_e32 0x80, v0
	s_cbranch_execz .LBB226_33
; %bb.32:
	ds_load_b128 v[1:4], v5 offset:4096
	ds_load_b128 v[6:9], v5
	ds_load_b128 v[10:13], v5 offset:16
	ds_load_b128 v[14:17], v5 offset:4112
	s_waitcnt lgkmcnt(2)
	v_add_nc_u32_e32 v1, v6, v1
	v_add_nc_u32_e32 v2, v7, v2
	v_add_nc_u32_e32 v3, v8, v3
	v_add_nc_u32_e32 v4, v9, v4
	s_waitcnt lgkmcnt(0)
	v_add_nc_u32_e32 v6, v10, v14
	v_add_nc_u32_e32 v7, v11, v15
	v_add_nc_u32_e32 v8, v12, v16
	v_add_nc_u32_e32 v9, v13, v17
	ds_store_b128 v5, v[1:4]
	ds_store_b128 v5, v[6:9] offset:16
.LBB226_33:
	s_or_b32 exec_lo, exec_lo, s0
	s_delay_alu instid0(SALU_CYCLE_1)
	s_mov_b32 s0, exec_lo
	s_waitcnt lgkmcnt(0)
	s_barrier
	buffer_gl0_inv
	v_cmpx_gt_u32_e32 64, v0
	s_cbranch_execz .LBB226_35
; %bb.34:
	ds_load_b128 v[1:4], v5 offset:2048
	ds_load_b128 v[6:9], v5
	ds_load_b128 v[10:13], v5 offset:16
	ds_load_b128 v[14:17], v5 offset:2064
	s_waitcnt lgkmcnt(2)
	v_add_nc_u32_e32 v1, v6, v1
	v_add_nc_u32_e32 v2, v7, v2
	v_add_nc_u32_e32 v3, v8, v3
	v_add_nc_u32_e32 v4, v9, v4
	s_waitcnt lgkmcnt(0)
	v_add_nc_u32_e32 v6, v10, v14
	v_add_nc_u32_e32 v7, v11, v15
	v_add_nc_u32_e32 v8, v12, v16
	v_add_nc_u32_e32 v9, v13, v17
	ds_store_b128 v5, v[1:4]
	ds_store_b128 v5, v[6:9] offset:16
.LBB226_35:
	s_or_b32 exec_lo, exec_lo, s0
	s_delay_alu instid0(SALU_CYCLE_1)
	s_mov_b32 s0, exec_lo
	s_waitcnt lgkmcnt(0)
	s_barrier
	buffer_gl0_inv
	;; [unrolled: 26-line block ×3, first 2 shown]
	v_cmpx_gt_u32_e32 16, v0
	s_cbranch_execz .LBB226_39
; %bb.38:
	ds_load_b128 v[1:4], v5 offset:512
	ds_load_b128 v[6:9], v5
	ds_load_b128 v[10:13], v5 offset:16
	ds_load_b128 v[14:17], v5 offset:528
	s_waitcnt lgkmcnt(2)
	v_add_nc_u32_e32 v1, v6, v1
	v_add_nc_u32_e32 v2, v7, v2
	v_add_nc_u32_e32 v3, v8, v3
	v_add_nc_u32_e32 v4, v9, v4
	s_waitcnt lgkmcnt(0)
	v_add_nc_u32_e32 v6, v10, v14
	v_add_nc_u32_e32 v7, v11, v15
	;; [unrolled: 1-line block ×4, first 2 shown]
	ds_store_b128 v5, v[1:4]
	ds_store_b128 v5, v[6:9] offset:16
.LBB226_39:
	s_or_b32 exec_lo, exec_lo, s0
	v_cmp_gt_u32_e32 vcc_lo, 8, v0
	s_waitcnt lgkmcnt(0)
	s_barrier
	buffer_gl0_inv
	s_and_saveexec_b32 s0, vcc_lo
	s_cbranch_execz .LBB226_41
; %bb.40:
	ds_load_b128 v[1:4], v5 offset:256
	ds_load_b128 v[6:9], v5
	ds_load_b128 v[10:13], v5 offset:16
	ds_load_b128 v[14:17], v5 offset:272
	s_waitcnt lgkmcnt(2)
	v_add_nc_u32_e32 v1, v6, v1
	v_add_nc_u32_e32 v2, v7, v2
	;; [unrolled: 1-line block ×4, first 2 shown]
	s_waitcnt lgkmcnt(0)
	v_add_nc_u32_e32 v6, v10, v14
	v_add_nc_u32_e32 v7, v11, v15
	;; [unrolled: 1-line block ×4, first 2 shown]
	ds_store_b128 v5, v[1:4]
	ds_store_b128 v5, v[6:9] offset:16
.LBB226_41:
	s_or_b32 exec_lo, exec_lo, s0
	s_delay_alu instid0(SALU_CYCLE_1)
	s_mov_b32 s1, exec_lo
	s_waitcnt lgkmcnt(0)
	s_barrier
	buffer_gl0_inv
	v_cmpx_gt_u32_e32 4, v0
	s_cbranch_execz .LBB226_43
; %bb.42:
	ds_load_b128 v[1:4], v5 offset:128
	ds_load_b128 v[6:9], v5
	ds_load_b128 v[10:13], v5 offset:16
	ds_load_b128 v[14:17], v5 offset:144
	s_waitcnt lgkmcnt(2)
	v_add_nc_u32_e32 v1, v6, v1
	v_add_nc_u32_e32 v2, v7, v2
	v_add_nc_u32_e32 v3, v8, v3
	v_add_nc_u32_e32 v4, v9, v4
	s_waitcnt lgkmcnt(0)
	v_add_nc_u32_e32 v6, v10, v14
	v_add_nc_u32_e32 v7, v11, v15
	;; [unrolled: 1-line block ×4, first 2 shown]
	ds_store_b128 v5, v[1:4]
	ds_store_b128 v5, v[6:9] offset:16
.LBB226_43:
	s_or_b32 exec_lo, exec_lo, s1
	s_delay_alu instid0(SALU_CYCLE_1)
	s_mov_b32 s1, exec_lo
	s_waitcnt lgkmcnt(0)
	s_barrier
	buffer_gl0_inv
	v_cmpx_gt_u32_e32 2, v0
	s_cbranch_execz .LBB226_45
; %bb.44:
	ds_load_b128 v[1:4], v5 offset:64
	ds_load_b128 v[6:9], v5
	ds_load_b128 v[10:13], v5 offset:16
	ds_load_b128 v[14:17], v5 offset:80
	s_waitcnt lgkmcnt(2)
	v_add_nc_u32_e32 v1, v6, v1
	v_add_nc_u32_e32 v2, v7, v2
	;; [unrolled: 1-line block ×4, first 2 shown]
	s_waitcnt lgkmcnt(0)
	v_add_nc_u32_e32 v6, v10, v14
	v_add_nc_u32_e32 v7, v11, v15
	;; [unrolled: 1-line block ×4, first 2 shown]
	ds_store_b128 v5, v[1:4]
	ds_store_b128 v5, v[6:9] offset:16
.LBB226_45:
	s_or_b32 exec_lo, exec_lo, s1
	s_delay_alu instid0(SALU_CYCLE_1)
	s_mov_b32 s1, exec_lo
	s_waitcnt lgkmcnt(0)
	s_barrier
	buffer_gl0_inv
	v_cmpx_eq_u32_e32 0, v0
	s_cbranch_execz .LBB226_47
; %bb.46:
	v_mov_b32_e32 v17, 0
	ds_load_b128 v[1:4], v17 offset:32
	ds_load_b128 v[5:8], v17
	ds_load_b128 v[9:12], v17 offset:16
	ds_load_b128 v[13:16], v17 offset:48
	s_waitcnt lgkmcnt(2)
	v_add_nc_u32_e32 v2, v6, v2
	v_add_nc_u32_e32 v1, v5, v1
	;; [unrolled: 1-line block ×4, first 2 shown]
	s_waitcnt lgkmcnt(0)
	v_add_nc_u32_e32 v5, v9, v13
	v_add_nc_u32_e32 v6, v10, v14
	;; [unrolled: 1-line block ×4, first 2 shown]
	ds_store_b128 v17, v[1:4]
	ds_store_b128 v17, v[5:8] offset:16
.LBB226_47:
	s_or_b32 exec_lo, exec_lo, s1
	s_waitcnt lgkmcnt(0)
	s_barrier
	buffer_gl0_inv
	s_and_saveexec_b32 s0, vcc_lo
	s_cbranch_execz .LBB226_49
; %bb.48:
	v_lshlrev_b32_e32 v1, 2, v0
	v_lshl_or_b32 v0, s15, 3, v0
	ds_load_b32 v2, v1
	v_mov_b32_e32 v1, 0
	s_delay_alu instid0(VALU_DEP_1) | instskip(NEXT) | instid1(VALU_DEP_1)
	v_lshlrev_b64 v[0:1], 2, v[0:1]
	v_add_co_u32 v0, vcc_lo, s2, v0
	s_delay_alu instid0(VALU_DEP_2)
	v_add_co_ci_u32_e32 v1, vcc_lo, s3, v1, vcc_lo
	s_waitcnt lgkmcnt(0)
	global_store_b32 v[0:1], v2, off
.LBB226_49:
	s_nop 0
	s_sendmsg sendmsg(MSG_DEALLOC_VGPRS)
	s_endpgm
	.section	.rodata,"a",@progbits
	.p2align	6, 0x0
	.amdhsa_kernel _ZN9rocsparseL26bsrgemm_group_reduce_part2ILj256ELj8ELj8E21rocsparse_complex_numIdEliEEvT4_PKT3_PS3_Pi
		.amdhsa_group_segment_fixed_size 8192
		.amdhsa_private_segment_fixed_size 0
		.amdhsa_kernarg_size 288
		.amdhsa_user_sgpr_count 15
		.amdhsa_user_sgpr_dispatch_ptr 0
		.amdhsa_user_sgpr_queue_ptr 0
		.amdhsa_user_sgpr_kernarg_segment_ptr 1
		.amdhsa_user_sgpr_dispatch_id 0
		.amdhsa_user_sgpr_private_segment_size 0
		.amdhsa_wavefront_size32 1
		.amdhsa_uses_dynamic_stack 0
		.amdhsa_enable_private_segment 0
		.amdhsa_system_sgpr_workgroup_id_x 1
		.amdhsa_system_sgpr_workgroup_id_y 0
		.amdhsa_system_sgpr_workgroup_id_z 0
		.amdhsa_system_sgpr_workgroup_info 0
		.amdhsa_system_vgpr_workitem_id 0
		.amdhsa_next_free_vgpr 18
		.amdhsa_next_free_sgpr 18
		.amdhsa_reserve_vcc 1
		.amdhsa_float_round_mode_32 0
		.amdhsa_float_round_mode_16_64 0
		.amdhsa_float_denorm_mode_32 3
		.amdhsa_float_denorm_mode_16_64 3
		.amdhsa_dx10_clamp 1
		.amdhsa_ieee_mode 1
		.amdhsa_fp16_overflow 0
		.amdhsa_workgroup_processor_mode 1
		.amdhsa_memory_ordered 1
		.amdhsa_forward_progress 0
		.amdhsa_shared_vgpr_count 0
		.amdhsa_exception_fp_ieee_invalid_op 0
		.amdhsa_exception_fp_denorm_src 0
		.amdhsa_exception_fp_ieee_div_zero 0
		.amdhsa_exception_fp_ieee_overflow 0
		.amdhsa_exception_fp_ieee_underflow 0
		.amdhsa_exception_fp_ieee_inexact 0
		.amdhsa_exception_int_div_zero 0
	.end_amdhsa_kernel
	.section	.text._ZN9rocsparseL26bsrgemm_group_reduce_part2ILj256ELj8ELj8E21rocsparse_complex_numIdEliEEvT4_PKT3_PS3_Pi,"axG",@progbits,_ZN9rocsparseL26bsrgemm_group_reduce_part2ILj256ELj8ELj8E21rocsparse_complex_numIdEliEEvT4_PKT3_PS3_Pi,comdat
.Lfunc_end226:
	.size	_ZN9rocsparseL26bsrgemm_group_reduce_part2ILj256ELj8ELj8E21rocsparse_complex_numIdEliEEvT4_PKT3_PS3_Pi, .Lfunc_end226-_ZN9rocsparseL26bsrgemm_group_reduce_part2ILj256ELj8ELj8E21rocsparse_complex_numIdEliEEvT4_PKT3_PS3_Pi
                                        ; -- End function
	.section	.AMDGPU.csdata,"",@progbits
; Kernel info:
; codeLenInByte = 2032
; NumSgprs: 20
; NumVgprs: 18
; ScratchSize: 0
; MemoryBound: 0
; FloatMode: 240
; IeeeMode: 1
; LDSByteSize: 8192 bytes/workgroup (compile time only)
; SGPRBlocks: 2
; VGPRBlocks: 2
; NumSGPRsForWavesPerEU: 20
; NumVGPRsForWavesPerEU: 18
; Occupancy: 16
; WaveLimiterHint : 0
; COMPUTE_PGM_RSRC2:SCRATCH_EN: 0
; COMPUTE_PGM_RSRC2:USER_SGPR: 15
; COMPUTE_PGM_RSRC2:TRAP_HANDLER: 0
; COMPUTE_PGM_RSRC2:TGID_X_EN: 1
; COMPUTE_PGM_RSRC2:TGID_Y_EN: 0
; COMPUTE_PGM_RSRC2:TGID_Z_EN: 0
; COMPUTE_PGM_RSRC2:TIDIG_COMP_CNT: 0
	.section	.text._ZN9rocsparseL27bsrgemm_fill_wf_per_row_2x2ILj256ELj16ELj8ELj137Eli21rocsparse_complex_numIdEEEv20rocsparse_direction_T4_S4_PKS4_S6_NS_24const_host_device_scalarIT5_EEPKT3_S6_PKS8_SC_S6_SE_S9_SC_S6_SE_SC_PS4_PS8_21rocsparse_index_base_SH_SH_SH_bbb,"axG",@progbits,_ZN9rocsparseL27bsrgemm_fill_wf_per_row_2x2ILj256ELj16ELj8ELj137Eli21rocsparse_complex_numIdEEEv20rocsparse_direction_T4_S4_PKS4_S6_NS_24const_host_device_scalarIT5_EEPKT3_S6_PKS8_SC_S6_SE_S9_SC_S6_SE_SC_PS4_PS8_21rocsparse_index_base_SH_SH_SH_bbb,comdat
	.globl	_ZN9rocsparseL27bsrgemm_fill_wf_per_row_2x2ILj256ELj16ELj8ELj137Eli21rocsparse_complex_numIdEEEv20rocsparse_direction_T4_S4_PKS4_S6_NS_24const_host_device_scalarIT5_EEPKT3_S6_PKS8_SC_S6_SE_S9_SC_S6_SE_SC_PS4_PS8_21rocsparse_index_base_SH_SH_SH_bbb ; -- Begin function _ZN9rocsparseL27bsrgemm_fill_wf_per_row_2x2ILj256ELj16ELj8ELj137Eli21rocsparse_complex_numIdEEEv20rocsparse_direction_T4_S4_PKS4_S6_NS_24const_host_device_scalarIT5_EEPKT3_S6_PKS8_SC_S6_SE_S9_SC_S6_SE_SC_PS4_PS8_21rocsparse_index_base_SH_SH_SH_bbb
	.p2align	8
	.type	_ZN9rocsparseL27bsrgemm_fill_wf_per_row_2x2ILj256ELj16ELj8ELj137Eli21rocsparse_complex_numIdEEEv20rocsparse_direction_T4_S4_PKS4_S6_NS_24const_host_device_scalarIT5_EEPKT3_S6_PKS8_SC_S6_SE_S9_SC_S6_SE_SC_PS4_PS8_21rocsparse_index_base_SH_SH_SH_bbb,@function
_ZN9rocsparseL27bsrgemm_fill_wf_per_row_2x2ILj256ELj16ELj8ELj137Eli21rocsparse_complex_numIdEEEv20rocsparse_direction_T4_S4_PKS4_S6_NS_24const_host_device_scalarIT5_EEPKT3_S6_PKS8_SC_S6_SE_S9_SC_S6_SE_SC_PS4_PS8_21rocsparse_index_base_SH_SH_SH_bbb: ; @_ZN9rocsparseL27bsrgemm_fill_wf_per_row_2x2ILj256ELj16ELj8ELj137Eli21rocsparse_complex_numIdEEEv20rocsparse_direction_T4_S4_PKS4_S6_NS_24const_host_device_scalarIT5_EEPKT3_S6_PKS8_SC_S6_SE_S9_SC_S6_SE_SC_PS4_PS8_21rocsparse_index_base_SH_SH_SH_bbb
; %bb.0:
	s_load_b32 s13, s[2:3], 0xb0
	s_load_b64 s[16:17], s[0:1], 0x4
	s_clause 0x1
	s_load_b128 s[8:11], s[2:3], 0x20
	s_load_b128 s[4:7], s[2:3], 0x60
	v_dual_mov_b32 v16, 0 :: v_dual_and_b32 v1, 0x3ff, v0
	v_bfe_u32 v3, v0, 10, 10
	v_mov_b32_e32 v17, 0
	v_bfe_u32 v0, v0, 20, 10
	s_waitcnt lgkmcnt(0)
	s_bitcmp1_b32 s13, 0
	s_cselect_b32 s12, -1, 0
	s_bitcmp1_b32 s13, 16
	v_mov_b32_e32 v4, s4
	s_cselect_b32 s0, -1, 0
	s_lshr_b32 s1, s16, 16
	s_xor_b32 s14, s0, -1
	s_mul_i32 s1, s1, s17
	v_cndmask_b32_e64 v6, 0, 1, s14
	v_mul_lo_u32 v2, s1, v1
	s_bitcmp0_b32 s13, 0
	s_delay_alu instid0(VALU_DEP_2) | instskip(NEXT) | instid1(VALU_DEP_2)
	v_cmp_ne_u32_e32 vcc_lo, 1, v6
	v_mad_u32_u24 v7, v3, s17, v2
	v_dual_mov_b32 v2, s8 :: v_dual_mov_b32 v3, s9
	v_mov_b32_e32 v23, v17
	v_dual_mov_b32 v25, v17 :: v_dual_mov_b32 v24, v16
	v_dual_mov_b32 v5, s5 :: v_dual_mov_b32 v22, v16
	v_add_lshl_u32 v0, v7, v0, 3
	ds_store_2addr_stride64_b64 v0, v[4:5], v[2:3] offset0:17 offset1:21
	s_cbranch_scc1 .LBB227_3
; %bb.1:
	s_mov_b64 s[16:17], src_shared_base
	s_and_b32 s1, s0, exec_lo
	s_cselect_b32 s1, s17, s9
	s_delay_alu instid0(SALU_CYCLE_1) | instskip(SKIP_2) | instid1(VALU_DEP_2)
	v_dual_mov_b32 v3, s1 :: v_dual_add_nc_u32 v2, 0x2a00, v0
	v_dual_mov_b32 v25, s11 :: v_dual_mov_b32 v24, s10
	s_and_b32 vcc_lo, exec_lo, vcc_lo
	v_cndmask_b32_e64 v2, s8, v2, s0
	flat_load_b64 v[22:23], v[2:3]
	s_cbranch_vccnz .LBB227_3
; %bb.2:
	v_dual_mov_b32 v2, s8 :: v_dual_mov_b32 v3, s9
	flat_load_b64 v[24:25], v[2:3] offset:8
.LBB227_3:
	s_load_b128 s[36:39], s[2:3], 0xa0
	s_bitcmp1_b32 s13, 8
	v_dual_mov_b32 v19, v17 :: v_dual_mov_b32 v18, v16
	s_cselect_b32 s1, -1, 0
	s_bfe_u32 s8, s13, 0x10008
	s_delay_alu instid0(SALU_CYCLE_1)
	s_cmp_eq_u32 s8, 0
	s_cbranch_scc1 .LBB227_6
; %bb.4:
	s_mov_b64 s[8:9], src_shared_base
	s_and_b32 s8, s0, exec_lo
	s_cselect_b32 s8, s9, s5
	s_delay_alu instid0(SALU_CYCLE_1) | instskip(SKIP_2) | instid1(VALU_DEP_2)
	v_dual_mov_b32 v3, s8 :: v_dual_add_nc_u32 v0, 0x2200, v0
	v_dual_mov_b32 v17, s7 :: v_dual_mov_b32 v16, s6
	s_and_not1_b32 vcc_lo, exec_lo, s14
	v_cndmask_b32_e64 v2, s4, v0, s0
	flat_load_b64 v[18:19], v[2:3]
	s_cbranch_vccnz .LBB227_6
; %bb.5:
	v_dual_mov_b32 v2, s4 :: v_dual_mov_b32 v3, s5
	flat_load_b64 v[16:17], v[2:3] offset:8
.LBB227_6:
	s_clause 0x4
	s_load_b128 s[40:43], s[2:3], 0x90
	s_load_b256 s[16:23], s[2:3], 0x70
	s_load_b128 s[44:47], s[2:3], 0x50
	s_load_b256 s[4:11], s[2:3], 0x0
	s_load_b256 s[24:31], s[2:3], 0x30
	v_lshrrev_b32_e32 v4, 4, v1
	v_and_b32_e32 v56, 15, v1
	s_delay_alu instid0(VALU_DEP_2) | instskip(NEXT) | instid1(VALU_DEP_2)
	v_lshl_or_b32 v57, v4, 5, 0x2000
	v_cmp_gt_u32_e64 s0, 8, v56
	s_delay_alu instid0(VALU_DEP_1)
	s_and_saveexec_b32 s2, s0
	s_cbranch_execz .LBB227_8
; %bb.7:
	s_delay_alu instid0(VALU_DEP_2)
	v_lshl_add_u32 v0, v56, 2, v57
	s_waitcnt lgkmcnt(0)
	v_mov_b32_e32 v1, s6
	ds_store_b32 v0, v1
.LBB227_8:
	s_or_b32 exec_lo, exec_lo, s2
	v_dual_mov_b32 v0, 0 :: v_dual_lshlrev_b32 v1, 4, v56
	v_or_b32_e32 v5, -16, v56
	s_mov_b32 s2, 0
	s_delay_alu instid0(VALU_DEP_2) | instskip(NEXT) | instid1(VALU_DEP_3)
	v_lshl_or_b32 v6, v4, 9, v1
	v_mov_b32_e32 v1, v0
	v_mov_b32_e32 v2, v0
	;; [unrolled: 1-line block ×3, first 2 shown]
.LBB227_9:                              ; =>This Inner Loop Header: Depth=1
	v_add_co_u32 v5, s3, v5, 16
	s_delay_alu instid0(VALU_DEP_1) | instskip(SKIP_3) | instid1(SALU_CYCLE_1)
	s_xor_b32 s3, s3, -1
	ds_store_b128 v6, v[0:3]
	v_add_nc_u32_e32 v6, 0x100, v6
	s_and_b32 s3, exec_lo, s3
	s_or_b32 s2, s3, s2
	s_delay_alu instid0(SALU_CYCLE_1)
	s_and_not1_b32 exec_lo, exec_lo, s2
	s_cbranch_execnz .LBB227_9
; %bb.10:
	s_or_b32 exec_lo, exec_lo, s2
	v_lshl_or_b32 v20, s15, 4, v4
	s_waitcnt vmcnt(0) lgkmcnt(0)
	s_barrier
	buffer_gl0_inv
	s_mov_b32 s2, exec_lo
	v_cmpx_gt_i32_e64 s5, v20
	s_cbranch_execz .LBB227_16
; %bb.11:
	s_cmp_eq_u64 s[10:11], 0
	s_cbranch_scc1 .LBB227_13
; %bb.12:
	s_load_b32 s2, s[8:9], 0x0
	s_waitcnt lgkmcnt(0)
	v_add_nc_u32_e32 v0, s2, v20
	s_delay_alu instid0(VALU_DEP_1) | instskip(NEXT) | instid1(VALU_DEP_1)
	v_ashrrev_i32_e32 v1, 31, v0
	v_lshlrev_b64 v[0:1], 2, v[0:1]
	s_delay_alu instid0(VALU_DEP_1) | instskip(NEXT) | instid1(VALU_DEP_2)
	v_add_co_u32 v0, vcc_lo, s10, v0
	v_add_co_ci_u32_e32 v1, vcc_lo, s11, v1, vcc_lo
	global_load_b32 v20, v[0:1], off
.LBB227_13:
	v_lshlrev_b32_e32 v58, 9, v4
	s_waitcnt vmcnt(0)
	v_ashrrev_i32_e32 v21, 31, v20
	s_and_not1_b32 vcc_lo, exec_lo, s12
	s_cbranch_vccz .LBB227_17
; %bb.14:
	s_and_not1_b32 vcc_lo, exec_lo, s1
	buffer_gl0_inv
	s_cbranch_vccz .LBB227_104
.LBB227_15:
	buffer_gl0_inv
	s_and_b32 exec_lo, exec_lo, s0
	s_cbranch_execnz .LBB227_188
.LBB227_16:
	s_endpgm
.LBB227_17:
	s_delay_alu instid0(VALU_DEP_1) | instskip(SKIP_1) | instid1(VALU_DEP_1)
	v_lshlrev_b64 v[0:1], 3, v[20:21]
	v_sub_co_u32 v4, s2, v56, s36
	v_sub_co_ci_u32_e64 v5, null, 0, 0, s2
	s_mov_b32 s3, 0
	s_delay_alu instid0(VALU_DEP_3) | instskip(NEXT) | instid1(VALU_DEP_4)
	v_add_co_u32 v0, vcc_lo, s24, v0
	v_add_co_ci_u32_e32 v1, vcc_lo, s25, v1, vcc_lo
	s_mov_b32 s2, exec_lo
	global_load_b128 v[0:3], v[0:1], off
	s_waitcnt vmcnt(0)
	v_sub_co_u32 v26, vcc_lo, v2, s36
	v_subrev_co_ci_u32_e32 v27, vcc_lo, 0, v3, vcc_lo
	v_add_co_u32 v28, vcc_lo, v0, v4
	v_add_co_ci_u32_e32 v29, vcc_lo, v1, v5, vcc_lo
	s_delay_alu instid0(VALU_DEP_1)
	v_cmpx_lt_i64_e64 v[28:29], v[26:27]
	s_cbranch_execz .LBB227_103
; %bb.18:
	v_add_nc_u32_e32 v59, 16, v58
	v_add_nc_u32_e32 v60, 32, v58
	;; [unrolled: 1-line block ×3, first 2 shown]
	s_cmp_eq_u32 s4, 0
	s_mov_b32 s5, s37
	s_cselect_b32 s7, 1, 2
	s_cselect_b32 s8, 2, 1
	s_branch .LBB227_20
.LBB227_19:                             ;   in Loop: Header=BB227_20 Depth=1
	s_or_b32 exec_lo, exec_lo, s9
	v_add_co_u32 v28, vcc_lo, v28, 16
	v_add_co_ci_u32_e32 v29, vcc_lo, 0, v29, vcc_lo
	s_delay_alu instid0(VALU_DEP_1) | instskip(SKIP_1) | instid1(SALU_CYCLE_1)
	v_cmp_ge_i64_e32 vcc_lo, v[28:29], v[26:27]
	s_or_b32 s3, vcc_lo, s3
	s_and_not1_b32 exec_lo, exec_lo, s3
	s_cbranch_execz .LBB227_103
.LBB227_20:                             ; =>This Loop Header: Depth=1
                                        ;     Child Loop BB227_23 Depth 2
                                        ;       Child Loop BB227_25 Depth 3
                                        ;         Child Loop BB227_31 Depth 4
                                        ;         Child Loop BB227_33 Depth 4
                                        ;         Child Loop BB227_39 Depth 4
                                        ;         Child Loop BB227_41 Depth 4
                                        ;       Child Loop BB227_45 Depth 3
                                        ;         Child Loop BB227_51 Depth 4
                                        ;         Child Loop BB227_53 Depth 4
                                        ;         Child Loop BB227_59 Depth 4
                                        ;         Child Loop BB227_61 Depth 4
	;; [unrolled: 5-line block ×4, first 2 shown]
	v_lshlrev_b64 v[4:5], 2, v[28:29]
	s_mov_b32 s9, exec_lo
	s_delay_alu instid0(VALU_DEP_1) | instskip(NEXT) | instid1(VALU_DEP_2)
	v_add_co_u32 v0, vcc_lo, s26, v4
	v_add_co_ci_u32_e32 v1, vcc_lo, s27, v5, vcc_lo
	global_load_b32 v0, v[0:1], off
	s_waitcnt vmcnt(0)
	v_subrev_nc_u32_e32 v0, s36, v0
	s_delay_alu instid0(VALU_DEP_1) | instskip(NEXT) | instid1(VALU_DEP_1)
	v_ashrrev_i32_e32 v1, 31, v0
	v_lshlrev_b64 v[0:1], 3, v[0:1]
	s_delay_alu instid0(VALU_DEP_1) | instskip(NEXT) | instid1(VALU_DEP_2)
	v_add_co_u32 v0, vcc_lo, s30, v0
	v_add_co_ci_u32_e32 v1, vcc_lo, s31, v1, vcc_lo
	global_load_b128 v[0:3], v[0:1], off
	s_waitcnt vmcnt(0)
	v_cmpx_lt_i64_e64 v[0:1], v[2:3]
	s_cbranch_execz .LBB227_19
; %bb.21:                               ;   in Loop: Header=BB227_20 Depth=1
	v_or_b32_e32 v9, 0, v5
	v_or_b32_e32 v8, s7, v4
	v_lshlrev_b64 v[6:7], 6, v[28:29]
	v_or_b32_e32 v5, 0, v5
	v_or_b32_e32 v4, s8, v4
	s_mov_b32 s10, 0
	v_lshlrev_b64 v[8:9], 4, v[8:9]
	s_delay_alu instid0(VALU_DEP_4) | instskip(NEXT) | instid1(VALU_DEP_3)
	v_add_co_u32 v10, vcc_lo, s28, v6
	v_lshlrev_b64 v[12:13], 4, v[4:5]
	v_add_co_ci_u32_e32 v11, vcc_lo, s29, v7, vcc_lo
	s_delay_alu instid0(VALU_DEP_4) | instskip(SKIP_1) | instid1(VALU_DEP_4)
	v_add_co_u32 v14, vcc_lo, s28, v8
	v_add_co_ci_u32_e32 v15, vcc_lo, s29, v9, vcc_lo
	v_add_co_u32 v30, vcc_lo, s28, v12
	v_add_co_ci_u32_e32 v31, vcc_lo, s29, v13, vcc_lo
	s_clause 0x3
	global_load_b128 v[4:7], v[10:11], off
	global_load_b128 v[8:11], v[10:11], off offset:48
	global_load_b128 v[12:15], v[14:15], off
	global_load_b128 v[44:47], v[30:31], off
	s_waitcnt vmcnt(2)
	v_mul_f64 v[34:35], v[10:11], -v[24:25]
	v_mul_f64 v[30:31], v[6:7], -v[24:25]
	v_mul_f64 v[6:7], v[22:23], v[6:7]
	v_mul_f64 v[10:11], v[22:23], v[10:11]
	s_waitcnt vmcnt(1)
	v_mul_f64 v[38:39], v[14:15], -v[24:25]
	v_mul_f64 v[14:15], v[22:23], v[14:15]
	s_waitcnt vmcnt(0)
	v_mul_f64 v[42:43], v[46:47], -v[24:25]
	v_mul_f64 v[46:47], v[22:23], v[46:47]
	v_fma_f64 v[34:35], v[22:23], v[8:9], v[34:35]
	v_fma_f64 v[30:31], v[22:23], v[4:5], v[30:31]
	v_fma_f64 v[32:33], v[24:25], v[4:5], v[6:7]
	v_fma_f64 v[36:37], v[24:25], v[8:9], v[10:11]
	v_fma_f64 v[38:39], v[22:23], v[12:13], v[38:39]
	v_fma_f64 v[40:41], v[24:25], v[12:13], v[14:15]
	v_fma_f64 v[42:43], v[22:23], v[44:45], v[42:43]
	v_fma_f64 v[44:45], v[24:25], v[44:45], v[46:47]
	v_sub_co_u32 v46, vcc_lo, v2, s5
	v_subrev_co_ci_u32_e32 v47, vcc_lo, 0, v3, vcc_lo
	v_sub_co_u32 v48, vcc_lo, v0, s5
	v_subrev_co_ci_u32_e32 v49, vcc_lo, 0, v1, vcc_lo
	s_branch .LBB227_23
.LBB227_22:                             ;   in Loop: Header=BB227_23 Depth=2
	s_or_b32 exec_lo, exec_lo, s11
	v_add_co_u32 v48, vcc_lo, v48, 1
	v_add_co_ci_u32_e32 v49, vcc_lo, 0, v49, vcc_lo
	s_delay_alu instid0(VALU_DEP_1) | instskip(SKIP_1) | instid1(SALU_CYCLE_1)
	v_cmp_ge_i64_e32 vcc_lo, v[48:49], v[46:47]
	s_or_b32 s10, vcc_lo, s10
	s_and_not1_b32 exec_lo, exec_lo, s10
	s_cbranch_execz .LBB227_19
.LBB227_23:                             ;   Parent Loop BB227_20 Depth=1
                                        ; =>  This Loop Header: Depth=2
                                        ;       Child Loop BB227_25 Depth 3
                                        ;         Child Loop BB227_31 Depth 4
                                        ;         Child Loop BB227_33 Depth 4
                                        ;         Child Loop BB227_39 Depth 4
                                        ;         Child Loop BB227_41 Depth 4
                                        ;       Child Loop BB227_45 Depth 3
                                        ;         Child Loop BB227_51 Depth 4
                                        ;         Child Loop BB227_53 Depth 4
                                        ;         Child Loop BB227_59 Depth 4
                                        ;         Child Loop BB227_61 Depth 4
	;; [unrolled: 5-line block ×4, first 2 shown]
	s_delay_alu instid0(VALU_DEP_1) | instskip(SKIP_1) | instid1(VALU_DEP_1)
	v_lshlrev_b64 v[0:1], 2, v[48:49]
	s_mov_b32 s11, 0
	v_or_b32_e32 v3, 0, v1
	s_delay_alu instid0(VALU_DEP_2) | instskip(NEXT) | instid1(VALU_DEP_1)
	v_or_b32_e32 v2, s8, v0
	v_lshlrev_b64 v[2:3], 4, v[2:3]
	s_delay_alu instid0(VALU_DEP_1) | instskip(NEXT) | instid1(VALU_DEP_2)
	v_add_co_u32 v2, vcc_lo, s46, v2
	v_add_co_ci_u32_e32 v3, vcc_lo, s47, v3, vcc_lo
	global_load_b128 v[12:15], v[2:3], off
	v_lshlrev_b64 v[2:3], 6, v[48:49]
	s_delay_alu instid0(VALU_DEP_1) | instskip(NEXT) | instid1(VALU_DEP_2)
	v_add_co_u32 v4, vcc_lo, s46, v2
	v_add_co_ci_u32_e32 v5, vcc_lo, s47, v3, vcc_lo
	v_add_co_u32 v2, vcc_lo, s44, v0
	v_add_co_ci_u32_e32 v3, vcc_lo, s45, v1, vcc_lo
	global_load_b128 v[8:11], v[4:5], off
	v_or_b32_e32 v1, 0, v1
	v_or_b32_e32 v0, s7, v0
	global_load_b32 v54, v[2:3], off
	v_lshlrev_b64 v[0:1], 4, v[0:1]
	s_delay_alu instid0(VALU_DEP_1) | instskip(NEXT) | instid1(VALU_DEP_2)
	v_add_co_u32 v0, vcc_lo, s46, v0
	v_add_co_ci_u32_e32 v1, vcc_lo, s47, v1, vcc_lo
	s_clause 0x1
	global_load_b128 v[0:3], v[0:1], off
	global_load_b128 v[4:7], v[4:5], off offset:48
	s_waitcnt vmcnt(4)
	v_mul_f64 v[50:51], v[14:15], -v[40:41]
	v_mul_f64 v[52:53], v[38:39], v[14:15]
	s_waitcnt vmcnt(2)
	v_subrev_nc_u32_e32 v62, s37, v54
	s_delay_alu instid0(VALU_DEP_1) | instskip(NEXT) | instid1(VALU_DEP_1)
	v_and_b32_e32 v63, 7, v62
	v_mov_b32_e32 v64, v63
	v_fma_f64 v[50:51], v[38:39], v[12:13], v[50:51]
	v_fma_f64 v[52:53], v[40:41], v[12:13], v[52:53]
	s_delay_alu instid0(VALU_DEP_2) | instskip(NEXT) | instid1(VALU_DEP_2)
	v_fma_f64 v[50:51], v[30:31], v[8:9], v[50:51]
	v_fma_f64 v[52:53], v[32:33], v[8:9], v[52:53]
	s_delay_alu instid0(VALU_DEP_2) | instskip(NEXT) | instid1(VALU_DEP_2)
	v_fma_f64 v[50:51], -v[32:33], v[10:11], v[50:51]
	v_fma_f64 v[52:53], v[30:31], v[10:11], v[52:53]
	s_branch .LBB227_25
.LBB227_24:                             ;   in Loop: Header=BB227_25 Depth=3
	s_or_b32 exec_lo, exec_lo, s12
	s_xor_b32 s12, s13, -1
	s_delay_alu instid0(SALU_CYCLE_1) | instskip(NEXT) | instid1(SALU_CYCLE_1)
	s_and_b32 s12, exec_lo, s12
	s_or_b32 s11, s12, s11
	s_delay_alu instid0(SALU_CYCLE_1)
	s_and_not1_b32 exec_lo, exec_lo, s11
	s_cbranch_execz .LBB227_43
.LBB227_25:                             ;   Parent Loop BB227_20 Depth=1
                                        ;     Parent Loop BB227_23 Depth=2
                                        ; =>    This Loop Header: Depth=3
                                        ;         Child Loop BB227_31 Depth 4
                                        ;         Child Loop BB227_33 Depth 4
	;; [unrolled: 1-line block ×4, first 2 shown]
	v_lshl_add_u32 v54, v64, 2, v57
	s_mov_b32 s12, exec_lo
                                        ; implicit-def: $sgpr13
	ds_load_b32 v55, v54
	s_waitcnt lgkmcnt(0)
	v_cmpx_ne_u32_e64 v55, v62
	s_xor_b32 s12, exec_lo, s12
	s_cbranch_execz .LBB227_37
; %bb.26:                               ;   in Loop: Header=BB227_25 Depth=3
	s_mov_b32 s14, exec_lo
                                        ; implicit-def: $sgpr13
	v_cmpx_ne_u32_e64 s6, v55
	s_xor_b32 s14, exec_lo, s14
; %bb.27:                               ;   in Loop: Header=BB227_25 Depth=3
	v_add_nc_u32_e32 v54, 1, v64
	s_mov_b32 s13, -1
	s_delay_alu instid0(VALU_DEP_1)
	v_and_b32_e32 v64, 7, v54
                                        ; implicit-def: $vgpr54
; %bb.28:                               ;   in Loop: Header=BB227_25 Depth=3
	s_and_not1_saveexec_b32 s14, s14
	s_cbranch_execz .LBB227_36
; %bb.29:                               ;   in Loop: Header=BB227_25 Depth=3
	v_mov_b32_e32 v55, s6
	s_mov_b32 s24, -1
	s_mov_b32 s15, exec_lo
	ds_cmpstore_rtn_b32 v54, v54, v62, v55
	s_waitcnt lgkmcnt(0)
	v_cmpx_eq_u32_e64 s6, v54
	s_cbranch_execz .LBB227_35
; %bb.30:                               ;   in Loop: Header=BB227_25 Depth=3
	v_lshlrev_b32_e32 v54, 6, v64
	s_mov_b32 s24, 0
	s_delay_alu instid0(VALU_DEP_1)
	v_add_nc_u32_e32 v65, v58, v54
	ds_load_b64 v[54:55], v65
.LBB227_31:                             ;   Parent Loop BB227_20 Depth=1
                                        ;     Parent Loop BB227_23 Depth=2
                                        ;       Parent Loop BB227_25 Depth=3
                                        ; =>      This Inner Loop Header: Depth=4
	s_waitcnt lgkmcnt(0)
	v_add_f64 v[66:67], v[54:55], v[50:51]
	ds_cmpstore_rtn_b64 v[66:67], v65, v[66:67], v[54:55]
	s_waitcnt lgkmcnt(0)
	v_cmp_eq_u64_e32 vcc_lo, v[66:67], v[54:55]
	v_dual_mov_b32 v54, v66 :: v_dual_mov_b32 v55, v67
	s_or_b32 s24, vcc_lo, s24
	s_delay_alu instid0(SALU_CYCLE_1)
	s_and_not1_b32 exec_lo, exec_lo, s24
	s_cbranch_execnz .LBB227_31
; %bb.32:                               ;   in Loop: Header=BB227_25 Depth=3
	s_or_b32 exec_lo, exec_lo, s24
	ds_load_b64 v[54:55], v65 offset:8
	s_mov_b32 s24, 0
.LBB227_33:                             ;   Parent Loop BB227_20 Depth=1
                                        ;     Parent Loop BB227_23 Depth=2
                                        ;       Parent Loop BB227_25 Depth=3
                                        ; =>      This Inner Loop Header: Depth=4
	s_waitcnt lgkmcnt(0)
	v_add_f64 v[66:67], v[54:55], v[52:53]
	ds_cmpstore_rtn_b64 v[66:67], v65, v[66:67], v[54:55] offset:8
	s_waitcnt lgkmcnt(0)
	v_cmp_eq_u64_e32 vcc_lo, v[66:67], v[54:55]
	v_dual_mov_b32 v54, v66 :: v_dual_mov_b32 v55, v67
	s_or_b32 s24, vcc_lo, s24
	s_delay_alu instid0(SALU_CYCLE_1)
	s_and_not1_b32 exec_lo, exec_lo, s24
	s_cbranch_execnz .LBB227_33
; %bb.34:                               ;   in Loop: Header=BB227_25 Depth=3
	s_or_b32 exec_lo, exec_lo, s24
	s_delay_alu instid0(SALU_CYCLE_1)
	s_xor_b32 s24, exec_lo, -1
.LBB227_35:                             ;   in Loop: Header=BB227_25 Depth=3
	s_or_b32 exec_lo, exec_lo, s15
	s_delay_alu instid0(SALU_CYCLE_1) | instskip(SKIP_1) | instid1(SALU_CYCLE_1)
	s_and_not1_b32 s13, s13, exec_lo
	s_and_b32 s15, s24, exec_lo
	s_or_b32 s13, s13, s15
.LBB227_36:                             ;   in Loop: Header=BB227_25 Depth=3
	s_or_b32 exec_lo, exec_lo, s14
	s_delay_alu instid0(SALU_CYCLE_1)
	s_and_b32 s13, s13, exec_lo
.LBB227_37:                             ;   in Loop: Header=BB227_25 Depth=3
	s_and_not1_saveexec_b32 s12, s12
	s_cbranch_execz .LBB227_24
; %bb.38:                               ;   in Loop: Header=BB227_25 Depth=3
	v_lshlrev_b32_e32 v54, 6, v64
	s_mov_b32 s14, 0
	s_delay_alu instid0(VALU_DEP_1)
	v_add_nc_u32_e32 v65, v58, v54
	ds_load_b64 v[54:55], v65
.LBB227_39:                             ;   Parent Loop BB227_20 Depth=1
                                        ;     Parent Loop BB227_23 Depth=2
                                        ;       Parent Loop BB227_25 Depth=3
                                        ; =>      This Inner Loop Header: Depth=4
	s_waitcnt lgkmcnt(0)
	v_add_f64 v[66:67], v[54:55], v[50:51]
	ds_cmpstore_rtn_b64 v[66:67], v65, v[66:67], v[54:55]
	s_waitcnt lgkmcnt(0)
	v_cmp_eq_u64_e32 vcc_lo, v[66:67], v[54:55]
	v_dual_mov_b32 v54, v66 :: v_dual_mov_b32 v55, v67
	s_or_b32 s14, vcc_lo, s14
	s_delay_alu instid0(SALU_CYCLE_1)
	s_and_not1_b32 exec_lo, exec_lo, s14
	s_cbranch_execnz .LBB227_39
; %bb.40:                               ;   in Loop: Header=BB227_25 Depth=3
	s_or_b32 exec_lo, exec_lo, s14
	ds_load_b64 v[54:55], v65 offset:8
	s_mov_b32 s14, 0
.LBB227_41:                             ;   Parent Loop BB227_20 Depth=1
                                        ;     Parent Loop BB227_23 Depth=2
                                        ;       Parent Loop BB227_25 Depth=3
                                        ; =>      This Inner Loop Header: Depth=4
	s_waitcnt lgkmcnt(0)
	v_add_f64 v[66:67], v[54:55], v[52:53]
	ds_cmpstore_rtn_b64 v[66:67], v65, v[66:67], v[54:55] offset:8
	s_waitcnt lgkmcnt(0)
	v_cmp_eq_u64_e32 vcc_lo, v[66:67], v[54:55]
	v_dual_mov_b32 v54, v66 :: v_dual_mov_b32 v55, v67
	s_or_b32 s14, vcc_lo, s14
	s_delay_alu instid0(SALU_CYCLE_1)
	s_and_not1_b32 exec_lo, exec_lo, s14
	s_cbranch_execnz .LBB227_41
; %bb.42:                               ;   in Loop: Header=BB227_25 Depth=3
	s_or_b32 exec_lo, exec_lo, s14
	s_delay_alu instid0(SALU_CYCLE_1)
	s_and_not1_b32 s13, s13, exec_lo
	s_branch .LBB227_24
.LBB227_43:                             ;   in Loop: Header=BB227_23 Depth=2
	s_or_b32 exec_lo, exec_lo, s11
	s_waitcnt vmcnt(0)
	v_mul_f64 v[50:51], v[6:7], -v[40:41]
	v_mul_f64 v[52:53], v[38:39], v[6:7]
	v_mov_b32_e32 v64, v63
	s_mov_b32 s11, 0
	s_delay_alu instid0(VALU_DEP_3) | instskip(NEXT) | instid1(VALU_DEP_3)
	v_fma_f64 v[50:51], v[38:39], v[4:5], v[50:51]
	v_fma_f64 v[52:53], v[40:41], v[4:5], v[52:53]
	s_delay_alu instid0(VALU_DEP_2) | instskip(NEXT) | instid1(VALU_DEP_2)
	v_fma_f64 v[50:51], v[30:31], v[0:1], v[50:51]
	v_fma_f64 v[52:53], v[32:33], v[0:1], v[52:53]
	s_delay_alu instid0(VALU_DEP_2) | instskip(NEXT) | instid1(VALU_DEP_2)
	v_fma_f64 v[50:51], -v[32:33], v[2:3], v[50:51]
	v_fma_f64 v[52:53], v[30:31], v[2:3], v[52:53]
	s_branch .LBB227_45
.LBB227_44:                             ;   in Loop: Header=BB227_45 Depth=3
	s_or_b32 exec_lo, exec_lo, s12
	s_xor_b32 s12, s13, -1
	s_delay_alu instid0(SALU_CYCLE_1) | instskip(NEXT) | instid1(SALU_CYCLE_1)
	s_and_b32 s12, exec_lo, s12
	s_or_b32 s11, s12, s11
	s_delay_alu instid0(SALU_CYCLE_1)
	s_and_not1_b32 exec_lo, exec_lo, s11
	s_cbranch_execz .LBB227_63
.LBB227_45:                             ;   Parent Loop BB227_20 Depth=1
                                        ;     Parent Loop BB227_23 Depth=2
                                        ; =>    This Loop Header: Depth=3
                                        ;         Child Loop BB227_51 Depth 4
                                        ;         Child Loop BB227_53 Depth 4
	;; [unrolled: 1-line block ×4, first 2 shown]
	v_lshl_add_u32 v54, v64, 2, v57
	s_mov_b32 s12, exec_lo
                                        ; implicit-def: $sgpr13
	ds_load_b32 v55, v54
	s_waitcnt lgkmcnt(0)
	v_cmpx_ne_u32_e64 v55, v62
	s_xor_b32 s12, exec_lo, s12
	s_cbranch_execz .LBB227_57
; %bb.46:                               ;   in Loop: Header=BB227_45 Depth=3
	s_mov_b32 s14, exec_lo
                                        ; implicit-def: $sgpr13
	v_cmpx_ne_u32_e64 s6, v55
	s_xor_b32 s14, exec_lo, s14
; %bb.47:                               ;   in Loop: Header=BB227_45 Depth=3
	v_add_nc_u32_e32 v54, 1, v64
	s_mov_b32 s13, -1
	s_delay_alu instid0(VALU_DEP_1)
	v_and_b32_e32 v64, 7, v54
                                        ; implicit-def: $vgpr54
; %bb.48:                               ;   in Loop: Header=BB227_45 Depth=3
	s_and_not1_saveexec_b32 s14, s14
	s_cbranch_execz .LBB227_56
; %bb.49:                               ;   in Loop: Header=BB227_45 Depth=3
	v_mov_b32_e32 v55, s6
	s_mov_b32 s24, -1
	s_mov_b32 s15, exec_lo
	ds_cmpstore_rtn_b32 v54, v54, v62, v55
	s_waitcnt lgkmcnt(0)
	v_cmpx_eq_u32_e64 s6, v54
	s_cbranch_execz .LBB227_55
; %bb.50:                               ;   in Loop: Header=BB227_45 Depth=3
	v_lshl_add_u32 v65, v64, 6, v59
	s_mov_b32 s24, 0
	ds_load_b64 v[54:55], v65
.LBB227_51:                             ;   Parent Loop BB227_20 Depth=1
                                        ;     Parent Loop BB227_23 Depth=2
                                        ;       Parent Loop BB227_45 Depth=3
                                        ; =>      This Inner Loop Header: Depth=4
	s_waitcnt lgkmcnt(0)
	v_add_f64 v[66:67], v[54:55], v[50:51]
	ds_cmpstore_rtn_b64 v[66:67], v65, v[66:67], v[54:55]
	s_waitcnt lgkmcnt(0)
	v_cmp_eq_u64_e32 vcc_lo, v[66:67], v[54:55]
	v_dual_mov_b32 v54, v66 :: v_dual_mov_b32 v55, v67
	s_or_b32 s24, vcc_lo, s24
	s_delay_alu instid0(SALU_CYCLE_1)
	s_and_not1_b32 exec_lo, exec_lo, s24
	s_cbranch_execnz .LBB227_51
; %bb.52:                               ;   in Loop: Header=BB227_45 Depth=3
	s_or_b32 exec_lo, exec_lo, s24
	ds_load_b64 v[54:55], v65 offset:8
	s_mov_b32 s24, 0
.LBB227_53:                             ;   Parent Loop BB227_20 Depth=1
                                        ;     Parent Loop BB227_23 Depth=2
                                        ;       Parent Loop BB227_45 Depth=3
                                        ; =>      This Inner Loop Header: Depth=4
	s_waitcnt lgkmcnt(0)
	v_add_f64 v[66:67], v[54:55], v[52:53]
	ds_cmpstore_rtn_b64 v[66:67], v65, v[66:67], v[54:55] offset:8
	s_waitcnt lgkmcnt(0)
	v_cmp_eq_u64_e32 vcc_lo, v[66:67], v[54:55]
	v_dual_mov_b32 v54, v66 :: v_dual_mov_b32 v55, v67
	s_or_b32 s24, vcc_lo, s24
	s_delay_alu instid0(SALU_CYCLE_1)
	s_and_not1_b32 exec_lo, exec_lo, s24
	s_cbranch_execnz .LBB227_53
; %bb.54:                               ;   in Loop: Header=BB227_45 Depth=3
	s_or_b32 exec_lo, exec_lo, s24
	s_delay_alu instid0(SALU_CYCLE_1)
	s_xor_b32 s24, exec_lo, -1
.LBB227_55:                             ;   in Loop: Header=BB227_45 Depth=3
	s_or_b32 exec_lo, exec_lo, s15
	s_delay_alu instid0(SALU_CYCLE_1) | instskip(SKIP_1) | instid1(SALU_CYCLE_1)
	s_and_not1_b32 s13, s13, exec_lo
	s_and_b32 s15, s24, exec_lo
	s_or_b32 s13, s13, s15
.LBB227_56:                             ;   in Loop: Header=BB227_45 Depth=3
	s_or_b32 exec_lo, exec_lo, s14
	s_delay_alu instid0(SALU_CYCLE_1)
	s_and_b32 s13, s13, exec_lo
.LBB227_57:                             ;   in Loop: Header=BB227_45 Depth=3
	s_and_not1_saveexec_b32 s12, s12
	s_cbranch_execz .LBB227_44
; %bb.58:                               ;   in Loop: Header=BB227_45 Depth=3
	v_lshl_add_u32 v65, v64, 6, v59
	s_mov_b32 s14, 0
	ds_load_b64 v[54:55], v65
.LBB227_59:                             ;   Parent Loop BB227_20 Depth=1
                                        ;     Parent Loop BB227_23 Depth=2
                                        ;       Parent Loop BB227_45 Depth=3
                                        ; =>      This Inner Loop Header: Depth=4
	s_waitcnt lgkmcnt(0)
	v_add_f64 v[66:67], v[54:55], v[50:51]
	ds_cmpstore_rtn_b64 v[66:67], v65, v[66:67], v[54:55]
	s_waitcnt lgkmcnt(0)
	v_cmp_eq_u64_e32 vcc_lo, v[66:67], v[54:55]
	v_dual_mov_b32 v54, v66 :: v_dual_mov_b32 v55, v67
	s_or_b32 s14, vcc_lo, s14
	s_delay_alu instid0(SALU_CYCLE_1)
	s_and_not1_b32 exec_lo, exec_lo, s14
	s_cbranch_execnz .LBB227_59
; %bb.60:                               ;   in Loop: Header=BB227_45 Depth=3
	s_or_b32 exec_lo, exec_lo, s14
	ds_load_b64 v[54:55], v65 offset:8
	s_mov_b32 s14, 0
.LBB227_61:                             ;   Parent Loop BB227_20 Depth=1
                                        ;     Parent Loop BB227_23 Depth=2
                                        ;       Parent Loop BB227_45 Depth=3
                                        ; =>      This Inner Loop Header: Depth=4
	s_waitcnt lgkmcnt(0)
	v_add_f64 v[66:67], v[54:55], v[52:53]
	ds_cmpstore_rtn_b64 v[66:67], v65, v[66:67], v[54:55] offset:8
	s_waitcnt lgkmcnt(0)
	v_cmp_eq_u64_e32 vcc_lo, v[66:67], v[54:55]
	v_dual_mov_b32 v54, v66 :: v_dual_mov_b32 v55, v67
	s_or_b32 s14, vcc_lo, s14
	s_delay_alu instid0(SALU_CYCLE_1)
	s_and_not1_b32 exec_lo, exec_lo, s14
	s_cbranch_execnz .LBB227_61
; %bb.62:                               ;   in Loop: Header=BB227_45 Depth=3
	s_or_b32 exec_lo, exec_lo, s14
	s_delay_alu instid0(SALU_CYCLE_1)
	s_and_not1_b32 s13, s13, exec_lo
	s_branch .LBB227_44
.LBB227_63:                             ;   in Loop: Header=BB227_23 Depth=2
	s_or_b32 exec_lo, exec_lo, s11
	v_mul_f64 v[50:51], v[14:15], -v[36:37]
	v_mul_f64 v[14:15], v[34:35], v[14:15]
	s_mov_b32 s11, 0
	s_delay_alu instid0(VALU_DEP_2) | instskip(NEXT) | instid1(VALU_DEP_2)
	v_fma_f64 v[50:51], v[34:35], v[12:13], v[50:51]
	v_fma_f64 v[12:13], v[36:37], v[12:13], v[14:15]
	s_delay_alu instid0(VALU_DEP_2) | instskip(NEXT) | instid1(VALU_DEP_2)
	v_fma_f64 v[14:15], v[42:43], v[8:9], v[50:51]
	v_fma_f64 v[12:13], v[44:45], v[8:9], v[12:13]
	s_delay_alu instid0(VALU_DEP_2) | instskip(NEXT) | instid1(VALU_DEP_2)
	v_fma_f64 v[8:9], -v[44:45], v[10:11], v[14:15]
	v_fma_f64 v[10:11], v[42:43], v[10:11], v[12:13]
	v_mov_b32_e32 v14, v63
	s_branch .LBB227_65
.LBB227_64:                             ;   in Loop: Header=BB227_65 Depth=3
	s_or_b32 exec_lo, exec_lo, s12
	s_xor_b32 s12, s13, -1
	s_delay_alu instid0(SALU_CYCLE_1) | instskip(NEXT) | instid1(SALU_CYCLE_1)
	s_and_b32 s12, exec_lo, s12
	s_or_b32 s11, s12, s11
	s_delay_alu instid0(SALU_CYCLE_1)
	s_and_not1_b32 exec_lo, exec_lo, s11
	s_cbranch_execz .LBB227_83
.LBB227_65:                             ;   Parent Loop BB227_20 Depth=1
                                        ;     Parent Loop BB227_23 Depth=2
                                        ; =>    This Loop Header: Depth=3
                                        ;         Child Loop BB227_71 Depth 4
                                        ;         Child Loop BB227_73 Depth 4
	;; [unrolled: 1-line block ×4, first 2 shown]
	s_delay_alu instid0(VALU_DEP_1)
	v_lshl_add_u32 v12, v14, 2, v57
	s_mov_b32 s12, exec_lo
                                        ; implicit-def: $sgpr13
	ds_load_b32 v13, v12
	s_waitcnt lgkmcnt(0)
	v_cmpx_ne_u32_e64 v13, v62
	s_xor_b32 s12, exec_lo, s12
	s_cbranch_execz .LBB227_77
; %bb.66:                               ;   in Loop: Header=BB227_65 Depth=3
	s_mov_b32 s14, exec_lo
                                        ; implicit-def: $sgpr13
	v_cmpx_ne_u32_e64 s6, v13
	s_xor_b32 s14, exec_lo, s14
; %bb.67:                               ;   in Loop: Header=BB227_65 Depth=3
	v_add_nc_u32_e32 v12, 1, v14
	s_mov_b32 s13, -1
	s_delay_alu instid0(VALU_DEP_1)
	v_and_b32_e32 v14, 7, v12
                                        ; implicit-def: $vgpr12
; %bb.68:                               ;   in Loop: Header=BB227_65 Depth=3
	s_and_not1_saveexec_b32 s14, s14
	s_cbranch_execz .LBB227_76
; %bb.69:                               ;   in Loop: Header=BB227_65 Depth=3
	v_mov_b32_e32 v13, s6
	s_mov_b32 s24, -1
	s_mov_b32 s15, exec_lo
	ds_cmpstore_rtn_b32 v12, v12, v62, v13
	s_waitcnt lgkmcnt(0)
	v_cmpx_eq_u32_e64 s6, v12
	s_cbranch_execz .LBB227_75
; %bb.70:                               ;   in Loop: Header=BB227_65 Depth=3
	v_lshl_add_u32 v15, v14, 6, v60
	s_mov_b32 s24, 0
	ds_load_b64 v[12:13], v15
.LBB227_71:                             ;   Parent Loop BB227_20 Depth=1
                                        ;     Parent Loop BB227_23 Depth=2
                                        ;       Parent Loop BB227_65 Depth=3
                                        ; =>      This Inner Loop Header: Depth=4
	s_waitcnt lgkmcnt(0)
	v_add_f64 v[50:51], v[12:13], v[8:9]
	ds_cmpstore_rtn_b64 v[50:51], v15, v[50:51], v[12:13]
	s_waitcnt lgkmcnt(0)
	v_cmp_eq_u64_e32 vcc_lo, v[50:51], v[12:13]
	v_dual_mov_b32 v12, v50 :: v_dual_mov_b32 v13, v51
	s_or_b32 s24, vcc_lo, s24
	s_delay_alu instid0(SALU_CYCLE_1)
	s_and_not1_b32 exec_lo, exec_lo, s24
	s_cbranch_execnz .LBB227_71
; %bb.72:                               ;   in Loop: Header=BB227_65 Depth=3
	s_or_b32 exec_lo, exec_lo, s24
	ds_load_b64 v[12:13], v15 offset:8
	s_mov_b32 s24, 0
.LBB227_73:                             ;   Parent Loop BB227_20 Depth=1
                                        ;     Parent Loop BB227_23 Depth=2
                                        ;       Parent Loop BB227_65 Depth=3
                                        ; =>      This Inner Loop Header: Depth=4
	s_waitcnt lgkmcnt(0)
	v_add_f64 v[50:51], v[12:13], v[10:11]
	ds_cmpstore_rtn_b64 v[50:51], v15, v[50:51], v[12:13] offset:8
	s_waitcnt lgkmcnt(0)
	v_cmp_eq_u64_e32 vcc_lo, v[50:51], v[12:13]
	v_dual_mov_b32 v12, v50 :: v_dual_mov_b32 v13, v51
	s_or_b32 s24, vcc_lo, s24
	s_delay_alu instid0(SALU_CYCLE_1)
	s_and_not1_b32 exec_lo, exec_lo, s24
	s_cbranch_execnz .LBB227_73
; %bb.74:                               ;   in Loop: Header=BB227_65 Depth=3
	s_or_b32 exec_lo, exec_lo, s24
	s_delay_alu instid0(SALU_CYCLE_1)
	s_xor_b32 s24, exec_lo, -1
.LBB227_75:                             ;   in Loop: Header=BB227_65 Depth=3
	s_or_b32 exec_lo, exec_lo, s15
	s_delay_alu instid0(SALU_CYCLE_1) | instskip(SKIP_1) | instid1(SALU_CYCLE_1)
	s_and_not1_b32 s13, s13, exec_lo
	s_and_b32 s15, s24, exec_lo
	s_or_b32 s13, s13, s15
.LBB227_76:                             ;   in Loop: Header=BB227_65 Depth=3
	s_or_b32 exec_lo, exec_lo, s14
	s_delay_alu instid0(SALU_CYCLE_1)
	s_and_b32 s13, s13, exec_lo
.LBB227_77:                             ;   in Loop: Header=BB227_65 Depth=3
	s_and_not1_saveexec_b32 s12, s12
	s_cbranch_execz .LBB227_64
; %bb.78:                               ;   in Loop: Header=BB227_65 Depth=3
	v_lshl_add_u32 v15, v14, 6, v60
	s_mov_b32 s14, 0
	ds_load_b64 v[12:13], v15
.LBB227_79:                             ;   Parent Loop BB227_20 Depth=1
                                        ;     Parent Loop BB227_23 Depth=2
                                        ;       Parent Loop BB227_65 Depth=3
                                        ; =>      This Inner Loop Header: Depth=4
	s_waitcnt lgkmcnt(0)
	v_add_f64 v[50:51], v[12:13], v[8:9]
	ds_cmpstore_rtn_b64 v[50:51], v15, v[50:51], v[12:13]
	s_waitcnt lgkmcnt(0)
	v_cmp_eq_u64_e32 vcc_lo, v[50:51], v[12:13]
	v_dual_mov_b32 v12, v50 :: v_dual_mov_b32 v13, v51
	s_or_b32 s14, vcc_lo, s14
	s_delay_alu instid0(SALU_CYCLE_1)
	s_and_not1_b32 exec_lo, exec_lo, s14
	s_cbranch_execnz .LBB227_79
; %bb.80:                               ;   in Loop: Header=BB227_65 Depth=3
	s_or_b32 exec_lo, exec_lo, s14
	ds_load_b64 v[12:13], v15 offset:8
	s_mov_b32 s14, 0
.LBB227_81:                             ;   Parent Loop BB227_20 Depth=1
                                        ;     Parent Loop BB227_23 Depth=2
                                        ;       Parent Loop BB227_65 Depth=3
                                        ; =>      This Inner Loop Header: Depth=4
	s_waitcnt lgkmcnt(0)
	v_add_f64 v[50:51], v[12:13], v[10:11]
	ds_cmpstore_rtn_b64 v[50:51], v15, v[50:51], v[12:13] offset:8
	s_waitcnt lgkmcnt(0)
	v_cmp_eq_u64_e32 vcc_lo, v[50:51], v[12:13]
	v_dual_mov_b32 v12, v50 :: v_dual_mov_b32 v13, v51
	s_or_b32 s14, vcc_lo, s14
	s_delay_alu instid0(SALU_CYCLE_1)
	s_and_not1_b32 exec_lo, exec_lo, s14
	s_cbranch_execnz .LBB227_81
; %bb.82:                               ;   in Loop: Header=BB227_65 Depth=3
	s_or_b32 exec_lo, exec_lo, s14
	s_delay_alu instid0(SALU_CYCLE_1)
	s_and_not1_b32 s13, s13, exec_lo
	s_branch .LBB227_64
.LBB227_83:                             ;   in Loop: Header=BB227_23 Depth=2
	s_or_b32 exec_lo, exec_lo, s11
	v_mul_f64 v[8:9], v[6:7], -v[36:37]
	v_mul_f64 v[6:7], v[34:35], v[6:7]
	s_mov_b32 s11, 0
	s_delay_alu instid0(VALU_DEP_2) | instskip(NEXT) | instid1(VALU_DEP_2)
	v_fma_f64 v[8:9], v[34:35], v[4:5], v[8:9]
	v_fma_f64 v[4:5], v[36:37], v[4:5], v[6:7]
	s_delay_alu instid0(VALU_DEP_2) | instskip(NEXT) | instid1(VALU_DEP_2)
	v_fma_f64 v[6:7], v[42:43], v[0:1], v[8:9]
	v_fma_f64 v[4:5], v[44:45], v[0:1], v[4:5]
	s_delay_alu instid0(VALU_DEP_2) | instskip(NEXT) | instid1(VALU_DEP_2)
	v_fma_f64 v[0:1], -v[44:45], v[2:3], v[6:7]
	v_fma_f64 v[2:3], v[42:43], v[2:3], v[4:5]
	s_branch .LBB227_85
.LBB227_84:                             ;   in Loop: Header=BB227_85 Depth=3
	s_or_b32 exec_lo, exec_lo, s12
	s_xor_b32 s12, s13, -1
	s_delay_alu instid0(SALU_CYCLE_1) | instskip(NEXT) | instid1(SALU_CYCLE_1)
	s_and_b32 s12, exec_lo, s12
	s_or_b32 s11, s12, s11
	s_delay_alu instid0(SALU_CYCLE_1)
	s_and_not1_b32 exec_lo, exec_lo, s11
	s_cbranch_execz .LBB227_22
.LBB227_85:                             ;   Parent Loop BB227_20 Depth=1
                                        ;     Parent Loop BB227_23 Depth=2
                                        ; =>    This Loop Header: Depth=3
                                        ;         Child Loop BB227_91 Depth 4
                                        ;         Child Loop BB227_93 Depth 4
	;; [unrolled: 1-line block ×4, first 2 shown]
	v_lshl_add_u32 v4, v63, 2, v57
	s_mov_b32 s12, exec_lo
                                        ; implicit-def: $sgpr13
	ds_load_b32 v5, v4
	s_waitcnt lgkmcnt(0)
	v_cmpx_ne_u32_e64 v5, v62
	s_xor_b32 s12, exec_lo, s12
	s_cbranch_execz .LBB227_97
; %bb.86:                               ;   in Loop: Header=BB227_85 Depth=3
	s_mov_b32 s14, exec_lo
                                        ; implicit-def: $sgpr13
	v_cmpx_ne_u32_e64 s6, v5
	s_xor_b32 s14, exec_lo, s14
; %bb.87:                               ;   in Loop: Header=BB227_85 Depth=3
	v_add_nc_u32_e32 v4, 1, v63
	s_mov_b32 s13, -1
	s_delay_alu instid0(VALU_DEP_1)
	v_and_b32_e32 v63, 7, v4
                                        ; implicit-def: $vgpr4
; %bb.88:                               ;   in Loop: Header=BB227_85 Depth=3
	s_and_not1_saveexec_b32 s14, s14
	s_cbranch_execz .LBB227_96
; %bb.89:                               ;   in Loop: Header=BB227_85 Depth=3
	v_mov_b32_e32 v5, s6
	s_mov_b32 s24, -1
	s_mov_b32 s15, exec_lo
	ds_cmpstore_rtn_b32 v4, v4, v62, v5
	s_waitcnt lgkmcnt(0)
	v_cmpx_eq_u32_e64 s6, v4
	s_cbranch_execz .LBB227_95
; %bb.90:                               ;   in Loop: Header=BB227_85 Depth=3
	v_lshl_add_u32 v6, v63, 6, v61
	s_mov_b32 s24, 0
	ds_load_b64 v[4:5], v6
.LBB227_91:                             ;   Parent Loop BB227_20 Depth=1
                                        ;     Parent Loop BB227_23 Depth=2
                                        ;       Parent Loop BB227_85 Depth=3
                                        ; =>      This Inner Loop Header: Depth=4
	s_waitcnt lgkmcnt(0)
	v_add_f64 v[7:8], v[4:5], v[0:1]
	ds_cmpstore_rtn_b64 v[7:8], v6, v[7:8], v[4:5]
	s_waitcnt lgkmcnt(0)
	v_cmp_eq_u64_e32 vcc_lo, v[7:8], v[4:5]
	v_dual_mov_b32 v4, v7 :: v_dual_mov_b32 v5, v8
	s_or_b32 s24, vcc_lo, s24
	s_delay_alu instid0(SALU_CYCLE_1)
	s_and_not1_b32 exec_lo, exec_lo, s24
	s_cbranch_execnz .LBB227_91
; %bb.92:                               ;   in Loop: Header=BB227_85 Depth=3
	s_or_b32 exec_lo, exec_lo, s24
	ds_load_b64 v[4:5], v6 offset:8
	s_mov_b32 s24, 0
.LBB227_93:                             ;   Parent Loop BB227_20 Depth=1
                                        ;     Parent Loop BB227_23 Depth=2
                                        ;       Parent Loop BB227_85 Depth=3
                                        ; =>      This Inner Loop Header: Depth=4
	s_waitcnt lgkmcnt(0)
	v_add_f64 v[7:8], v[4:5], v[2:3]
	ds_cmpstore_rtn_b64 v[7:8], v6, v[7:8], v[4:5] offset:8
	s_waitcnt lgkmcnt(0)
	v_cmp_eq_u64_e32 vcc_lo, v[7:8], v[4:5]
	v_dual_mov_b32 v4, v7 :: v_dual_mov_b32 v5, v8
	s_or_b32 s24, vcc_lo, s24
	s_delay_alu instid0(SALU_CYCLE_1)
	s_and_not1_b32 exec_lo, exec_lo, s24
	s_cbranch_execnz .LBB227_93
; %bb.94:                               ;   in Loop: Header=BB227_85 Depth=3
	s_or_b32 exec_lo, exec_lo, s24
	s_delay_alu instid0(SALU_CYCLE_1)
	s_xor_b32 s24, exec_lo, -1
.LBB227_95:                             ;   in Loop: Header=BB227_85 Depth=3
	s_or_b32 exec_lo, exec_lo, s15
	s_delay_alu instid0(SALU_CYCLE_1) | instskip(SKIP_1) | instid1(SALU_CYCLE_1)
	s_and_not1_b32 s13, s13, exec_lo
	s_and_b32 s15, s24, exec_lo
	s_or_b32 s13, s13, s15
.LBB227_96:                             ;   in Loop: Header=BB227_85 Depth=3
	s_or_b32 exec_lo, exec_lo, s14
	s_delay_alu instid0(SALU_CYCLE_1)
	s_and_b32 s13, s13, exec_lo
.LBB227_97:                             ;   in Loop: Header=BB227_85 Depth=3
	s_and_not1_saveexec_b32 s12, s12
	s_cbranch_execz .LBB227_84
; %bb.98:                               ;   in Loop: Header=BB227_85 Depth=3
	v_lshl_add_u32 v6, v63, 6, v61
	s_mov_b32 s14, 0
	ds_load_b64 v[4:5], v6
.LBB227_99:                             ;   Parent Loop BB227_20 Depth=1
                                        ;     Parent Loop BB227_23 Depth=2
                                        ;       Parent Loop BB227_85 Depth=3
                                        ; =>      This Inner Loop Header: Depth=4
	s_waitcnt lgkmcnt(0)
	v_add_f64 v[7:8], v[4:5], v[0:1]
	ds_cmpstore_rtn_b64 v[7:8], v6, v[7:8], v[4:5]
	s_waitcnt lgkmcnt(0)
	v_cmp_eq_u64_e32 vcc_lo, v[7:8], v[4:5]
	v_dual_mov_b32 v4, v7 :: v_dual_mov_b32 v5, v8
	s_or_b32 s14, vcc_lo, s14
	s_delay_alu instid0(SALU_CYCLE_1)
	s_and_not1_b32 exec_lo, exec_lo, s14
	s_cbranch_execnz .LBB227_99
; %bb.100:                              ;   in Loop: Header=BB227_85 Depth=3
	s_or_b32 exec_lo, exec_lo, s14
	ds_load_b64 v[4:5], v6 offset:8
	s_mov_b32 s14, 0
.LBB227_101:                            ;   Parent Loop BB227_20 Depth=1
                                        ;     Parent Loop BB227_23 Depth=2
                                        ;       Parent Loop BB227_85 Depth=3
                                        ; =>      This Inner Loop Header: Depth=4
	s_waitcnt lgkmcnt(0)
	v_add_f64 v[7:8], v[4:5], v[2:3]
	ds_cmpstore_rtn_b64 v[7:8], v6, v[7:8], v[4:5] offset:8
	s_waitcnt lgkmcnt(0)
	v_cmp_eq_u64_e32 vcc_lo, v[7:8], v[4:5]
	v_dual_mov_b32 v4, v7 :: v_dual_mov_b32 v5, v8
	s_or_b32 s14, vcc_lo, s14
	s_delay_alu instid0(SALU_CYCLE_1)
	s_and_not1_b32 exec_lo, exec_lo, s14
	s_cbranch_execnz .LBB227_101
; %bb.102:                              ;   in Loop: Header=BB227_85 Depth=3
	s_or_b32 exec_lo, exec_lo, s14
	s_delay_alu instid0(SALU_CYCLE_1)
	s_and_not1_b32 s13, s13, exec_lo
	s_branch .LBB227_84
.LBB227_103:
	s_or_b32 exec_lo, exec_lo, s2
	s_delay_alu instid0(SALU_CYCLE_1)
	s_and_not1_b32 vcc_lo, exec_lo, s1
	buffer_gl0_inv
	s_cbranch_vccnz .LBB227_15
.LBB227_104:
	v_lshlrev_b64 v[0:1], 3, v[20:21]
	v_sub_co_u32 v4, s1, v56, s39
	s_delay_alu instid0(VALU_DEP_1) | instskip(SKIP_1) | instid1(VALU_DEP_3)
	v_sub_co_ci_u32_e64 v5, null, 0, 0, s1
	s_mov_b32 s2, 0
	v_add_co_u32 v0, vcc_lo, s16, v0
	s_delay_alu instid0(VALU_DEP_4)
	v_add_co_ci_u32_e32 v1, vcc_lo, s17, v1, vcc_lo
	s_mov_b32 s1, exec_lo
	global_load_b128 v[0:3], v[0:1], off
	s_waitcnt vmcnt(0)
	v_sub_co_u32 v12, vcc_lo, v2, s39
	v_subrev_co_ci_u32_e32 v13, vcc_lo, 0, v3, vcc_lo
	v_add_co_u32 v14, vcc_lo, v0, v4
	v_add_co_ci_u32_e32 v15, vcc_lo, v1, v5, vcc_lo
	s_delay_alu instid0(VALU_DEP_1)
	v_cmpx_lt_i64_e64 v[14:15], v[12:13]
	s_cbranch_execz .LBB227_187
; %bb.105:
	v_add_nc_u32_e32 v28, 16, v58
	v_add_nc_u32_e32 v29, 32, v58
	;; [unrolled: 1-line block ×3, first 2 shown]
	s_cmp_eq_u32 s4, 0
	s_cselect_b32 s3, 1, 2
	s_cselect_b32 s5, 2, 1
	s_branch .LBB227_107
.LBB227_106:                            ;   in Loop: Header=BB227_107 Depth=1
	s_or_b32 exec_lo, exec_lo, s7
	v_add_co_u32 v14, vcc_lo, v14, 16
	v_add_co_ci_u32_e32 v15, vcc_lo, 0, v15, vcc_lo
	s_delay_alu instid0(VALU_DEP_1) | instskip(SKIP_1) | instid1(SALU_CYCLE_1)
	v_cmp_ge_i64_e32 vcc_lo, v[14:15], v[12:13]
	s_or_b32 s2, vcc_lo, s2
	s_and_not1_b32 exec_lo, exec_lo, s2
	s_cbranch_execz .LBB227_187
.LBB227_107:                            ; =>This Loop Header: Depth=1
                                        ;     Child Loop BB227_109 Depth 2
                                        ;       Child Loop BB227_115 Depth 3
                                        ;       Child Loop BB227_117 Depth 3
                                        ;       Child Loop BB227_123 Depth 3
                                        ;       Child Loop BB227_125 Depth 3
                                        ;     Child Loop BB227_129 Depth 2
                                        ;       Child Loop BB227_135 Depth 3
                                        ;       Child Loop BB227_137 Depth 3
                                        ;       Child Loop BB227_143 Depth 3
                                        ;       Child Loop BB227_145 Depth 3
	;; [unrolled: 5-line block ×4, first 2 shown]
	v_lshlrev_b64 v[0:1], 6, v[14:15]
	v_lshlrev_b64 v[2:3], 2, v[14:15]
	s_mov_b32 s7, 0
	s_delay_alu instid0(VALU_DEP_2) | instskip(NEXT) | instid1(VALU_DEP_3)
	v_add_co_u32 v0, vcc_lo, s20, v0
	v_add_co_ci_u32_e32 v1, vcc_lo, s21, v1, vcc_lo
	s_delay_alu instid0(VALU_DEP_3) | instskip(NEXT) | instid1(VALU_DEP_4)
	v_add_co_u32 v6, vcc_lo, s18, v2
	v_or_b32_e32 v5, 0, v3
	global_load_b128 v[24:27], v[0:1], off
	v_or_b32_e32 v4, s3, v2
	v_add_co_ci_u32_e32 v7, vcc_lo, s19, v3, vcc_lo
	v_or_b32_e32 v3, 0, v3
	v_or_b32_e32 v2, s5, v2
	s_delay_alu instid0(VALU_DEP_4) | instskip(SKIP_4) | instid1(VALU_DEP_3)
	v_lshlrev_b64 v[4:5], 4, v[4:5]
	global_load_b32 v31, v[6:7], off
	v_lshlrev_b64 v[2:3], 4, v[2:3]
	v_add_co_u32 v4, vcc_lo, s20, v4
	v_add_co_ci_u32_e32 v5, vcc_lo, s21, v5, vcc_lo
	v_add_co_u32 v6, vcc_lo, s20, v2
	s_delay_alu instid0(VALU_DEP_4)
	v_add_co_ci_u32_e32 v7, vcc_lo, s21, v3, vcc_lo
	s_clause 0x2
	global_load_b128 v[0:3], v[0:1], off offset:48
	global_load_b128 v[8:11], v[4:5], off
	global_load_b128 v[4:7], v[6:7], off
	s_waitcnt vmcnt(4)
	v_mul_f64 v[22:23], v[26:27], -v[16:17]
	v_mul_f64 v[26:27], v[18:19], v[26:27]
	s_waitcnt vmcnt(3)
	v_subrev_nc_u32_e32 v31, s39, v31
	s_delay_alu instid0(VALU_DEP_1) | instskip(NEXT) | instid1(VALU_DEP_1)
	v_and_b32_e32 v32, 7, v31
	v_mov_b32_e32 v33, v32
	v_fma_f64 v[22:23], v[18:19], v[24:25], v[22:23]
	v_fma_f64 v[24:25], v[16:17], v[24:25], v[26:27]
	s_branch .LBB227_109
.LBB227_108:                            ;   in Loop: Header=BB227_109 Depth=2
	s_or_b32 exec_lo, exec_lo, s8
	s_xor_b32 s8, s9, -1
	s_delay_alu instid0(SALU_CYCLE_1) | instskip(NEXT) | instid1(SALU_CYCLE_1)
	s_and_b32 s8, exec_lo, s8
	s_or_b32 s7, s8, s7
	s_delay_alu instid0(SALU_CYCLE_1)
	s_and_not1_b32 exec_lo, exec_lo, s7
	s_cbranch_execz .LBB227_127
.LBB227_109:                            ;   Parent Loop BB227_107 Depth=1
                                        ; =>  This Loop Header: Depth=2
                                        ;       Child Loop BB227_115 Depth 3
                                        ;       Child Loop BB227_117 Depth 3
	;; [unrolled: 1-line block ×4, first 2 shown]
	s_delay_alu instid0(VALU_DEP_3)
	v_lshl_add_u32 v26, v33, 2, v57
	s_mov_b32 s8, exec_lo
                                        ; implicit-def: $sgpr9
	ds_load_b32 v27, v26
	s_waitcnt lgkmcnt(0)
	v_cmpx_ne_u32_e64 v27, v31
	s_xor_b32 s8, exec_lo, s8
	s_cbranch_execz .LBB227_121
; %bb.110:                              ;   in Loop: Header=BB227_109 Depth=2
	s_mov_b32 s10, exec_lo
                                        ; implicit-def: $sgpr9
	v_cmpx_ne_u32_e64 s6, v27
	s_xor_b32 s10, exec_lo, s10
; %bb.111:                              ;   in Loop: Header=BB227_109 Depth=2
	v_add_nc_u32_e32 v26, 1, v33
	s_mov_b32 s9, -1
	s_delay_alu instid0(VALU_DEP_1)
	v_and_b32_e32 v33, 7, v26
                                        ; implicit-def: $vgpr26
; %bb.112:                              ;   in Loop: Header=BB227_109 Depth=2
	s_and_not1_saveexec_b32 s10, s10
	s_cbranch_execz .LBB227_120
; %bb.113:                              ;   in Loop: Header=BB227_109 Depth=2
	v_mov_b32_e32 v27, s6
	s_mov_b32 s12, -1
	s_mov_b32 s11, exec_lo
	ds_cmpstore_rtn_b32 v26, v26, v31, v27
	s_waitcnt lgkmcnt(0)
	v_cmpx_eq_u32_e64 s6, v26
	s_cbranch_execz .LBB227_119
; %bb.114:                              ;   in Loop: Header=BB227_109 Depth=2
	v_lshlrev_b32_e32 v26, 6, v33
	s_mov_b32 s12, 0
	s_delay_alu instid0(VALU_DEP_1)
	v_add_nc_u32_e32 v34, v58, v26
	ds_load_b64 v[26:27], v34
.LBB227_115:                            ;   Parent Loop BB227_107 Depth=1
                                        ;     Parent Loop BB227_109 Depth=2
                                        ; =>    This Inner Loop Header: Depth=3
	s_waitcnt lgkmcnt(0)
	v_add_f64 v[35:36], v[26:27], v[22:23]
	ds_cmpstore_rtn_b64 v[35:36], v34, v[35:36], v[26:27]
	s_waitcnt lgkmcnt(0)
	v_cmp_eq_u64_e32 vcc_lo, v[35:36], v[26:27]
	v_dual_mov_b32 v26, v35 :: v_dual_mov_b32 v27, v36
	s_or_b32 s12, vcc_lo, s12
	s_delay_alu instid0(SALU_CYCLE_1)
	s_and_not1_b32 exec_lo, exec_lo, s12
	s_cbranch_execnz .LBB227_115
; %bb.116:                              ;   in Loop: Header=BB227_109 Depth=2
	s_or_b32 exec_lo, exec_lo, s12
	ds_load_b64 v[26:27], v34 offset:8
	s_mov_b32 s12, 0
.LBB227_117:                            ;   Parent Loop BB227_107 Depth=1
                                        ;     Parent Loop BB227_109 Depth=2
                                        ; =>    This Inner Loop Header: Depth=3
	s_waitcnt lgkmcnt(0)
	v_add_f64 v[35:36], v[26:27], v[24:25]
	ds_cmpstore_rtn_b64 v[35:36], v34, v[35:36], v[26:27] offset:8
	s_waitcnt lgkmcnt(0)
	v_cmp_eq_u64_e32 vcc_lo, v[35:36], v[26:27]
	v_dual_mov_b32 v26, v35 :: v_dual_mov_b32 v27, v36
	s_or_b32 s12, vcc_lo, s12
	s_delay_alu instid0(SALU_CYCLE_1)
	s_and_not1_b32 exec_lo, exec_lo, s12
	s_cbranch_execnz .LBB227_117
; %bb.118:                              ;   in Loop: Header=BB227_109 Depth=2
	s_or_b32 exec_lo, exec_lo, s12
	s_delay_alu instid0(SALU_CYCLE_1)
	s_xor_b32 s12, exec_lo, -1
.LBB227_119:                            ;   in Loop: Header=BB227_109 Depth=2
	s_or_b32 exec_lo, exec_lo, s11
	s_delay_alu instid0(SALU_CYCLE_1) | instskip(SKIP_1) | instid1(SALU_CYCLE_1)
	s_and_not1_b32 s9, s9, exec_lo
	s_and_b32 s11, s12, exec_lo
	s_or_b32 s9, s9, s11
.LBB227_120:                            ;   in Loop: Header=BB227_109 Depth=2
	s_or_b32 exec_lo, exec_lo, s10
	s_delay_alu instid0(SALU_CYCLE_1)
	s_and_b32 s9, s9, exec_lo
.LBB227_121:                            ;   in Loop: Header=BB227_109 Depth=2
	s_and_not1_saveexec_b32 s8, s8
	s_cbranch_execz .LBB227_108
; %bb.122:                              ;   in Loop: Header=BB227_109 Depth=2
	v_lshlrev_b32_e32 v26, 6, v33
	s_mov_b32 s10, 0
	s_delay_alu instid0(VALU_DEP_1)
	v_add_nc_u32_e32 v34, v58, v26
	ds_load_b64 v[26:27], v34
.LBB227_123:                            ;   Parent Loop BB227_107 Depth=1
                                        ;     Parent Loop BB227_109 Depth=2
                                        ; =>    This Inner Loop Header: Depth=3
	s_waitcnt lgkmcnt(0)
	v_add_f64 v[35:36], v[26:27], v[22:23]
	ds_cmpstore_rtn_b64 v[35:36], v34, v[35:36], v[26:27]
	s_waitcnt lgkmcnt(0)
	v_cmp_eq_u64_e32 vcc_lo, v[35:36], v[26:27]
	v_dual_mov_b32 v26, v35 :: v_dual_mov_b32 v27, v36
	s_or_b32 s10, vcc_lo, s10
	s_delay_alu instid0(SALU_CYCLE_1)
	s_and_not1_b32 exec_lo, exec_lo, s10
	s_cbranch_execnz .LBB227_123
; %bb.124:                              ;   in Loop: Header=BB227_109 Depth=2
	s_or_b32 exec_lo, exec_lo, s10
	ds_load_b64 v[26:27], v34 offset:8
	s_mov_b32 s10, 0
.LBB227_125:                            ;   Parent Loop BB227_107 Depth=1
                                        ;     Parent Loop BB227_109 Depth=2
                                        ; =>    This Inner Loop Header: Depth=3
	s_waitcnt lgkmcnt(0)
	v_add_f64 v[35:36], v[26:27], v[24:25]
	ds_cmpstore_rtn_b64 v[35:36], v34, v[35:36], v[26:27] offset:8
	s_waitcnt lgkmcnt(0)
	v_cmp_eq_u64_e32 vcc_lo, v[35:36], v[26:27]
	v_dual_mov_b32 v26, v35 :: v_dual_mov_b32 v27, v36
	s_or_b32 s10, vcc_lo, s10
	s_delay_alu instid0(SALU_CYCLE_1)
	s_and_not1_b32 exec_lo, exec_lo, s10
	s_cbranch_execnz .LBB227_125
; %bb.126:                              ;   in Loop: Header=BB227_109 Depth=2
	s_or_b32 exec_lo, exec_lo, s10
	s_delay_alu instid0(SALU_CYCLE_1)
	s_and_not1_b32 s9, s9, exec_lo
	s_branch .LBB227_108
.LBB227_127:                            ;   in Loop: Header=BB227_107 Depth=1
	s_or_b32 exec_lo, exec_lo, s7
	s_waitcnt vmcnt(1)
	v_mul_f64 v[22:23], v[10:11], -v[16:17]
	v_mul_f64 v[24:25], v[18:19], v[10:11]
	s_mov_b32 s7, 0
	s_delay_alu instid0(VALU_DEP_2) | instskip(NEXT) | instid1(VALU_DEP_2)
	v_fma_f64 v[10:11], v[18:19], v[8:9], v[22:23]
	v_fma_f64 v[8:9], v[16:17], v[8:9], v[24:25]
	v_mov_b32_e32 v24, v32
	s_branch .LBB227_129
.LBB227_128:                            ;   in Loop: Header=BB227_129 Depth=2
	s_or_b32 exec_lo, exec_lo, s8
	s_xor_b32 s8, s9, -1
	s_delay_alu instid0(SALU_CYCLE_1) | instskip(NEXT) | instid1(SALU_CYCLE_1)
	s_and_b32 s8, exec_lo, s8
	s_or_b32 s7, s8, s7
	s_delay_alu instid0(SALU_CYCLE_1)
	s_and_not1_b32 exec_lo, exec_lo, s7
	s_cbranch_execz .LBB227_147
.LBB227_129:                            ;   Parent Loop BB227_107 Depth=1
                                        ; =>  This Loop Header: Depth=2
                                        ;       Child Loop BB227_135 Depth 3
                                        ;       Child Loop BB227_137 Depth 3
	;; [unrolled: 1-line block ×4, first 2 shown]
	s_delay_alu instid0(VALU_DEP_1)
	v_lshl_add_u32 v22, v24, 2, v57
	s_mov_b32 s8, exec_lo
                                        ; implicit-def: $sgpr9
	ds_load_b32 v23, v22
	s_waitcnt lgkmcnt(0)
	v_cmpx_ne_u32_e64 v23, v31
	s_xor_b32 s8, exec_lo, s8
	s_cbranch_execz .LBB227_141
; %bb.130:                              ;   in Loop: Header=BB227_129 Depth=2
	s_mov_b32 s10, exec_lo
                                        ; implicit-def: $sgpr9
	v_cmpx_ne_u32_e64 s6, v23
	s_xor_b32 s10, exec_lo, s10
; %bb.131:                              ;   in Loop: Header=BB227_129 Depth=2
	v_add_nc_u32_e32 v22, 1, v24
	s_mov_b32 s9, -1
	s_delay_alu instid0(VALU_DEP_1)
	v_and_b32_e32 v24, 7, v22
                                        ; implicit-def: $vgpr22
; %bb.132:                              ;   in Loop: Header=BB227_129 Depth=2
	s_and_not1_saveexec_b32 s10, s10
	s_cbranch_execz .LBB227_140
; %bb.133:                              ;   in Loop: Header=BB227_129 Depth=2
	v_mov_b32_e32 v23, s6
	s_mov_b32 s12, -1
	s_mov_b32 s11, exec_lo
	ds_cmpstore_rtn_b32 v22, v22, v31, v23
	s_waitcnt lgkmcnt(0)
	v_cmpx_eq_u32_e64 s6, v22
	s_cbranch_execz .LBB227_139
; %bb.134:                              ;   in Loop: Header=BB227_129 Depth=2
	v_lshl_add_u32 v25, v24, 6, v28
	s_mov_b32 s12, 0
	ds_load_b64 v[22:23], v25
.LBB227_135:                            ;   Parent Loop BB227_107 Depth=1
                                        ;     Parent Loop BB227_129 Depth=2
                                        ; =>    This Inner Loop Header: Depth=3
	s_waitcnt lgkmcnt(0)
	v_add_f64 v[26:27], v[22:23], v[10:11]
	ds_cmpstore_rtn_b64 v[26:27], v25, v[26:27], v[22:23]
	s_waitcnt lgkmcnt(0)
	v_cmp_eq_u64_e32 vcc_lo, v[26:27], v[22:23]
	v_dual_mov_b32 v22, v26 :: v_dual_mov_b32 v23, v27
	s_or_b32 s12, vcc_lo, s12
	s_delay_alu instid0(SALU_CYCLE_1)
	s_and_not1_b32 exec_lo, exec_lo, s12
	s_cbranch_execnz .LBB227_135
; %bb.136:                              ;   in Loop: Header=BB227_129 Depth=2
	s_or_b32 exec_lo, exec_lo, s12
	ds_load_b64 v[22:23], v25 offset:8
	s_mov_b32 s12, 0
.LBB227_137:                            ;   Parent Loop BB227_107 Depth=1
                                        ;     Parent Loop BB227_129 Depth=2
                                        ; =>    This Inner Loop Header: Depth=3
	s_waitcnt lgkmcnt(0)
	v_add_f64 v[26:27], v[22:23], v[8:9]
	ds_cmpstore_rtn_b64 v[26:27], v25, v[26:27], v[22:23] offset:8
	s_waitcnt lgkmcnt(0)
	v_cmp_eq_u64_e32 vcc_lo, v[26:27], v[22:23]
	v_dual_mov_b32 v22, v26 :: v_dual_mov_b32 v23, v27
	s_or_b32 s12, vcc_lo, s12
	s_delay_alu instid0(SALU_CYCLE_1)
	s_and_not1_b32 exec_lo, exec_lo, s12
	s_cbranch_execnz .LBB227_137
; %bb.138:                              ;   in Loop: Header=BB227_129 Depth=2
	s_or_b32 exec_lo, exec_lo, s12
	s_delay_alu instid0(SALU_CYCLE_1)
	s_xor_b32 s12, exec_lo, -1
.LBB227_139:                            ;   in Loop: Header=BB227_129 Depth=2
	s_or_b32 exec_lo, exec_lo, s11
	s_delay_alu instid0(SALU_CYCLE_1) | instskip(SKIP_1) | instid1(SALU_CYCLE_1)
	s_and_not1_b32 s9, s9, exec_lo
	s_and_b32 s11, s12, exec_lo
	s_or_b32 s9, s9, s11
.LBB227_140:                            ;   in Loop: Header=BB227_129 Depth=2
	s_or_b32 exec_lo, exec_lo, s10
	s_delay_alu instid0(SALU_CYCLE_1)
	s_and_b32 s9, s9, exec_lo
.LBB227_141:                            ;   in Loop: Header=BB227_129 Depth=2
	s_and_not1_saveexec_b32 s8, s8
	s_cbranch_execz .LBB227_128
; %bb.142:                              ;   in Loop: Header=BB227_129 Depth=2
	v_lshl_add_u32 v25, v24, 6, v28
	s_mov_b32 s10, 0
	ds_load_b64 v[22:23], v25
.LBB227_143:                            ;   Parent Loop BB227_107 Depth=1
                                        ;     Parent Loop BB227_129 Depth=2
                                        ; =>    This Inner Loop Header: Depth=3
	s_waitcnt lgkmcnt(0)
	v_add_f64 v[26:27], v[22:23], v[10:11]
	ds_cmpstore_rtn_b64 v[26:27], v25, v[26:27], v[22:23]
	s_waitcnt lgkmcnt(0)
	v_cmp_eq_u64_e32 vcc_lo, v[26:27], v[22:23]
	v_dual_mov_b32 v22, v26 :: v_dual_mov_b32 v23, v27
	s_or_b32 s10, vcc_lo, s10
	s_delay_alu instid0(SALU_CYCLE_1)
	s_and_not1_b32 exec_lo, exec_lo, s10
	s_cbranch_execnz .LBB227_143
; %bb.144:                              ;   in Loop: Header=BB227_129 Depth=2
	s_or_b32 exec_lo, exec_lo, s10
	ds_load_b64 v[22:23], v25 offset:8
	s_mov_b32 s10, 0
.LBB227_145:                            ;   Parent Loop BB227_107 Depth=1
                                        ;     Parent Loop BB227_129 Depth=2
                                        ; =>    This Inner Loop Header: Depth=3
	s_waitcnt lgkmcnt(0)
	v_add_f64 v[26:27], v[22:23], v[8:9]
	ds_cmpstore_rtn_b64 v[26:27], v25, v[26:27], v[22:23] offset:8
	s_waitcnt lgkmcnt(0)
	v_cmp_eq_u64_e32 vcc_lo, v[26:27], v[22:23]
	v_dual_mov_b32 v22, v26 :: v_dual_mov_b32 v23, v27
	s_or_b32 s10, vcc_lo, s10
	s_delay_alu instid0(SALU_CYCLE_1)
	s_and_not1_b32 exec_lo, exec_lo, s10
	s_cbranch_execnz .LBB227_145
; %bb.146:                              ;   in Loop: Header=BB227_129 Depth=2
	s_or_b32 exec_lo, exec_lo, s10
	s_delay_alu instid0(SALU_CYCLE_1)
	s_and_not1_b32 s9, s9, exec_lo
	s_branch .LBB227_128
.LBB227_147:                            ;   in Loop: Header=BB227_107 Depth=1
	s_or_b32 exec_lo, exec_lo, s7
	s_waitcnt vmcnt(0)
	v_mul_f64 v[8:9], v[6:7], -v[16:17]
	v_mul_f64 v[10:11], v[18:19], v[6:7]
	s_mov_b32 s7, 0
	s_delay_alu instid0(VALU_DEP_2) | instskip(NEXT) | instid1(VALU_DEP_2)
	v_fma_f64 v[6:7], v[18:19], v[4:5], v[8:9]
	v_fma_f64 v[4:5], v[16:17], v[4:5], v[10:11]
	v_mov_b32_e32 v10, v32
	s_branch .LBB227_149
.LBB227_148:                            ;   in Loop: Header=BB227_149 Depth=2
	s_or_b32 exec_lo, exec_lo, s8
	s_xor_b32 s8, s9, -1
	s_delay_alu instid0(SALU_CYCLE_1) | instskip(NEXT) | instid1(SALU_CYCLE_1)
	s_and_b32 s8, exec_lo, s8
	s_or_b32 s7, s8, s7
	s_delay_alu instid0(SALU_CYCLE_1)
	s_and_not1_b32 exec_lo, exec_lo, s7
	s_cbranch_execz .LBB227_167
.LBB227_149:                            ;   Parent Loop BB227_107 Depth=1
                                        ; =>  This Loop Header: Depth=2
                                        ;       Child Loop BB227_155 Depth 3
                                        ;       Child Loop BB227_157 Depth 3
                                        ;       Child Loop BB227_163 Depth 3
                                        ;       Child Loop BB227_165 Depth 3
	s_delay_alu instid0(VALU_DEP_1)
	v_lshl_add_u32 v8, v10, 2, v57
	s_mov_b32 s8, exec_lo
                                        ; implicit-def: $sgpr9
	ds_load_b32 v9, v8
	s_waitcnt lgkmcnt(0)
	v_cmpx_ne_u32_e64 v9, v31
	s_xor_b32 s8, exec_lo, s8
	s_cbranch_execz .LBB227_161
; %bb.150:                              ;   in Loop: Header=BB227_149 Depth=2
	s_mov_b32 s10, exec_lo
                                        ; implicit-def: $sgpr9
	v_cmpx_ne_u32_e64 s6, v9
	s_xor_b32 s10, exec_lo, s10
; %bb.151:                              ;   in Loop: Header=BB227_149 Depth=2
	v_add_nc_u32_e32 v8, 1, v10
	s_mov_b32 s9, -1
	s_delay_alu instid0(VALU_DEP_1)
	v_and_b32_e32 v10, 7, v8
                                        ; implicit-def: $vgpr8
; %bb.152:                              ;   in Loop: Header=BB227_149 Depth=2
	s_and_not1_saveexec_b32 s10, s10
	s_cbranch_execz .LBB227_160
; %bb.153:                              ;   in Loop: Header=BB227_149 Depth=2
	v_mov_b32_e32 v9, s6
	s_mov_b32 s12, -1
	s_mov_b32 s11, exec_lo
	ds_cmpstore_rtn_b32 v8, v8, v31, v9
	s_waitcnt lgkmcnt(0)
	v_cmpx_eq_u32_e64 s6, v8
	s_cbranch_execz .LBB227_159
; %bb.154:                              ;   in Loop: Header=BB227_149 Depth=2
	v_lshl_add_u32 v11, v10, 6, v29
	s_mov_b32 s12, 0
	ds_load_b64 v[8:9], v11
.LBB227_155:                            ;   Parent Loop BB227_107 Depth=1
                                        ;     Parent Loop BB227_149 Depth=2
                                        ; =>    This Inner Loop Header: Depth=3
	s_waitcnt lgkmcnt(0)
	v_add_f64 v[22:23], v[8:9], v[6:7]
	ds_cmpstore_rtn_b64 v[22:23], v11, v[22:23], v[8:9]
	s_waitcnt lgkmcnt(0)
	v_cmp_eq_u64_e32 vcc_lo, v[22:23], v[8:9]
	v_dual_mov_b32 v8, v22 :: v_dual_mov_b32 v9, v23
	s_or_b32 s12, vcc_lo, s12
	s_delay_alu instid0(SALU_CYCLE_1)
	s_and_not1_b32 exec_lo, exec_lo, s12
	s_cbranch_execnz .LBB227_155
; %bb.156:                              ;   in Loop: Header=BB227_149 Depth=2
	s_or_b32 exec_lo, exec_lo, s12
	ds_load_b64 v[8:9], v11 offset:8
	s_mov_b32 s12, 0
.LBB227_157:                            ;   Parent Loop BB227_107 Depth=1
                                        ;     Parent Loop BB227_149 Depth=2
                                        ; =>    This Inner Loop Header: Depth=3
	s_waitcnt lgkmcnt(0)
	v_add_f64 v[22:23], v[8:9], v[4:5]
	ds_cmpstore_rtn_b64 v[22:23], v11, v[22:23], v[8:9] offset:8
	s_waitcnt lgkmcnt(0)
	v_cmp_eq_u64_e32 vcc_lo, v[22:23], v[8:9]
	v_dual_mov_b32 v8, v22 :: v_dual_mov_b32 v9, v23
	s_or_b32 s12, vcc_lo, s12
	s_delay_alu instid0(SALU_CYCLE_1)
	s_and_not1_b32 exec_lo, exec_lo, s12
	s_cbranch_execnz .LBB227_157
; %bb.158:                              ;   in Loop: Header=BB227_149 Depth=2
	s_or_b32 exec_lo, exec_lo, s12
	s_delay_alu instid0(SALU_CYCLE_1)
	s_xor_b32 s12, exec_lo, -1
.LBB227_159:                            ;   in Loop: Header=BB227_149 Depth=2
	s_or_b32 exec_lo, exec_lo, s11
	s_delay_alu instid0(SALU_CYCLE_1) | instskip(SKIP_1) | instid1(SALU_CYCLE_1)
	s_and_not1_b32 s9, s9, exec_lo
	s_and_b32 s11, s12, exec_lo
	s_or_b32 s9, s9, s11
.LBB227_160:                            ;   in Loop: Header=BB227_149 Depth=2
	s_or_b32 exec_lo, exec_lo, s10
	s_delay_alu instid0(SALU_CYCLE_1)
	s_and_b32 s9, s9, exec_lo
.LBB227_161:                            ;   in Loop: Header=BB227_149 Depth=2
	s_and_not1_saveexec_b32 s8, s8
	s_cbranch_execz .LBB227_148
; %bb.162:                              ;   in Loop: Header=BB227_149 Depth=2
	v_lshl_add_u32 v11, v10, 6, v29
	s_mov_b32 s10, 0
	ds_load_b64 v[8:9], v11
.LBB227_163:                            ;   Parent Loop BB227_107 Depth=1
                                        ;     Parent Loop BB227_149 Depth=2
                                        ; =>    This Inner Loop Header: Depth=3
	s_waitcnt lgkmcnt(0)
	v_add_f64 v[22:23], v[8:9], v[6:7]
	ds_cmpstore_rtn_b64 v[22:23], v11, v[22:23], v[8:9]
	s_waitcnt lgkmcnt(0)
	v_cmp_eq_u64_e32 vcc_lo, v[22:23], v[8:9]
	v_dual_mov_b32 v8, v22 :: v_dual_mov_b32 v9, v23
	s_or_b32 s10, vcc_lo, s10
	s_delay_alu instid0(SALU_CYCLE_1)
	s_and_not1_b32 exec_lo, exec_lo, s10
	s_cbranch_execnz .LBB227_163
; %bb.164:                              ;   in Loop: Header=BB227_149 Depth=2
	s_or_b32 exec_lo, exec_lo, s10
	ds_load_b64 v[8:9], v11 offset:8
	s_mov_b32 s10, 0
.LBB227_165:                            ;   Parent Loop BB227_107 Depth=1
                                        ;     Parent Loop BB227_149 Depth=2
                                        ; =>    This Inner Loop Header: Depth=3
	s_waitcnt lgkmcnt(0)
	v_add_f64 v[22:23], v[8:9], v[4:5]
	ds_cmpstore_rtn_b64 v[22:23], v11, v[22:23], v[8:9] offset:8
	s_waitcnt lgkmcnt(0)
	v_cmp_eq_u64_e32 vcc_lo, v[22:23], v[8:9]
	v_dual_mov_b32 v8, v22 :: v_dual_mov_b32 v9, v23
	s_or_b32 s10, vcc_lo, s10
	s_delay_alu instid0(SALU_CYCLE_1)
	s_and_not1_b32 exec_lo, exec_lo, s10
	s_cbranch_execnz .LBB227_165
; %bb.166:                              ;   in Loop: Header=BB227_149 Depth=2
	s_or_b32 exec_lo, exec_lo, s10
	s_delay_alu instid0(SALU_CYCLE_1)
	s_and_not1_b32 s9, s9, exec_lo
	s_branch .LBB227_148
.LBB227_167:                            ;   in Loop: Header=BB227_107 Depth=1
	s_or_b32 exec_lo, exec_lo, s7
	v_mul_f64 v[4:5], v[2:3], -v[16:17]
	v_mul_f64 v[6:7], v[18:19], v[2:3]
	s_mov_b32 s7, 0
	s_delay_alu instid0(VALU_DEP_2) | instskip(NEXT) | instid1(VALU_DEP_2)
	v_fma_f64 v[2:3], v[18:19], v[0:1], v[4:5]
	v_fma_f64 v[0:1], v[16:17], v[0:1], v[6:7]
	s_branch .LBB227_169
.LBB227_168:                            ;   in Loop: Header=BB227_169 Depth=2
	s_or_b32 exec_lo, exec_lo, s8
	s_xor_b32 s8, s9, -1
	s_delay_alu instid0(SALU_CYCLE_1) | instskip(NEXT) | instid1(SALU_CYCLE_1)
	s_and_b32 s8, exec_lo, s8
	s_or_b32 s7, s8, s7
	s_delay_alu instid0(SALU_CYCLE_1)
	s_and_not1_b32 exec_lo, exec_lo, s7
	s_cbranch_execz .LBB227_106
.LBB227_169:                            ;   Parent Loop BB227_107 Depth=1
                                        ; =>  This Loop Header: Depth=2
                                        ;       Child Loop BB227_175 Depth 3
                                        ;       Child Loop BB227_177 Depth 3
	;; [unrolled: 1-line block ×4, first 2 shown]
	v_lshl_add_u32 v4, v32, 2, v57
	s_mov_b32 s8, exec_lo
                                        ; implicit-def: $sgpr9
	ds_load_b32 v5, v4
	s_waitcnt lgkmcnt(0)
	v_cmpx_ne_u32_e64 v5, v31
	s_xor_b32 s8, exec_lo, s8
	s_cbranch_execz .LBB227_181
; %bb.170:                              ;   in Loop: Header=BB227_169 Depth=2
	s_mov_b32 s10, exec_lo
                                        ; implicit-def: $sgpr9
	v_cmpx_ne_u32_e64 s6, v5
	s_xor_b32 s10, exec_lo, s10
; %bb.171:                              ;   in Loop: Header=BB227_169 Depth=2
	v_add_nc_u32_e32 v4, 1, v32
	s_mov_b32 s9, -1
	s_delay_alu instid0(VALU_DEP_1)
	v_and_b32_e32 v32, 7, v4
                                        ; implicit-def: $vgpr4
; %bb.172:                              ;   in Loop: Header=BB227_169 Depth=2
	s_and_not1_saveexec_b32 s10, s10
	s_cbranch_execz .LBB227_180
; %bb.173:                              ;   in Loop: Header=BB227_169 Depth=2
	v_mov_b32_e32 v5, s6
	s_mov_b32 s12, -1
	s_mov_b32 s11, exec_lo
	ds_cmpstore_rtn_b32 v4, v4, v31, v5
	s_waitcnt lgkmcnt(0)
	v_cmpx_eq_u32_e64 s6, v4
	s_cbranch_execz .LBB227_179
; %bb.174:                              ;   in Loop: Header=BB227_169 Depth=2
	v_lshl_add_u32 v6, v32, 6, v30
	s_mov_b32 s12, 0
	ds_load_b64 v[4:5], v6
.LBB227_175:                            ;   Parent Loop BB227_107 Depth=1
                                        ;     Parent Loop BB227_169 Depth=2
                                        ; =>    This Inner Loop Header: Depth=3
	s_waitcnt lgkmcnt(0)
	v_add_f64 v[7:8], v[4:5], v[2:3]
	ds_cmpstore_rtn_b64 v[7:8], v6, v[7:8], v[4:5]
	s_waitcnt lgkmcnt(0)
	v_cmp_eq_u64_e32 vcc_lo, v[7:8], v[4:5]
	v_dual_mov_b32 v4, v7 :: v_dual_mov_b32 v5, v8
	s_or_b32 s12, vcc_lo, s12
	s_delay_alu instid0(SALU_CYCLE_1)
	s_and_not1_b32 exec_lo, exec_lo, s12
	s_cbranch_execnz .LBB227_175
; %bb.176:                              ;   in Loop: Header=BB227_169 Depth=2
	s_or_b32 exec_lo, exec_lo, s12
	ds_load_b64 v[4:5], v6 offset:8
	s_mov_b32 s12, 0
.LBB227_177:                            ;   Parent Loop BB227_107 Depth=1
                                        ;     Parent Loop BB227_169 Depth=2
                                        ; =>    This Inner Loop Header: Depth=3
	s_waitcnt lgkmcnt(0)
	v_add_f64 v[7:8], v[4:5], v[0:1]
	ds_cmpstore_rtn_b64 v[7:8], v6, v[7:8], v[4:5] offset:8
	s_waitcnt lgkmcnt(0)
	v_cmp_eq_u64_e32 vcc_lo, v[7:8], v[4:5]
	v_dual_mov_b32 v4, v7 :: v_dual_mov_b32 v5, v8
	s_or_b32 s12, vcc_lo, s12
	s_delay_alu instid0(SALU_CYCLE_1)
	s_and_not1_b32 exec_lo, exec_lo, s12
	s_cbranch_execnz .LBB227_177
; %bb.178:                              ;   in Loop: Header=BB227_169 Depth=2
	s_or_b32 exec_lo, exec_lo, s12
	s_delay_alu instid0(SALU_CYCLE_1)
	s_xor_b32 s12, exec_lo, -1
.LBB227_179:                            ;   in Loop: Header=BB227_169 Depth=2
	s_or_b32 exec_lo, exec_lo, s11
	s_delay_alu instid0(SALU_CYCLE_1) | instskip(SKIP_1) | instid1(SALU_CYCLE_1)
	s_and_not1_b32 s9, s9, exec_lo
	s_and_b32 s11, s12, exec_lo
	s_or_b32 s9, s9, s11
.LBB227_180:                            ;   in Loop: Header=BB227_169 Depth=2
	s_or_b32 exec_lo, exec_lo, s10
	s_delay_alu instid0(SALU_CYCLE_1)
	s_and_b32 s9, s9, exec_lo
.LBB227_181:                            ;   in Loop: Header=BB227_169 Depth=2
	s_and_not1_saveexec_b32 s8, s8
	s_cbranch_execz .LBB227_168
; %bb.182:                              ;   in Loop: Header=BB227_169 Depth=2
	v_lshl_add_u32 v6, v32, 6, v30
	s_mov_b32 s10, 0
	ds_load_b64 v[4:5], v6
.LBB227_183:                            ;   Parent Loop BB227_107 Depth=1
                                        ;     Parent Loop BB227_169 Depth=2
                                        ; =>    This Inner Loop Header: Depth=3
	s_waitcnt lgkmcnt(0)
	v_add_f64 v[7:8], v[4:5], v[2:3]
	ds_cmpstore_rtn_b64 v[7:8], v6, v[7:8], v[4:5]
	s_waitcnt lgkmcnt(0)
	v_cmp_eq_u64_e32 vcc_lo, v[7:8], v[4:5]
	v_dual_mov_b32 v4, v7 :: v_dual_mov_b32 v5, v8
	s_or_b32 s10, vcc_lo, s10
	s_delay_alu instid0(SALU_CYCLE_1)
	s_and_not1_b32 exec_lo, exec_lo, s10
	s_cbranch_execnz .LBB227_183
; %bb.184:                              ;   in Loop: Header=BB227_169 Depth=2
	s_or_b32 exec_lo, exec_lo, s10
	ds_load_b64 v[4:5], v6 offset:8
	s_mov_b32 s10, 0
.LBB227_185:                            ;   Parent Loop BB227_107 Depth=1
                                        ;     Parent Loop BB227_169 Depth=2
                                        ; =>    This Inner Loop Header: Depth=3
	s_waitcnt lgkmcnt(0)
	v_add_f64 v[7:8], v[4:5], v[0:1]
	ds_cmpstore_rtn_b64 v[7:8], v6, v[7:8], v[4:5] offset:8
	s_waitcnt lgkmcnt(0)
	v_cmp_eq_u64_e32 vcc_lo, v[7:8], v[4:5]
	v_dual_mov_b32 v4, v7 :: v_dual_mov_b32 v5, v8
	s_or_b32 s10, vcc_lo, s10
	s_delay_alu instid0(SALU_CYCLE_1)
	s_and_not1_b32 exec_lo, exec_lo, s10
	s_cbranch_execnz .LBB227_185
; %bb.186:                              ;   in Loop: Header=BB227_169 Depth=2
	s_or_b32 exec_lo, exec_lo, s10
	s_delay_alu instid0(SALU_CYCLE_1)
	s_and_not1_b32 s9, s9, exec_lo
	s_branch .LBB227_168
.LBB227_187:
	s_or_b32 exec_lo, exec_lo, s1
	buffer_gl0_inv
	s_and_b32 exec_lo, exec_lo, s0
	s_cbranch_execz .LBB227_16
.LBB227_188:
	v_lshl_add_u32 v0, v56, 2, v57
	ds_load_b32 v0, v0
	s_waitcnt lgkmcnt(0)
	v_cmp_gt_i32_e32 vcc_lo, s6, v0
	s_and_b32 exec_lo, exec_lo, vcc_lo
	s_cbranch_execz .LBB227_16
; %bb.189:
	v_lshlrev_b64 v[1:2], 3, v[20:21]
	v_lshlrev_b32_e32 v11, 2, v56
	s_cmp_eq_u32 s4, 0
	v_lshl_add_u32 v13, v56, 6, v58
	s_cselect_b32 s0, 1, 2
	ds_load_b128 v[5:8], v57 offset:16
	v_add_co_u32 v1, vcc_lo, s22, v1
	v_add_co_ci_u32_e32 v2, vcc_lo, s23, v2, vcc_lo
	v_or_b32_e32 v12, s0, v11
	s_cselect_b32 s0, 2, 1
	global_load_b64 v[9:10], v[1:2], off
	ds_load_b128 v[1:4], v57
	v_or_b32_e32 v11, s0, v11
	v_lshl_add_u32 v12, v12, 4, v58
	s_delay_alu instid0(VALU_DEP_2)
	v_lshl_add_u32 v14, v11, 4, v58
	s_waitcnt lgkmcnt(0)
	v_cmp_gt_i32_e32 vcc_lo, v0, v1
	v_cndmask_b32_e64 v1, 0, 1, vcc_lo
	s_waitcnt vmcnt(0)
	v_sub_co_u32 v9, vcc_lo, v9, s38
	v_subrev_co_ci_u32_e32 v10, vcc_lo, 0, v10, vcc_lo
	v_cmp_gt_i32_e32 vcc_lo, v0, v2
	v_cndmask_b32_e64 v2, 0, 1, vcc_lo
	s_delay_alu instid0(VALU_DEP_4) | instskip(NEXT) | instid1(VALU_DEP_4)
	v_add_co_u32 v1, vcc_lo, v9, v1
	v_add_co_ci_u32_e32 v9, vcc_lo, 0, v10, vcc_lo
	v_cmp_gt_i32_e32 vcc_lo, v0, v3
	v_cndmask_b32_e64 v3, 0, 1, vcc_lo
	s_delay_alu instid0(VALU_DEP_4) | instskip(NEXT) | instid1(VALU_DEP_4)
	v_add_co_u32 v1, vcc_lo, v1, v2
	v_add_co_ci_u32_e32 v2, vcc_lo, 0, v9, vcc_lo
	v_cmp_gt_i32_e32 vcc_lo, v0, v4
	v_cndmask_b32_e64 v4, 0, 1, vcc_lo
	s_delay_alu instid0(VALU_DEP_4) | instskip(NEXT) | instid1(VALU_DEP_4)
	v_add_co_u32 v1, vcc_lo, v1, v3
	v_add_co_ci_u32_e32 v2, vcc_lo, 0, v2, vcc_lo
	v_cmp_gt_i32_e32 vcc_lo, v0, v5
	v_cndmask_b32_e64 v3, 0, 1, vcc_lo
	s_delay_alu instid0(VALU_DEP_4) | instskip(NEXT) | instid1(VALU_DEP_4)
	v_add_co_u32 v1, vcc_lo, v1, v4
	v_add_co_ci_u32_e32 v2, vcc_lo, 0, v2, vcc_lo
	v_cmp_gt_i32_e32 vcc_lo, v0, v6
	v_cndmask_b32_e64 v4, 0, 1, vcc_lo
	s_delay_alu instid0(VALU_DEP_4) | instskip(NEXT) | instid1(VALU_DEP_4)
	v_add_co_u32 v1, vcc_lo, v1, v3
	v_add_co_ci_u32_e32 v2, vcc_lo, 0, v2, vcc_lo
	v_cmp_gt_i32_e32 vcc_lo, v0, v7
	v_cndmask_b32_e64 v3, 0, 1, vcc_lo
	s_delay_alu instid0(VALU_DEP_4) | instskip(NEXT) | instid1(VALU_DEP_4)
	v_add_co_u32 v1, vcc_lo, v1, v4
	v_add_co_ci_u32_e32 v2, vcc_lo, 0, v2, vcc_lo
	v_cmp_gt_i32_e32 vcc_lo, v0, v8
	v_add_nc_u32_e32 v0, s38, v0
	v_cndmask_b32_e64 v4, 0, 1, vcc_lo
	v_add_co_u32 v1, vcc_lo, v1, v3
	v_add_co_ci_u32_e32 v2, vcc_lo, 0, v2, vcc_lo
	s_delay_alu instid0(VALU_DEP_2) | instskip(NEXT) | instid1(VALU_DEP_2)
	v_add_co_u32 v17, vcc_lo, v1, v4
	v_add_co_ci_u32_e32 v18, vcc_lo, 0, v2, vcc_lo
	ds_load_2addr_b64 v[1:4], v13 offset1:1
	ds_load_2addr_b64 v[5:8], v13 offset0:6 offset1:7
	ds_load_2addr_b64 v[9:12], v12 offset1:1
	ds_load_2addr_b64 v[13:16], v14 offset1:1
	v_lshlrev_b64 v[19:20], 2, v[17:18]
	v_lshlrev_b64 v[17:18], 6, v[17:18]
	s_delay_alu instid0(VALU_DEP_2) | instskip(NEXT) | instid1(VALU_DEP_3)
	v_add_co_u32 v19, vcc_lo, s40, v19
	v_add_co_ci_u32_e32 v20, vcc_lo, s41, v20, vcc_lo
	s_delay_alu instid0(VALU_DEP_3) | instskip(NEXT) | instid1(VALU_DEP_4)
	v_add_co_u32 v17, vcc_lo, s42, v17
	v_add_co_ci_u32_e32 v18, vcc_lo, s43, v18, vcc_lo
	global_store_b32 v[19:20], v0, off
	s_waitcnt lgkmcnt(3)
	global_store_b128 v[17:18], v[1:4], off
	s_waitcnt lgkmcnt(1)
	global_store_b128 v[17:18], v[9:12], off offset:16
	s_waitcnt lgkmcnt(0)
	s_clause 0x1
	global_store_b128 v[17:18], v[13:16], off offset:32
	global_store_b128 v[17:18], v[5:8], off offset:48
	s_nop 0
	s_sendmsg sendmsg(MSG_DEALLOC_VGPRS)
	s_endpgm
	.section	.rodata,"a",@progbits
	.p2align	6, 0x0
	.amdhsa_kernel _ZN9rocsparseL27bsrgemm_fill_wf_per_row_2x2ILj256ELj16ELj8ELj137Eli21rocsparse_complex_numIdEEEv20rocsparse_direction_T4_S4_PKS4_S6_NS_24const_host_device_scalarIT5_EEPKT3_S6_PKS8_SC_S6_SE_S9_SC_S6_SE_SC_PS4_PS8_21rocsparse_index_base_SH_SH_SH_bbb
		.amdhsa_group_segment_fixed_size 12800
		.amdhsa_private_segment_fixed_size 0
		.amdhsa_kernarg_size 180
		.amdhsa_user_sgpr_count 15
		.amdhsa_user_sgpr_dispatch_ptr 1
		.amdhsa_user_sgpr_queue_ptr 0
		.amdhsa_user_sgpr_kernarg_segment_ptr 1
		.amdhsa_user_sgpr_dispatch_id 0
		.amdhsa_user_sgpr_private_segment_size 0
		.amdhsa_wavefront_size32 1
		.amdhsa_uses_dynamic_stack 0
		.amdhsa_enable_private_segment 0
		.amdhsa_system_sgpr_workgroup_id_x 1
		.amdhsa_system_sgpr_workgroup_id_y 0
		.amdhsa_system_sgpr_workgroup_id_z 0
		.amdhsa_system_sgpr_workgroup_info 0
		.amdhsa_system_vgpr_workitem_id 2
		.amdhsa_next_free_vgpr 68
		.amdhsa_next_free_sgpr 48
		.amdhsa_reserve_vcc 1
		.amdhsa_float_round_mode_32 0
		.amdhsa_float_round_mode_16_64 0
		.amdhsa_float_denorm_mode_32 3
		.amdhsa_float_denorm_mode_16_64 3
		.amdhsa_dx10_clamp 1
		.amdhsa_ieee_mode 1
		.amdhsa_fp16_overflow 0
		.amdhsa_workgroup_processor_mode 1
		.amdhsa_memory_ordered 1
		.amdhsa_forward_progress 0
		.amdhsa_shared_vgpr_count 0
		.amdhsa_exception_fp_ieee_invalid_op 0
		.amdhsa_exception_fp_denorm_src 0
		.amdhsa_exception_fp_ieee_div_zero 0
		.amdhsa_exception_fp_ieee_overflow 0
		.amdhsa_exception_fp_ieee_underflow 0
		.amdhsa_exception_fp_ieee_inexact 0
		.amdhsa_exception_int_div_zero 0
	.end_amdhsa_kernel
	.section	.text._ZN9rocsparseL27bsrgemm_fill_wf_per_row_2x2ILj256ELj16ELj8ELj137Eli21rocsparse_complex_numIdEEEv20rocsparse_direction_T4_S4_PKS4_S6_NS_24const_host_device_scalarIT5_EEPKT3_S6_PKS8_SC_S6_SE_S9_SC_S6_SE_SC_PS4_PS8_21rocsparse_index_base_SH_SH_SH_bbb,"axG",@progbits,_ZN9rocsparseL27bsrgemm_fill_wf_per_row_2x2ILj256ELj16ELj8ELj137Eli21rocsparse_complex_numIdEEEv20rocsparse_direction_T4_S4_PKS4_S6_NS_24const_host_device_scalarIT5_EEPKT3_S6_PKS8_SC_S6_SE_S9_SC_S6_SE_SC_PS4_PS8_21rocsparse_index_base_SH_SH_SH_bbb,comdat
.Lfunc_end227:
	.size	_ZN9rocsparseL27bsrgemm_fill_wf_per_row_2x2ILj256ELj16ELj8ELj137Eli21rocsparse_complex_numIdEEEv20rocsparse_direction_T4_S4_PKS4_S6_NS_24const_host_device_scalarIT5_EEPKT3_S6_PKS8_SC_S6_SE_S9_SC_S6_SE_SC_PS4_PS8_21rocsparse_index_base_SH_SH_SH_bbb, .Lfunc_end227-_ZN9rocsparseL27bsrgemm_fill_wf_per_row_2x2ILj256ELj16ELj8ELj137Eli21rocsparse_complex_numIdEEEv20rocsparse_direction_T4_S4_PKS4_S6_NS_24const_host_device_scalarIT5_EEPKT3_S6_PKS8_SC_S6_SE_S9_SC_S6_SE_SC_PS4_PS8_21rocsparse_index_base_SH_SH_SH_bbb
                                        ; -- End function
	.section	.AMDGPU.csdata,"",@progbits
; Kernel info:
; codeLenInByte = 7012
; NumSgprs: 50
; NumVgprs: 68
; ScratchSize: 0
; MemoryBound: 0
; FloatMode: 240
; IeeeMode: 1
; LDSByteSize: 12800 bytes/workgroup (compile time only)
; SGPRBlocks: 6
; VGPRBlocks: 8
; NumSGPRsForWavesPerEU: 50
; NumVGPRsForWavesPerEU: 68
; Occupancy: 16
; WaveLimiterHint : 1
; COMPUTE_PGM_RSRC2:SCRATCH_EN: 0
; COMPUTE_PGM_RSRC2:USER_SGPR: 15
; COMPUTE_PGM_RSRC2:TRAP_HANDLER: 0
; COMPUTE_PGM_RSRC2:TGID_X_EN: 1
; COMPUTE_PGM_RSRC2:TGID_Y_EN: 0
; COMPUTE_PGM_RSRC2:TGID_Z_EN: 0
; COMPUTE_PGM_RSRC2:TIDIG_COMP_CNT: 2
	.section	.text._ZN9rocsparseL27bsrgemm_fill_wf_per_row_2x2ILj256ELj16ELj16ELj137Eli21rocsparse_complex_numIdEEEv20rocsparse_direction_T4_S4_PKS4_S6_NS_24const_host_device_scalarIT5_EEPKT3_S6_PKS8_SC_S6_SE_S9_SC_S6_SE_SC_PS4_PS8_21rocsparse_index_base_SH_SH_SH_bbb,"axG",@progbits,_ZN9rocsparseL27bsrgemm_fill_wf_per_row_2x2ILj256ELj16ELj16ELj137Eli21rocsparse_complex_numIdEEEv20rocsparse_direction_T4_S4_PKS4_S6_NS_24const_host_device_scalarIT5_EEPKT3_S6_PKS8_SC_S6_SE_S9_SC_S6_SE_SC_PS4_PS8_21rocsparse_index_base_SH_SH_SH_bbb,comdat
	.globl	_ZN9rocsparseL27bsrgemm_fill_wf_per_row_2x2ILj256ELj16ELj16ELj137Eli21rocsparse_complex_numIdEEEv20rocsparse_direction_T4_S4_PKS4_S6_NS_24const_host_device_scalarIT5_EEPKT3_S6_PKS8_SC_S6_SE_S9_SC_S6_SE_SC_PS4_PS8_21rocsparse_index_base_SH_SH_SH_bbb ; -- Begin function _ZN9rocsparseL27bsrgemm_fill_wf_per_row_2x2ILj256ELj16ELj16ELj137Eli21rocsparse_complex_numIdEEEv20rocsparse_direction_T4_S4_PKS4_S6_NS_24const_host_device_scalarIT5_EEPKT3_S6_PKS8_SC_S6_SE_S9_SC_S6_SE_SC_PS4_PS8_21rocsparse_index_base_SH_SH_SH_bbb
	.p2align	8
	.type	_ZN9rocsparseL27bsrgemm_fill_wf_per_row_2x2ILj256ELj16ELj16ELj137Eli21rocsparse_complex_numIdEEEv20rocsparse_direction_T4_S4_PKS4_S6_NS_24const_host_device_scalarIT5_EEPKT3_S6_PKS8_SC_S6_SE_S9_SC_S6_SE_SC_PS4_PS8_21rocsparse_index_base_SH_SH_SH_bbb,@function
_ZN9rocsparseL27bsrgemm_fill_wf_per_row_2x2ILj256ELj16ELj16ELj137Eli21rocsparse_complex_numIdEEEv20rocsparse_direction_T4_S4_PKS4_S6_NS_24const_host_device_scalarIT5_EEPKT3_S6_PKS8_SC_S6_SE_S9_SC_S6_SE_SC_PS4_PS8_21rocsparse_index_base_SH_SH_SH_bbb: ; @_ZN9rocsparseL27bsrgemm_fill_wf_per_row_2x2ILj256ELj16ELj16ELj137Eli21rocsparse_complex_numIdEEEv20rocsparse_direction_T4_S4_PKS4_S6_NS_24const_host_device_scalarIT5_EEPKT3_S6_PKS8_SC_S6_SE_S9_SC_S6_SE_SC_PS4_PS8_21rocsparse_index_base_SH_SH_SH_bbb
; %bb.0:
	s_clause 0x3
	s_load_b32 s14, s[0:1], 0xb0
	s_load_b128 s[4:7], s[0:1], 0x20
	s_load_b128 s[44:47], s[0:1], 0x60
	;; [unrolled: 1-line block ×3, first 2 shown]
	v_mov_b32_e32 v16, 0
	v_mov_b32_e32 v17, 0
	s_waitcnt lgkmcnt(0)
	s_bitcmp1_b32 s14, 0
	v_dual_mov_b32 v1, s4 :: v_dual_mov_b32 v2, s5
	s_cselect_b32 s13, -1, 0
	s_bitcmp1_b32 s14, 16
	v_dual_mov_b32 v23, v17 :: v_dual_mov_b32 v22, v16
	s_cselect_b32 s2, -1, 0
	v_dual_mov_b32 v25, v17 :: v_dual_mov_b32 v24, v16
	s_xor_b32 s3, s2, -1
	v_dual_mov_b32 v3, s44 :: v_dual_mov_b32 v4, s45
	v_cndmask_b32_e64 v5, 0, 1, s3
	s_bitcmp0_b32 s14, 0
	s_clause 0x1
	scratch_store_b64 off, v[1:2], off
	scratch_store_b64 off, v[3:4], off offset:8
	v_cmp_ne_u32_e32 vcc_lo, 1, v5
	s_cbranch_scc1 .LBB228_3
; %bb.1:
	s_mov_b64 s[8:9], src_private_base
	s_and_b32 s8, s2, exec_lo
	s_cselect_b32 s8, s9, s5
	s_delay_alu instid0(SALU_CYCLE_1) | instskip(SKIP_2) | instid1(VALU_DEP_2)
	v_dual_mov_b32 v1, 0 :: v_dual_mov_b32 v2, s8
	v_dual_mov_b32 v25, s7 :: v_dual_mov_b32 v24, s6
	s_and_b32 vcc_lo, exec_lo, vcc_lo
	v_cndmask_b32_e64 v1, s4, v1, s2
	flat_load_b64 v[22:23], v[1:2]
	s_cbranch_vccnz .LBB228_3
; %bb.2:
	v_dual_mov_b32 v1, s4 :: v_dual_mov_b32 v2, s5
	flat_load_b64 v[24:25], v[1:2] offset:8
.LBB228_3:
	s_clause 0x4
	s_load_b128 s[28:31], s[0:1], 0x90
	s_load_b256 s[4:11], s[0:1], 0x70
	s_load_b128 s[36:39], s[0:1], 0x50
	s_load_b128 s[40:43], s[0:1], 0x10
	s_load_b256 s[16:23], s[0:1], 0x30
	s_bitcmp1_b32 s14, 8
	v_dual_mov_b32 v19, v17 :: v_dual_mov_b32 v18, v16
	s_cselect_b32 s12, -1, 0
	s_bfe_u32 s14, s14, 0x10008
	s_delay_alu instid0(SALU_CYCLE_1)
	s_cmp_eq_u32 s14, 0
	s_cbranch_scc1 .LBB228_6
; %bb.4:
	s_mov_b64 s[34:35], src_private_base
	s_and_b32 s14, s2, exec_lo
	s_cselect_b32 s14, s35, s45
	s_delay_alu instid0(SALU_CYCLE_1) | instskip(SKIP_2) | instid1(VALU_DEP_2)
	v_dual_mov_b32 v1, 8 :: v_dual_mov_b32 v2, s14
	v_dual_mov_b32 v16, s46 :: v_dual_mov_b32 v17, s47
	s_and_not1_b32 vcc_lo, exec_lo, s3
	v_cndmask_b32_e64 v1, s44, v1, s2
	flat_load_b64 v[18:19], v[1:2]
	s_cbranch_vccnz .LBB228_6
; %bb.5:
	v_dual_mov_b32 v1, s44 :: v_dual_mov_b32 v2, s45
	flat_load_b64 v[16:17], v[1:2] offset:8
.LBB228_6:
	s_load_b128 s[0:3], s[0:1], 0x0
	v_and_b32_e32 v1, 0xf0, v0
	v_and_b32_e32 v56, 15, v0
	v_lshrrev_b32_e32 v4, 4, v0
	v_mov_b32_e32 v0, 0
	s_waitcnt lgkmcnt(0)
	s_mov_b32 s3, 0
	v_lshl_or_b32 v57, v1, 2, 0x4000
	s_delay_alu instid0(VALU_DEP_2) | instskip(SKIP_1) | instid1(VALU_DEP_3)
	v_dual_mov_b32 v1, v0 :: v_dual_lshlrev_b32 v2, 4, v56
	v_or_b32_e32 v5, -16, v56
	v_lshl_or_b32 v59, v56, 2, v57
	v_mov_b32_e32 v3, v0
	v_mov_b32_e32 v7, s2
	v_lshl_or_b32 v6, v4, 10, v2
	v_mov_b32_e32 v2, v0
	ds_store_b32 v59, v7
.LBB228_7:                              ; =>This Inner Loop Header: Depth=1
	v_add_nc_u32_e32 v5, 16, v5
	ds_store_b128 v6, v[0:3]
	v_add_nc_u32_e32 v6, 0x100, v6
	v_cmp_lt_u32_e32 vcc_lo, 47, v5
	s_or_b32 s3, vcc_lo, s3
	s_delay_alu instid0(SALU_CYCLE_1)
	s_and_not1_b32 exec_lo, exec_lo, s3
	s_cbranch_execnz .LBB228_7
; %bb.8:
	s_or_b32 exec_lo, exec_lo, s3
	v_lshl_or_b32 v0, s15, 4, v4
	s_waitcnt vmcnt(0) lgkmcnt(0)
	s_waitcnt_vscnt null, 0x0
	s_barrier
	buffer_gl0_inv
	v_cmp_gt_i32_e32 vcc_lo, s1, v0
	s_and_saveexec_b32 s1, vcc_lo
	s_cbranch_execz .LBB228_186
; %bb.9:
	s_cmp_eq_u64 s[42:43], 0
	s_cbranch_scc1 .LBB228_11
; %bb.10:
	s_load_b32 s1, s[40:41], 0x0
	s_waitcnt lgkmcnt(0)
	v_add_nc_u32_e32 v0, s1, v0
	s_delay_alu instid0(VALU_DEP_1) | instskip(NEXT) | instid1(VALU_DEP_1)
	v_ashrrev_i32_e32 v1, 31, v0
	v_lshlrev_b64 v[0:1], 2, v[0:1]
	s_delay_alu instid0(VALU_DEP_1) | instskip(NEXT) | instid1(VALU_DEP_2)
	v_add_co_u32 v0, vcc_lo, s42, v0
	v_add_co_ci_u32_e32 v1, vcc_lo, s43, v1, vcc_lo
	global_load_b32 v0, v[0:1], off
.LBB228_11:
	s_waitcnt vmcnt(0)
	v_ashrrev_i32_e32 v1, 31, v0
	v_lshlrev_b32_e32 v58, 10, v4
	s_and_not1_b32 vcc_lo, exec_lo, s13
	s_delay_alu instid0(VALU_DEP_2)
	v_lshlrev_b64 v[20:21], 3, v[0:1]
	s_cbranch_vccnz .LBB228_99
; %bb.12:
	s_delay_alu instid0(VALU_DEP_1) | instskip(NEXT) | instid1(VALU_DEP_2)
	v_add_co_u32 v0, vcc_lo, s16, v20
	v_add_co_ci_u32_e32 v1, vcc_lo, s17, v21, vcc_lo
	v_sub_co_u32 v4, s1, v56, s24
	s_delay_alu instid0(VALU_DEP_1)
	v_sub_co_ci_u32_e64 v5, null, 0, 0, s1
	global_load_b128 v[0:3], v[0:1], off
	s_mov_b32 s3, 0
	s_mov_b32 s1, exec_lo
	s_waitcnt vmcnt(0)
	v_sub_co_u32 v26, vcc_lo, v2, s24
	v_subrev_co_ci_u32_e32 v27, vcc_lo, 0, v3, vcc_lo
	v_add_co_u32 v28, vcc_lo, v0, v4
	v_add_co_ci_u32_e32 v29, vcc_lo, v1, v5, vcc_lo
	s_delay_alu instid0(VALU_DEP_1)
	v_cmpx_lt_i64_e64 v[28:29], v[26:27]
	s_cbranch_execz .LBB228_98
; %bb.13:
	v_add_nc_u32_e32 v60, 16, v58
	v_add_nc_u32_e32 v61, 32, v58
	;; [unrolled: 1-line block ×3, first 2 shown]
	s_cmp_eq_u32 s0, 0
	s_mov_b32 s13, s25
	s_cselect_b32 s14, 1, 2
	s_cselect_b32 s15, 2, 1
	s_branch .LBB228_15
.LBB228_14:                             ;   in Loop: Header=BB228_15 Depth=1
	s_or_b32 exec_lo, exec_lo, s16
	v_add_co_u32 v28, vcc_lo, v28, 16
	v_add_co_ci_u32_e32 v29, vcc_lo, 0, v29, vcc_lo
	s_delay_alu instid0(VALU_DEP_1) | instskip(SKIP_1) | instid1(SALU_CYCLE_1)
	v_cmp_ge_i64_e32 vcc_lo, v[28:29], v[26:27]
	s_or_b32 s3, vcc_lo, s3
	s_and_not1_b32 exec_lo, exec_lo, s3
	s_cbranch_execz .LBB228_98
.LBB228_15:                             ; =>This Loop Header: Depth=1
                                        ;     Child Loop BB228_18 Depth 2
                                        ;       Child Loop BB228_20 Depth 3
                                        ;         Child Loop BB228_26 Depth 4
                                        ;         Child Loop BB228_28 Depth 4
                                        ;         Child Loop BB228_34 Depth 4
                                        ;         Child Loop BB228_36 Depth 4
                                        ;       Child Loop BB228_40 Depth 3
                                        ;         Child Loop BB228_46 Depth 4
                                        ;         Child Loop BB228_48 Depth 4
                                        ;         Child Loop BB228_54 Depth 4
                                        ;         Child Loop BB228_56 Depth 4
	;; [unrolled: 5-line block ×4, first 2 shown]
	v_lshlrev_b64 v[4:5], 2, v[28:29]
	s_mov_b32 s16, exec_lo
	s_delay_alu instid0(VALU_DEP_1) | instskip(NEXT) | instid1(VALU_DEP_2)
	v_add_co_u32 v0, vcc_lo, s18, v4
	v_add_co_ci_u32_e32 v1, vcc_lo, s19, v5, vcc_lo
	global_load_b32 v0, v[0:1], off
	s_waitcnt vmcnt(0)
	v_subrev_nc_u32_e32 v0, s24, v0
	s_delay_alu instid0(VALU_DEP_1) | instskip(NEXT) | instid1(VALU_DEP_1)
	v_ashrrev_i32_e32 v1, 31, v0
	v_lshlrev_b64 v[0:1], 3, v[0:1]
	s_delay_alu instid0(VALU_DEP_1) | instskip(NEXT) | instid1(VALU_DEP_2)
	v_add_co_u32 v0, vcc_lo, s22, v0
	v_add_co_ci_u32_e32 v1, vcc_lo, s23, v1, vcc_lo
	global_load_b128 v[0:3], v[0:1], off
	s_waitcnt vmcnt(0)
	v_cmpx_lt_i64_e64 v[0:1], v[2:3]
	s_cbranch_execz .LBB228_14
; %bb.16:                               ;   in Loop: Header=BB228_15 Depth=1
	v_or_b32_e32 v9, 0, v5
	v_or_b32_e32 v8, s14, v4
	v_lshlrev_b64 v[6:7], 6, v[28:29]
	v_or_b32_e32 v5, 0, v5
	v_or_b32_e32 v4, s15, v4
	s_mov_b32 s17, 0
	v_lshlrev_b64 v[8:9], 4, v[8:9]
	s_delay_alu instid0(VALU_DEP_4) | instskip(NEXT) | instid1(VALU_DEP_3)
	v_add_co_u32 v10, vcc_lo, s20, v6
	v_lshlrev_b64 v[12:13], 4, v[4:5]
	v_add_co_ci_u32_e32 v11, vcc_lo, s21, v7, vcc_lo
	s_delay_alu instid0(VALU_DEP_4) | instskip(SKIP_1) | instid1(VALU_DEP_4)
	v_add_co_u32 v14, vcc_lo, s20, v8
	v_add_co_ci_u32_e32 v15, vcc_lo, s21, v9, vcc_lo
	v_add_co_u32 v30, vcc_lo, s20, v12
	v_add_co_ci_u32_e32 v31, vcc_lo, s21, v13, vcc_lo
	s_clause 0x3
	global_load_b128 v[4:7], v[10:11], off
	global_load_b128 v[8:11], v[10:11], off offset:48
	global_load_b128 v[12:15], v[14:15], off
	global_load_b128 v[44:47], v[30:31], off
	s_waitcnt vmcnt(2)
	v_mul_f64 v[34:35], v[10:11], -v[24:25]
	v_mul_f64 v[30:31], v[6:7], -v[24:25]
	v_mul_f64 v[6:7], v[22:23], v[6:7]
	v_mul_f64 v[10:11], v[22:23], v[10:11]
	s_waitcnt vmcnt(1)
	v_mul_f64 v[38:39], v[14:15], -v[24:25]
	v_mul_f64 v[14:15], v[22:23], v[14:15]
	s_waitcnt vmcnt(0)
	v_mul_f64 v[42:43], v[46:47], -v[24:25]
	v_mul_f64 v[46:47], v[22:23], v[46:47]
	v_fma_f64 v[34:35], v[22:23], v[8:9], v[34:35]
	v_fma_f64 v[30:31], v[22:23], v[4:5], v[30:31]
	;; [unrolled: 1-line block ×8, first 2 shown]
	v_sub_co_u32 v46, vcc_lo, v2, s13
	v_subrev_co_ci_u32_e32 v47, vcc_lo, 0, v3, vcc_lo
	v_sub_co_u32 v48, vcc_lo, v0, s13
	v_subrev_co_ci_u32_e32 v49, vcc_lo, 0, v1, vcc_lo
	s_branch .LBB228_18
.LBB228_17:                             ;   in Loop: Header=BB228_18 Depth=2
	s_or_b32 exec_lo, exec_lo, s33
	v_add_co_u32 v48, vcc_lo, v48, 1
	v_add_co_ci_u32_e32 v49, vcc_lo, 0, v49, vcc_lo
	s_delay_alu instid0(VALU_DEP_1) | instskip(SKIP_1) | instid1(SALU_CYCLE_1)
	v_cmp_ge_i64_e32 vcc_lo, v[48:49], v[46:47]
	s_or_b32 s17, vcc_lo, s17
	s_and_not1_b32 exec_lo, exec_lo, s17
	s_cbranch_execz .LBB228_14
.LBB228_18:                             ;   Parent Loop BB228_15 Depth=1
                                        ; =>  This Loop Header: Depth=2
                                        ;       Child Loop BB228_20 Depth 3
                                        ;         Child Loop BB228_26 Depth 4
                                        ;         Child Loop BB228_28 Depth 4
                                        ;         Child Loop BB228_34 Depth 4
                                        ;         Child Loop BB228_36 Depth 4
                                        ;       Child Loop BB228_40 Depth 3
                                        ;         Child Loop BB228_46 Depth 4
                                        ;         Child Loop BB228_48 Depth 4
                                        ;         Child Loop BB228_54 Depth 4
                                        ;         Child Loop BB228_56 Depth 4
	;; [unrolled: 5-line block ×4, first 2 shown]
	s_delay_alu instid0(VALU_DEP_1) | instskip(SKIP_1) | instid1(VALU_DEP_1)
	v_lshlrev_b64 v[0:1], 2, v[48:49]
	s_mov_b32 s33, 0
	v_or_b32_e32 v3, 0, v1
	s_delay_alu instid0(VALU_DEP_2) | instskip(NEXT) | instid1(VALU_DEP_1)
	v_or_b32_e32 v2, s15, v0
	v_lshlrev_b64 v[2:3], 4, v[2:3]
	s_delay_alu instid0(VALU_DEP_1) | instskip(NEXT) | instid1(VALU_DEP_2)
	v_add_co_u32 v2, vcc_lo, s38, v2
	v_add_co_ci_u32_e32 v3, vcc_lo, s39, v3, vcc_lo
	global_load_b128 v[12:15], v[2:3], off
	v_lshlrev_b64 v[2:3], 6, v[48:49]
	s_delay_alu instid0(VALU_DEP_1) | instskip(NEXT) | instid1(VALU_DEP_2)
	v_add_co_u32 v4, vcc_lo, s38, v2
	v_add_co_ci_u32_e32 v5, vcc_lo, s39, v3, vcc_lo
	v_add_co_u32 v2, vcc_lo, s36, v0
	v_add_co_ci_u32_e32 v3, vcc_lo, s37, v1, vcc_lo
	global_load_b128 v[8:11], v[4:5], off
	v_or_b32_e32 v1, 0, v1
	v_or_b32_e32 v0, s14, v0
	global_load_b32 v54, v[2:3], off
	v_lshlrev_b64 v[0:1], 4, v[0:1]
	s_delay_alu instid0(VALU_DEP_1) | instskip(NEXT) | instid1(VALU_DEP_2)
	v_add_co_u32 v0, vcc_lo, s38, v0
	v_add_co_ci_u32_e32 v1, vcc_lo, s39, v1, vcc_lo
	s_clause 0x1
	global_load_b128 v[0:3], v[0:1], off
	global_load_b128 v[4:7], v[4:5], off offset:48
	s_waitcnt vmcnt(4)
	v_mul_f64 v[50:51], v[14:15], -v[40:41]
	v_mul_f64 v[52:53], v[38:39], v[14:15]
	s_waitcnt vmcnt(2)
	v_subrev_nc_u32_e32 v63, s25, v54
	s_delay_alu instid0(VALU_DEP_1) | instskip(NEXT) | instid1(VALU_DEP_1)
	v_lshl_add_u32 v54, v63, 3, v63
	v_and_b32_e32 v64, 15, v54
	s_delay_alu instid0(VALU_DEP_1) | instskip(SKIP_2) | instid1(VALU_DEP_2)
	v_mov_b32_e32 v65, v64
	v_fma_f64 v[50:51], v[38:39], v[12:13], v[50:51]
	v_fma_f64 v[52:53], v[40:41], v[12:13], v[52:53]
	;; [unrolled: 1-line block ×3, first 2 shown]
	s_delay_alu instid0(VALU_DEP_2) | instskip(NEXT) | instid1(VALU_DEP_2)
	v_fma_f64 v[52:53], v[32:33], v[8:9], v[52:53]
	v_fma_f64 v[50:51], -v[32:33], v[10:11], v[50:51]
	s_delay_alu instid0(VALU_DEP_2)
	v_fma_f64 v[52:53], v[30:31], v[10:11], v[52:53]
	s_branch .LBB228_20
.LBB228_19:                             ;   in Loop: Header=BB228_20 Depth=3
	s_or_b32 exec_lo, exec_lo, s34
	s_xor_b32 s34, s35, -1
	s_delay_alu instid0(SALU_CYCLE_1) | instskip(NEXT) | instid1(SALU_CYCLE_1)
	s_and_b32 s34, exec_lo, s34
	s_or_b32 s33, s34, s33
	s_delay_alu instid0(SALU_CYCLE_1)
	s_and_not1_b32 exec_lo, exec_lo, s33
	s_cbranch_execz .LBB228_38
.LBB228_20:                             ;   Parent Loop BB228_15 Depth=1
                                        ;     Parent Loop BB228_18 Depth=2
                                        ; =>    This Loop Header: Depth=3
                                        ;         Child Loop BB228_26 Depth 4
                                        ;         Child Loop BB228_28 Depth 4
                                        ;         Child Loop BB228_34 Depth 4
                                        ;         Child Loop BB228_36 Depth 4
	v_lshl_add_u32 v54, v65, 2, v57
	s_mov_b32 s34, exec_lo
                                        ; implicit-def: $sgpr35
	ds_load_b32 v55, v54
	s_waitcnt lgkmcnt(0)
	v_cmpx_ne_u32_e64 v55, v63
	s_xor_b32 s34, exec_lo, s34
	s_cbranch_execz .LBB228_32
; %bb.21:                               ;   in Loop: Header=BB228_20 Depth=3
	s_mov_b32 s40, exec_lo
                                        ; implicit-def: $sgpr35
	v_cmpx_ne_u32_e64 s2, v55
	s_xor_b32 s40, exec_lo, s40
; %bb.22:                               ;   in Loop: Header=BB228_20 Depth=3
	v_add_nc_u32_e32 v54, 1, v65
	s_mov_b32 s35, -1
	s_delay_alu instid0(VALU_DEP_1)
	v_and_b32_e32 v65, 15, v54
                                        ; implicit-def: $vgpr54
; %bb.23:                               ;   in Loop: Header=BB228_20 Depth=3
	s_and_not1_saveexec_b32 s40, s40
	s_cbranch_execz .LBB228_31
; %bb.24:                               ;   in Loop: Header=BB228_20 Depth=3
	v_mov_b32_e32 v55, s2
	s_mov_b32 s42, -1
	s_mov_b32 s41, exec_lo
	ds_cmpstore_rtn_b32 v54, v54, v63, v55
	s_waitcnt lgkmcnt(0)
	v_cmpx_eq_u32_e64 s2, v54
	s_cbranch_execz .LBB228_30
; %bb.25:                               ;   in Loop: Header=BB228_20 Depth=3
	v_lshlrev_b32_e32 v54, 6, v65
	s_mov_b32 s42, 0
	s_delay_alu instid0(VALU_DEP_1)
	v_add_nc_u32_e32 v66, v58, v54
	ds_load_b64 v[54:55], v66
.LBB228_26:                             ;   Parent Loop BB228_15 Depth=1
                                        ;     Parent Loop BB228_18 Depth=2
                                        ;       Parent Loop BB228_20 Depth=3
                                        ; =>      This Inner Loop Header: Depth=4
	s_waitcnt lgkmcnt(0)
	v_add_f64 v[67:68], v[54:55], v[50:51]
	ds_cmpstore_rtn_b64 v[67:68], v66, v[67:68], v[54:55]
	s_waitcnt lgkmcnt(0)
	v_cmp_eq_u64_e32 vcc_lo, v[67:68], v[54:55]
	v_dual_mov_b32 v54, v67 :: v_dual_mov_b32 v55, v68
	s_or_b32 s42, vcc_lo, s42
	s_delay_alu instid0(SALU_CYCLE_1)
	s_and_not1_b32 exec_lo, exec_lo, s42
	s_cbranch_execnz .LBB228_26
; %bb.27:                               ;   in Loop: Header=BB228_20 Depth=3
	s_or_b32 exec_lo, exec_lo, s42
	ds_load_b64 v[54:55], v66 offset:8
	s_mov_b32 s42, 0
.LBB228_28:                             ;   Parent Loop BB228_15 Depth=1
                                        ;     Parent Loop BB228_18 Depth=2
                                        ;       Parent Loop BB228_20 Depth=3
                                        ; =>      This Inner Loop Header: Depth=4
	s_waitcnt lgkmcnt(0)
	v_add_f64 v[67:68], v[54:55], v[52:53]
	ds_cmpstore_rtn_b64 v[67:68], v66, v[67:68], v[54:55] offset:8
	s_waitcnt lgkmcnt(0)
	v_cmp_eq_u64_e32 vcc_lo, v[67:68], v[54:55]
	v_dual_mov_b32 v54, v67 :: v_dual_mov_b32 v55, v68
	s_or_b32 s42, vcc_lo, s42
	s_delay_alu instid0(SALU_CYCLE_1)
	s_and_not1_b32 exec_lo, exec_lo, s42
	s_cbranch_execnz .LBB228_28
; %bb.29:                               ;   in Loop: Header=BB228_20 Depth=3
	s_or_b32 exec_lo, exec_lo, s42
	s_delay_alu instid0(SALU_CYCLE_1)
	s_xor_b32 s42, exec_lo, -1
.LBB228_30:                             ;   in Loop: Header=BB228_20 Depth=3
	s_or_b32 exec_lo, exec_lo, s41
	s_delay_alu instid0(SALU_CYCLE_1) | instskip(SKIP_1) | instid1(SALU_CYCLE_1)
	s_and_not1_b32 s35, s35, exec_lo
	s_and_b32 s41, s42, exec_lo
	s_or_b32 s35, s35, s41
.LBB228_31:                             ;   in Loop: Header=BB228_20 Depth=3
	s_or_b32 exec_lo, exec_lo, s40
	s_delay_alu instid0(SALU_CYCLE_1)
	s_and_b32 s35, s35, exec_lo
.LBB228_32:                             ;   in Loop: Header=BB228_20 Depth=3
	s_and_not1_saveexec_b32 s34, s34
	s_cbranch_execz .LBB228_19
; %bb.33:                               ;   in Loop: Header=BB228_20 Depth=3
	v_lshlrev_b32_e32 v54, 6, v65
	s_mov_b32 s40, 0
	s_delay_alu instid0(VALU_DEP_1)
	v_add_nc_u32_e32 v66, v58, v54
	ds_load_b64 v[54:55], v66
.LBB228_34:                             ;   Parent Loop BB228_15 Depth=1
                                        ;     Parent Loop BB228_18 Depth=2
                                        ;       Parent Loop BB228_20 Depth=3
                                        ; =>      This Inner Loop Header: Depth=4
	s_waitcnt lgkmcnt(0)
	v_add_f64 v[67:68], v[54:55], v[50:51]
	ds_cmpstore_rtn_b64 v[67:68], v66, v[67:68], v[54:55]
	s_waitcnt lgkmcnt(0)
	v_cmp_eq_u64_e32 vcc_lo, v[67:68], v[54:55]
	v_dual_mov_b32 v54, v67 :: v_dual_mov_b32 v55, v68
	s_or_b32 s40, vcc_lo, s40
	s_delay_alu instid0(SALU_CYCLE_1)
	s_and_not1_b32 exec_lo, exec_lo, s40
	s_cbranch_execnz .LBB228_34
; %bb.35:                               ;   in Loop: Header=BB228_20 Depth=3
	s_or_b32 exec_lo, exec_lo, s40
	ds_load_b64 v[54:55], v66 offset:8
	s_mov_b32 s40, 0
.LBB228_36:                             ;   Parent Loop BB228_15 Depth=1
                                        ;     Parent Loop BB228_18 Depth=2
                                        ;       Parent Loop BB228_20 Depth=3
                                        ; =>      This Inner Loop Header: Depth=4
	s_waitcnt lgkmcnt(0)
	v_add_f64 v[67:68], v[54:55], v[52:53]
	ds_cmpstore_rtn_b64 v[67:68], v66, v[67:68], v[54:55] offset:8
	s_waitcnt lgkmcnt(0)
	v_cmp_eq_u64_e32 vcc_lo, v[67:68], v[54:55]
	v_dual_mov_b32 v54, v67 :: v_dual_mov_b32 v55, v68
	s_or_b32 s40, vcc_lo, s40
	s_delay_alu instid0(SALU_CYCLE_1)
	s_and_not1_b32 exec_lo, exec_lo, s40
	s_cbranch_execnz .LBB228_36
; %bb.37:                               ;   in Loop: Header=BB228_20 Depth=3
	s_or_b32 exec_lo, exec_lo, s40
	s_delay_alu instid0(SALU_CYCLE_1)
	s_and_not1_b32 s35, s35, exec_lo
	s_branch .LBB228_19
.LBB228_38:                             ;   in Loop: Header=BB228_18 Depth=2
	s_or_b32 exec_lo, exec_lo, s33
	s_waitcnt vmcnt(0)
	v_mul_f64 v[50:51], v[6:7], -v[40:41]
	v_mul_f64 v[52:53], v[38:39], v[6:7]
	v_mov_b32_e32 v65, v64
	s_mov_b32 s33, 0
	s_delay_alu instid0(VALU_DEP_3) | instskip(NEXT) | instid1(VALU_DEP_3)
	v_fma_f64 v[50:51], v[38:39], v[4:5], v[50:51]
	v_fma_f64 v[52:53], v[40:41], v[4:5], v[52:53]
	s_delay_alu instid0(VALU_DEP_2) | instskip(NEXT) | instid1(VALU_DEP_2)
	v_fma_f64 v[50:51], v[30:31], v[0:1], v[50:51]
	v_fma_f64 v[52:53], v[32:33], v[0:1], v[52:53]
	s_delay_alu instid0(VALU_DEP_2) | instskip(NEXT) | instid1(VALU_DEP_2)
	v_fma_f64 v[50:51], -v[32:33], v[2:3], v[50:51]
	v_fma_f64 v[52:53], v[30:31], v[2:3], v[52:53]
	s_branch .LBB228_40
.LBB228_39:                             ;   in Loop: Header=BB228_40 Depth=3
	s_or_b32 exec_lo, exec_lo, s34
	s_xor_b32 s34, s35, -1
	s_delay_alu instid0(SALU_CYCLE_1) | instskip(NEXT) | instid1(SALU_CYCLE_1)
	s_and_b32 s34, exec_lo, s34
	s_or_b32 s33, s34, s33
	s_delay_alu instid0(SALU_CYCLE_1)
	s_and_not1_b32 exec_lo, exec_lo, s33
	s_cbranch_execz .LBB228_58
.LBB228_40:                             ;   Parent Loop BB228_15 Depth=1
                                        ;     Parent Loop BB228_18 Depth=2
                                        ; =>    This Loop Header: Depth=3
                                        ;         Child Loop BB228_46 Depth 4
                                        ;         Child Loop BB228_48 Depth 4
	;; [unrolled: 1-line block ×4, first 2 shown]
	v_lshl_add_u32 v54, v65, 2, v57
	s_mov_b32 s34, exec_lo
                                        ; implicit-def: $sgpr35
	ds_load_b32 v55, v54
	s_waitcnt lgkmcnt(0)
	v_cmpx_ne_u32_e64 v55, v63
	s_xor_b32 s34, exec_lo, s34
	s_cbranch_execz .LBB228_52
; %bb.41:                               ;   in Loop: Header=BB228_40 Depth=3
	s_mov_b32 s40, exec_lo
                                        ; implicit-def: $sgpr35
	v_cmpx_ne_u32_e64 s2, v55
	s_xor_b32 s40, exec_lo, s40
; %bb.42:                               ;   in Loop: Header=BB228_40 Depth=3
	v_add_nc_u32_e32 v54, 1, v65
	s_mov_b32 s35, -1
	s_delay_alu instid0(VALU_DEP_1)
	v_and_b32_e32 v65, 15, v54
                                        ; implicit-def: $vgpr54
; %bb.43:                               ;   in Loop: Header=BB228_40 Depth=3
	s_and_not1_saveexec_b32 s40, s40
	s_cbranch_execz .LBB228_51
; %bb.44:                               ;   in Loop: Header=BB228_40 Depth=3
	v_mov_b32_e32 v55, s2
	s_mov_b32 s42, -1
	s_mov_b32 s41, exec_lo
	ds_cmpstore_rtn_b32 v54, v54, v63, v55
	s_waitcnt lgkmcnt(0)
	v_cmpx_eq_u32_e64 s2, v54
	s_cbranch_execz .LBB228_50
; %bb.45:                               ;   in Loop: Header=BB228_40 Depth=3
	v_lshl_add_u32 v66, v65, 6, v60
	s_mov_b32 s42, 0
	ds_load_b64 v[54:55], v66
.LBB228_46:                             ;   Parent Loop BB228_15 Depth=1
                                        ;     Parent Loop BB228_18 Depth=2
                                        ;       Parent Loop BB228_40 Depth=3
                                        ; =>      This Inner Loop Header: Depth=4
	s_waitcnt lgkmcnt(0)
	v_add_f64 v[67:68], v[54:55], v[50:51]
	ds_cmpstore_rtn_b64 v[67:68], v66, v[67:68], v[54:55]
	s_waitcnt lgkmcnt(0)
	v_cmp_eq_u64_e32 vcc_lo, v[67:68], v[54:55]
	v_dual_mov_b32 v54, v67 :: v_dual_mov_b32 v55, v68
	s_or_b32 s42, vcc_lo, s42
	s_delay_alu instid0(SALU_CYCLE_1)
	s_and_not1_b32 exec_lo, exec_lo, s42
	s_cbranch_execnz .LBB228_46
; %bb.47:                               ;   in Loop: Header=BB228_40 Depth=3
	s_or_b32 exec_lo, exec_lo, s42
	ds_load_b64 v[54:55], v66 offset:8
	s_mov_b32 s42, 0
.LBB228_48:                             ;   Parent Loop BB228_15 Depth=1
                                        ;     Parent Loop BB228_18 Depth=2
                                        ;       Parent Loop BB228_40 Depth=3
                                        ; =>      This Inner Loop Header: Depth=4
	s_waitcnt lgkmcnt(0)
	v_add_f64 v[67:68], v[54:55], v[52:53]
	ds_cmpstore_rtn_b64 v[67:68], v66, v[67:68], v[54:55] offset:8
	s_waitcnt lgkmcnt(0)
	v_cmp_eq_u64_e32 vcc_lo, v[67:68], v[54:55]
	v_dual_mov_b32 v54, v67 :: v_dual_mov_b32 v55, v68
	s_or_b32 s42, vcc_lo, s42
	s_delay_alu instid0(SALU_CYCLE_1)
	s_and_not1_b32 exec_lo, exec_lo, s42
	s_cbranch_execnz .LBB228_48
; %bb.49:                               ;   in Loop: Header=BB228_40 Depth=3
	s_or_b32 exec_lo, exec_lo, s42
	s_delay_alu instid0(SALU_CYCLE_1)
	s_xor_b32 s42, exec_lo, -1
.LBB228_50:                             ;   in Loop: Header=BB228_40 Depth=3
	s_or_b32 exec_lo, exec_lo, s41
	s_delay_alu instid0(SALU_CYCLE_1) | instskip(SKIP_1) | instid1(SALU_CYCLE_1)
	s_and_not1_b32 s35, s35, exec_lo
	s_and_b32 s41, s42, exec_lo
	s_or_b32 s35, s35, s41
.LBB228_51:                             ;   in Loop: Header=BB228_40 Depth=3
	s_or_b32 exec_lo, exec_lo, s40
	s_delay_alu instid0(SALU_CYCLE_1)
	s_and_b32 s35, s35, exec_lo
.LBB228_52:                             ;   in Loop: Header=BB228_40 Depth=3
	s_and_not1_saveexec_b32 s34, s34
	s_cbranch_execz .LBB228_39
; %bb.53:                               ;   in Loop: Header=BB228_40 Depth=3
	v_lshl_add_u32 v66, v65, 6, v60
	s_mov_b32 s40, 0
	ds_load_b64 v[54:55], v66
.LBB228_54:                             ;   Parent Loop BB228_15 Depth=1
                                        ;     Parent Loop BB228_18 Depth=2
                                        ;       Parent Loop BB228_40 Depth=3
                                        ; =>      This Inner Loop Header: Depth=4
	s_waitcnt lgkmcnt(0)
	v_add_f64 v[67:68], v[54:55], v[50:51]
	ds_cmpstore_rtn_b64 v[67:68], v66, v[67:68], v[54:55]
	s_waitcnt lgkmcnt(0)
	v_cmp_eq_u64_e32 vcc_lo, v[67:68], v[54:55]
	v_dual_mov_b32 v54, v67 :: v_dual_mov_b32 v55, v68
	s_or_b32 s40, vcc_lo, s40
	s_delay_alu instid0(SALU_CYCLE_1)
	s_and_not1_b32 exec_lo, exec_lo, s40
	s_cbranch_execnz .LBB228_54
; %bb.55:                               ;   in Loop: Header=BB228_40 Depth=3
	s_or_b32 exec_lo, exec_lo, s40
	ds_load_b64 v[54:55], v66 offset:8
	s_mov_b32 s40, 0
.LBB228_56:                             ;   Parent Loop BB228_15 Depth=1
                                        ;     Parent Loop BB228_18 Depth=2
                                        ;       Parent Loop BB228_40 Depth=3
                                        ; =>      This Inner Loop Header: Depth=4
	s_waitcnt lgkmcnt(0)
	v_add_f64 v[67:68], v[54:55], v[52:53]
	ds_cmpstore_rtn_b64 v[67:68], v66, v[67:68], v[54:55] offset:8
	s_waitcnt lgkmcnt(0)
	v_cmp_eq_u64_e32 vcc_lo, v[67:68], v[54:55]
	v_dual_mov_b32 v54, v67 :: v_dual_mov_b32 v55, v68
	s_or_b32 s40, vcc_lo, s40
	s_delay_alu instid0(SALU_CYCLE_1)
	s_and_not1_b32 exec_lo, exec_lo, s40
	s_cbranch_execnz .LBB228_56
; %bb.57:                               ;   in Loop: Header=BB228_40 Depth=3
	s_or_b32 exec_lo, exec_lo, s40
	s_delay_alu instid0(SALU_CYCLE_1)
	s_and_not1_b32 s35, s35, exec_lo
	s_branch .LBB228_39
.LBB228_58:                             ;   in Loop: Header=BB228_18 Depth=2
	s_or_b32 exec_lo, exec_lo, s33
	v_mul_f64 v[50:51], v[14:15], -v[36:37]
	v_mul_f64 v[14:15], v[34:35], v[14:15]
	s_mov_b32 s33, 0
	s_delay_alu instid0(VALU_DEP_2) | instskip(NEXT) | instid1(VALU_DEP_2)
	v_fma_f64 v[50:51], v[34:35], v[12:13], v[50:51]
	v_fma_f64 v[12:13], v[36:37], v[12:13], v[14:15]
	s_delay_alu instid0(VALU_DEP_2) | instskip(NEXT) | instid1(VALU_DEP_2)
	v_fma_f64 v[14:15], v[42:43], v[8:9], v[50:51]
	v_fma_f64 v[12:13], v[44:45], v[8:9], v[12:13]
	s_delay_alu instid0(VALU_DEP_2) | instskip(NEXT) | instid1(VALU_DEP_2)
	v_fma_f64 v[8:9], -v[44:45], v[10:11], v[14:15]
	v_fma_f64 v[10:11], v[42:43], v[10:11], v[12:13]
	v_mov_b32_e32 v14, v64
	s_branch .LBB228_60
.LBB228_59:                             ;   in Loop: Header=BB228_60 Depth=3
	s_or_b32 exec_lo, exec_lo, s34
	s_xor_b32 s34, s35, -1
	s_delay_alu instid0(SALU_CYCLE_1) | instskip(NEXT) | instid1(SALU_CYCLE_1)
	s_and_b32 s34, exec_lo, s34
	s_or_b32 s33, s34, s33
	s_delay_alu instid0(SALU_CYCLE_1)
	s_and_not1_b32 exec_lo, exec_lo, s33
	s_cbranch_execz .LBB228_78
.LBB228_60:                             ;   Parent Loop BB228_15 Depth=1
                                        ;     Parent Loop BB228_18 Depth=2
                                        ; =>    This Loop Header: Depth=3
                                        ;         Child Loop BB228_66 Depth 4
                                        ;         Child Loop BB228_68 Depth 4
	;; [unrolled: 1-line block ×4, first 2 shown]
	s_delay_alu instid0(VALU_DEP_1)
	v_lshl_add_u32 v12, v14, 2, v57
	s_mov_b32 s34, exec_lo
                                        ; implicit-def: $sgpr35
	ds_load_b32 v13, v12
	s_waitcnt lgkmcnt(0)
	v_cmpx_ne_u32_e64 v13, v63
	s_xor_b32 s34, exec_lo, s34
	s_cbranch_execz .LBB228_72
; %bb.61:                               ;   in Loop: Header=BB228_60 Depth=3
	s_mov_b32 s40, exec_lo
                                        ; implicit-def: $sgpr35
	v_cmpx_ne_u32_e64 s2, v13
	s_xor_b32 s40, exec_lo, s40
; %bb.62:                               ;   in Loop: Header=BB228_60 Depth=3
	v_add_nc_u32_e32 v12, 1, v14
	s_mov_b32 s35, -1
	s_delay_alu instid0(VALU_DEP_1)
	v_and_b32_e32 v14, 15, v12
                                        ; implicit-def: $vgpr12
; %bb.63:                               ;   in Loop: Header=BB228_60 Depth=3
	s_and_not1_saveexec_b32 s40, s40
	s_cbranch_execz .LBB228_71
; %bb.64:                               ;   in Loop: Header=BB228_60 Depth=3
	v_mov_b32_e32 v13, s2
	s_mov_b32 s42, -1
	s_mov_b32 s41, exec_lo
	ds_cmpstore_rtn_b32 v12, v12, v63, v13
	s_waitcnt lgkmcnt(0)
	v_cmpx_eq_u32_e64 s2, v12
	s_cbranch_execz .LBB228_70
; %bb.65:                               ;   in Loop: Header=BB228_60 Depth=3
	v_lshl_add_u32 v15, v14, 6, v61
	s_mov_b32 s42, 0
	ds_load_b64 v[12:13], v15
.LBB228_66:                             ;   Parent Loop BB228_15 Depth=1
                                        ;     Parent Loop BB228_18 Depth=2
                                        ;       Parent Loop BB228_60 Depth=3
                                        ; =>      This Inner Loop Header: Depth=4
	s_waitcnt lgkmcnt(0)
	v_add_f64 v[50:51], v[12:13], v[8:9]
	ds_cmpstore_rtn_b64 v[50:51], v15, v[50:51], v[12:13]
	s_waitcnt lgkmcnt(0)
	v_cmp_eq_u64_e32 vcc_lo, v[50:51], v[12:13]
	v_dual_mov_b32 v12, v50 :: v_dual_mov_b32 v13, v51
	s_or_b32 s42, vcc_lo, s42
	s_delay_alu instid0(SALU_CYCLE_1)
	s_and_not1_b32 exec_lo, exec_lo, s42
	s_cbranch_execnz .LBB228_66
; %bb.67:                               ;   in Loop: Header=BB228_60 Depth=3
	s_or_b32 exec_lo, exec_lo, s42
	ds_load_b64 v[12:13], v15 offset:8
	s_mov_b32 s42, 0
.LBB228_68:                             ;   Parent Loop BB228_15 Depth=1
                                        ;     Parent Loop BB228_18 Depth=2
                                        ;       Parent Loop BB228_60 Depth=3
                                        ; =>      This Inner Loop Header: Depth=4
	s_waitcnt lgkmcnt(0)
	v_add_f64 v[50:51], v[12:13], v[10:11]
	ds_cmpstore_rtn_b64 v[50:51], v15, v[50:51], v[12:13] offset:8
	s_waitcnt lgkmcnt(0)
	v_cmp_eq_u64_e32 vcc_lo, v[50:51], v[12:13]
	v_dual_mov_b32 v12, v50 :: v_dual_mov_b32 v13, v51
	s_or_b32 s42, vcc_lo, s42
	s_delay_alu instid0(SALU_CYCLE_1)
	s_and_not1_b32 exec_lo, exec_lo, s42
	s_cbranch_execnz .LBB228_68
; %bb.69:                               ;   in Loop: Header=BB228_60 Depth=3
	s_or_b32 exec_lo, exec_lo, s42
	s_delay_alu instid0(SALU_CYCLE_1)
	s_xor_b32 s42, exec_lo, -1
.LBB228_70:                             ;   in Loop: Header=BB228_60 Depth=3
	s_or_b32 exec_lo, exec_lo, s41
	s_delay_alu instid0(SALU_CYCLE_1) | instskip(SKIP_1) | instid1(SALU_CYCLE_1)
	s_and_not1_b32 s35, s35, exec_lo
	s_and_b32 s41, s42, exec_lo
	s_or_b32 s35, s35, s41
.LBB228_71:                             ;   in Loop: Header=BB228_60 Depth=3
	s_or_b32 exec_lo, exec_lo, s40
	s_delay_alu instid0(SALU_CYCLE_1)
	s_and_b32 s35, s35, exec_lo
.LBB228_72:                             ;   in Loop: Header=BB228_60 Depth=3
	s_and_not1_saveexec_b32 s34, s34
	s_cbranch_execz .LBB228_59
; %bb.73:                               ;   in Loop: Header=BB228_60 Depth=3
	v_lshl_add_u32 v15, v14, 6, v61
	s_mov_b32 s40, 0
	ds_load_b64 v[12:13], v15
.LBB228_74:                             ;   Parent Loop BB228_15 Depth=1
                                        ;     Parent Loop BB228_18 Depth=2
                                        ;       Parent Loop BB228_60 Depth=3
                                        ; =>      This Inner Loop Header: Depth=4
	s_waitcnt lgkmcnt(0)
	v_add_f64 v[50:51], v[12:13], v[8:9]
	ds_cmpstore_rtn_b64 v[50:51], v15, v[50:51], v[12:13]
	s_waitcnt lgkmcnt(0)
	v_cmp_eq_u64_e32 vcc_lo, v[50:51], v[12:13]
	v_dual_mov_b32 v12, v50 :: v_dual_mov_b32 v13, v51
	s_or_b32 s40, vcc_lo, s40
	s_delay_alu instid0(SALU_CYCLE_1)
	s_and_not1_b32 exec_lo, exec_lo, s40
	s_cbranch_execnz .LBB228_74
; %bb.75:                               ;   in Loop: Header=BB228_60 Depth=3
	s_or_b32 exec_lo, exec_lo, s40
	ds_load_b64 v[12:13], v15 offset:8
	s_mov_b32 s40, 0
.LBB228_76:                             ;   Parent Loop BB228_15 Depth=1
                                        ;     Parent Loop BB228_18 Depth=2
                                        ;       Parent Loop BB228_60 Depth=3
                                        ; =>      This Inner Loop Header: Depth=4
	s_waitcnt lgkmcnt(0)
	v_add_f64 v[50:51], v[12:13], v[10:11]
	ds_cmpstore_rtn_b64 v[50:51], v15, v[50:51], v[12:13] offset:8
	s_waitcnt lgkmcnt(0)
	v_cmp_eq_u64_e32 vcc_lo, v[50:51], v[12:13]
	v_dual_mov_b32 v12, v50 :: v_dual_mov_b32 v13, v51
	s_or_b32 s40, vcc_lo, s40
	s_delay_alu instid0(SALU_CYCLE_1)
	s_and_not1_b32 exec_lo, exec_lo, s40
	s_cbranch_execnz .LBB228_76
; %bb.77:                               ;   in Loop: Header=BB228_60 Depth=3
	s_or_b32 exec_lo, exec_lo, s40
	s_delay_alu instid0(SALU_CYCLE_1)
	s_and_not1_b32 s35, s35, exec_lo
	s_branch .LBB228_59
.LBB228_78:                             ;   in Loop: Header=BB228_18 Depth=2
	s_or_b32 exec_lo, exec_lo, s33
	v_mul_f64 v[8:9], v[6:7], -v[36:37]
	v_mul_f64 v[6:7], v[34:35], v[6:7]
	s_mov_b32 s33, 0
	s_delay_alu instid0(VALU_DEP_2) | instskip(NEXT) | instid1(VALU_DEP_2)
	v_fma_f64 v[8:9], v[34:35], v[4:5], v[8:9]
	v_fma_f64 v[4:5], v[36:37], v[4:5], v[6:7]
	s_delay_alu instid0(VALU_DEP_2) | instskip(NEXT) | instid1(VALU_DEP_2)
	v_fma_f64 v[6:7], v[42:43], v[0:1], v[8:9]
	v_fma_f64 v[4:5], v[44:45], v[0:1], v[4:5]
	s_delay_alu instid0(VALU_DEP_2) | instskip(NEXT) | instid1(VALU_DEP_2)
	v_fma_f64 v[0:1], -v[44:45], v[2:3], v[6:7]
	v_fma_f64 v[2:3], v[42:43], v[2:3], v[4:5]
	s_branch .LBB228_80
.LBB228_79:                             ;   in Loop: Header=BB228_80 Depth=3
	s_or_b32 exec_lo, exec_lo, s34
	s_xor_b32 s34, s35, -1
	s_delay_alu instid0(SALU_CYCLE_1) | instskip(NEXT) | instid1(SALU_CYCLE_1)
	s_and_b32 s34, exec_lo, s34
	s_or_b32 s33, s34, s33
	s_delay_alu instid0(SALU_CYCLE_1)
	s_and_not1_b32 exec_lo, exec_lo, s33
	s_cbranch_execz .LBB228_17
.LBB228_80:                             ;   Parent Loop BB228_15 Depth=1
                                        ;     Parent Loop BB228_18 Depth=2
                                        ; =>    This Loop Header: Depth=3
                                        ;         Child Loop BB228_86 Depth 4
                                        ;         Child Loop BB228_88 Depth 4
	;; [unrolled: 1-line block ×4, first 2 shown]
	v_lshl_add_u32 v4, v64, 2, v57
	s_mov_b32 s34, exec_lo
                                        ; implicit-def: $sgpr35
	ds_load_b32 v5, v4
	s_waitcnt lgkmcnt(0)
	v_cmpx_ne_u32_e64 v5, v63
	s_xor_b32 s34, exec_lo, s34
	s_cbranch_execz .LBB228_92
; %bb.81:                               ;   in Loop: Header=BB228_80 Depth=3
	s_mov_b32 s40, exec_lo
                                        ; implicit-def: $sgpr35
	v_cmpx_ne_u32_e64 s2, v5
	s_xor_b32 s40, exec_lo, s40
; %bb.82:                               ;   in Loop: Header=BB228_80 Depth=3
	v_add_nc_u32_e32 v4, 1, v64
	s_mov_b32 s35, -1
	s_delay_alu instid0(VALU_DEP_1)
	v_and_b32_e32 v64, 15, v4
                                        ; implicit-def: $vgpr4
; %bb.83:                               ;   in Loop: Header=BB228_80 Depth=3
	s_and_not1_saveexec_b32 s40, s40
	s_cbranch_execz .LBB228_91
; %bb.84:                               ;   in Loop: Header=BB228_80 Depth=3
	v_mov_b32_e32 v5, s2
	s_mov_b32 s42, -1
	s_mov_b32 s41, exec_lo
	ds_cmpstore_rtn_b32 v4, v4, v63, v5
	s_waitcnt lgkmcnt(0)
	v_cmpx_eq_u32_e64 s2, v4
	s_cbranch_execz .LBB228_90
; %bb.85:                               ;   in Loop: Header=BB228_80 Depth=3
	v_lshl_add_u32 v6, v64, 6, v62
	s_mov_b32 s42, 0
	ds_load_b64 v[4:5], v6
.LBB228_86:                             ;   Parent Loop BB228_15 Depth=1
                                        ;     Parent Loop BB228_18 Depth=2
                                        ;       Parent Loop BB228_80 Depth=3
                                        ; =>      This Inner Loop Header: Depth=4
	s_waitcnt lgkmcnt(0)
	v_add_f64 v[7:8], v[4:5], v[0:1]
	ds_cmpstore_rtn_b64 v[7:8], v6, v[7:8], v[4:5]
	s_waitcnt lgkmcnt(0)
	v_cmp_eq_u64_e32 vcc_lo, v[7:8], v[4:5]
	v_dual_mov_b32 v4, v7 :: v_dual_mov_b32 v5, v8
	s_or_b32 s42, vcc_lo, s42
	s_delay_alu instid0(SALU_CYCLE_1)
	s_and_not1_b32 exec_lo, exec_lo, s42
	s_cbranch_execnz .LBB228_86
; %bb.87:                               ;   in Loop: Header=BB228_80 Depth=3
	s_or_b32 exec_lo, exec_lo, s42
	ds_load_b64 v[4:5], v6 offset:8
	s_mov_b32 s42, 0
.LBB228_88:                             ;   Parent Loop BB228_15 Depth=1
                                        ;     Parent Loop BB228_18 Depth=2
                                        ;       Parent Loop BB228_80 Depth=3
                                        ; =>      This Inner Loop Header: Depth=4
	s_waitcnt lgkmcnt(0)
	v_add_f64 v[7:8], v[4:5], v[2:3]
	ds_cmpstore_rtn_b64 v[7:8], v6, v[7:8], v[4:5] offset:8
	s_waitcnt lgkmcnt(0)
	v_cmp_eq_u64_e32 vcc_lo, v[7:8], v[4:5]
	v_dual_mov_b32 v4, v7 :: v_dual_mov_b32 v5, v8
	s_or_b32 s42, vcc_lo, s42
	s_delay_alu instid0(SALU_CYCLE_1)
	s_and_not1_b32 exec_lo, exec_lo, s42
	s_cbranch_execnz .LBB228_88
; %bb.89:                               ;   in Loop: Header=BB228_80 Depth=3
	s_or_b32 exec_lo, exec_lo, s42
	s_delay_alu instid0(SALU_CYCLE_1)
	s_xor_b32 s42, exec_lo, -1
.LBB228_90:                             ;   in Loop: Header=BB228_80 Depth=3
	s_or_b32 exec_lo, exec_lo, s41
	s_delay_alu instid0(SALU_CYCLE_1) | instskip(SKIP_1) | instid1(SALU_CYCLE_1)
	s_and_not1_b32 s35, s35, exec_lo
	s_and_b32 s41, s42, exec_lo
	s_or_b32 s35, s35, s41
.LBB228_91:                             ;   in Loop: Header=BB228_80 Depth=3
	s_or_b32 exec_lo, exec_lo, s40
	s_delay_alu instid0(SALU_CYCLE_1)
	s_and_b32 s35, s35, exec_lo
.LBB228_92:                             ;   in Loop: Header=BB228_80 Depth=3
	s_and_not1_saveexec_b32 s34, s34
	s_cbranch_execz .LBB228_79
; %bb.93:                               ;   in Loop: Header=BB228_80 Depth=3
	v_lshl_add_u32 v6, v64, 6, v62
	s_mov_b32 s40, 0
	ds_load_b64 v[4:5], v6
.LBB228_94:                             ;   Parent Loop BB228_15 Depth=1
                                        ;     Parent Loop BB228_18 Depth=2
                                        ;       Parent Loop BB228_80 Depth=3
                                        ; =>      This Inner Loop Header: Depth=4
	s_waitcnt lgkmcnt(0)
	v_add_f64 v[7:8], v[4:5], v[0:1]
	ds_cmpstore_rtn_b64 v[7:8], v6, v[7:8], v[4:5]
	s_waitcnt lgkmcnt(0)
	v_cmp_eq_u64_e32 vcc_lo, v[7:8], v[4:5]
	v_dual_mov_b32 v4, v7 :: v_dual_mov_b32 v5, v8
	s_or_b32 s40, vcc_lo, s40
	s_delay_alu instid0(SALU_CYCLE_1)
	s_and_not1_b32 exec_lo, exec_lo, s40
	s_cbranch_execnz .LBB228_94
; %bb.95:                               ;   in Loop: Header=BB228_80 Depth=3
	s_or_b32 exec_lo, exec_lo, s40
	ds_load_b64 v[4:5], v6 offset:8
	s_mov_b32 s40, 0
.LBB228_96:                             ;   Parent Loop BB228_15 Depth=1
                                        ;     Parent Loop BB228_18 Depth=2
                                        ;       Parent Loop BB228_80 Depth=3
                                        ; =>      This Inner Loop Header: Depth=4
	s_waitcnt lgkmcnt(0)
	v_add_f64 v[7:8], v[4:5], v[2:3]
	ds_cmpstore_rtn_b64 v[7:8], v6, v[7:8], v[4:5] offset:8
	s_waitcnt lgkmcnt(0)
	v_cmp_eq_u64_e32 vcc_lo, v[7:8], v[4:5]
	v_dual_mov_b32 v4, v7 :: v_dual_mov_b32 v5, v8
	s_or_b32 s40, vcc_lo, s40
	s_delay_alu instid0(SALU_CYCLE_1)
	s_and_not1_b32 exec_lo, exec_lo, s40
	s_cbranch_execnz .LBB228_96
; %bb.97:                               ;   in Loop: Header=BB228_80 Depth=3
	s_or_b32 exec_lo, exec_lo, s40
	s_delay_alu instid0(SALU_CYCLE_1)
	s_and_not1_b32 s35, s35, exec_lo
	s_branch .LBB228_79
.LBB228_98:
	s_or_b32 exec_lo, exec_lo, s1
.LBB228_99:
	s_delay_alu instid0(SALU_CYCLE_1)
	s_and_not1_b32 vcc_lo, exec_lo, s12
	buffer_gl0_inv
	s_cbranch_vccnz .LBB228_184
; %bb.100:
	v_add_co_u32 v0, vcc_lo, s4, v20
	v_add_co_ci_u32_e32 v1, vcc_lo, s5, v21, vcc_lo
	v_sub_co_u32 v4, s1, v56, s27
	s_delay_alu instid0(VALU_DEP_1)
	v_sub_co_ci_u32_e64 v5, null, 0, 0, s1
	global_load_b128 v[0:3], v[0:1], off
	s_mov_b32 s3, 0
	s_mov_b32 s1, exec_lo
	s_waitcnt vmcnt(0)
	v_sub_co_u32 v12, vcc_lo, v2, s27
	v_subrev_co_ci_u32_e32 v13, vcc_lo, 0, v3, vcc_lo
	v_add_co_u32 v14, vcc_lo, v0, v4
	v_add_co_ci_u32_e32 v15, vcc_lo, v1, v5, vcc_lo
	s_delay_alu instid0(VALU_DEP_1)
	v_cmpx_lt_i64_e64 v[14:15], v[12:13]
	s_cbranch_execz .LBB228_183
; %bb.101:
	v_add_nc_u32_e32 v28, 16, v58
	v_add_nc_u32_e32 v29, 32, v58
	;; [unrolled: 1-line block ×3, first 2 shown]
	s_cmp_eq_u32 s0, 0
	s_cselect_b32 s4, 1, 2
	s_cselect_b32 s5, 2, 1
	s_branch .LBB228_103
.LBB228_102:                            ;   in Loop: Header=BB228_103 Depth=1
	s_or_b32 exec_lo, exec_lo, s12
	v_add_co_u32 v14, vcc_lo, v14, 16
	v_add_co_ci_u32_e32 v15, vcc_lo, 0, v15, vcc_lo
	s_delay_alu instid0(VALU_DEP_1) | instskip(SKIP_1) | instid1(SALU_CYCLE_1)
	v_cmp_ge_i64_e32 vcc_lo, v[14:15], v[12:13]
	s_or_b32 s3, vcc_lo, s3
	s_and_not1_b32 exec_lo, exec_lo, s3
	s_cbranch_execz .LBB228_183
.LBB228_103:                            ; =>This Loop Header: Depth=1
                                        ;     Child Loop BB228_105 Depth 2
                                        ;       Child Loop BB228_111 Depth 3
                                        ;       Child Loop BB228_113 Depth 3
                                        ;       Child Loop BB228_119 Depth 3
                                        ;       Child Loop BB228_121 Depth 3
                                        ;     Child Loop BB228_125 Depth 2
                                        ;       Child Loop BB228_131 Depth 3
                                        ;       Child Loop BB228_133 Depth 3
                                        ;       Child Loop BB228_139 Depth 3
                                        ;       Child Loop BB228_141 Depth 3
	;; [unrolled: 5-line block ×4, first 2 shown]
	v_lshlrev_b64 v[0:1], 6, v[14:15]
	v_lshlrev_b64 v[2:3], 2, v[14:15]
	s_mov_b32 s12, 0
	s_delay_alu instid0(VALU_DEP_2) | instskip(NEXT) | instid1(VALU_DEP_3)
	v_add_co_u32 v0, vcc_lo, s8, v0
	v_add_co_ci_u32_e32 v1, vcc_lo, s9, v1, vcc_lo
	s_delay_alu instid0(VALU_DEP_3) | instskip(NEXT) | instid1(VALU_DEP_4)
	v_add_co_u32 v4, vcc_lo, s6, v2
	v_add_co_ci_u32_e32 v5, vcc_lo, s7, v3, vcc_lo
	global_load_b128 v[24:27], v[0:1], off
	v_or_b32_e32 v7, 0, v3
	v_or_b32_e32 v6, s4, v2
	global_load_b32 v31, v[4:5], off
	v_or_b32_e32 v3, 0, v3
	v_or_b32_e32 v2, s5, v2
	v_lshlrev_b64 v[4:5], 4, v[6:7]
	s_delay_alu instid0(VALU_DEP_2) | instskip(NEXT) | instid1(VALU_DEP_2)
	v_lshlrev_b64 v[2:3], 4, v[2:3]
	v_add_co_u32 v4, vcc_lo, s8, v4
	s_delay_alu instid0(VALU_DEP_3) | instskip(NEXT) | instid1(VALU_DEP_3)
	v_add_co_ci_u32_e32 v5, vcc_lo, s9, v5, vcc_lo
	v_add_co_u32 v6, vcc_lo, s8, v2
	s_delay_alu instid0(VALU_DEP_4)
	v_add_co_ci_u32_e32 v7, vcc_lo, s9, v3, vcc_lo
	s_clause 0x2
	global_load_b128 v[0:3], v[0:1], off offset:48
	global_load_b128 v[8:11], v[4:5], off
	global_load_b128 v[4:7], v[6:7], off
	s_waitcnt vmcnt(4)
	v_mul_f64 v[22:23], v[26:27], -v[16:17]
	v_mul_f64 v[26:27], v[18:19], v[26:27]
	s_waitcnt vmcnt(3)
	v_subrev_nc_u32_e32 v31, s27, v31
	s_delay_alu instid0(VALU_DEP_3) | instskip(NEXT) | instid1(VALU_DEP_3)
	v_fma_f64 v[22:23], v[18:19], v[24:25], v[22:23]
	v_fma_f64 v[24:25], v[16:17], v[24:25], v[26:27]
	s_delay_alu instid0(VALU_DEP_3) | instskip(NEXT) | instid1(VALU_DEP_1)
	v_lshl_add_u32 v26, v31, 3, v31
	v_and_b32_e32 v32, 15, v26
	s_delay_alu instid0(VALU_DEP_1)
	v_mov_b32_e32 v33, v32
	s_branch .LBB228_105
.LBB228_104:                            ;   in Loop: Header=BB228_105 Depth=2
	s_or_b32 exec_lo, exec_lo, s13
	s_xor_b32 s13, s14, -1
	s_delay_alu instid0(SALU_CYCLE_1) | instskip(NEXT) | instid1(SALU_CYCLE_1)
	s_and_b32 s13, exec_lo, s13
	s_or_b32 s12, s13, s12
	s_delay_alu instid0(SALU_CYCLE_1)
	s_and_not1_b32 exec_lo, exec_lo, s12
	s_cbranch_execz .LBB228_123
.LBB228_105:                            ;   Parent Loop BB228_103 Depth=1
                                        ; =>  This Loop Header: Depth=2
                                        ;       Child Loop BB228_111 Depth 3
                                        ;       Child Loop BB228_113 Depth 3
	;; [unrolled: 1-line block ×4, first 2 shown]
	s_delay_alu instid0(VALU_DEP_1)
	v_lshl_add_u32 v26, v33, 2, v57
	s_mov_b32 s13, exec_lo
                                        ; implicit-def: $sgpr14
	ds_load_b32 v27, v26
	s_waitcnt lgkmcnt(0)
	v_cmpx_ne_u32_e64 v27, v31
	s_xor_b32 s13, exec_lo, s13
	s_cbranch_execz .LBB228_117
; %bb.106:                              ;   in Loop: Header=BB228_105 Depth=2
	s_mov_b32 s15, exec_lo
                                        ; implicit-def: $sgpr14
	v_cmpx_ne_u32_e64 s2, v27
	s_xor_b32 s15, exec_lo, s15
; %bb.107:                              ;   in Loop: Header=BB228_105 Depth=2
	v_add_nc_u32_e32 v26, 1, v33
	s_mov_b32 s14, -1
	s_delay_alu instid0(VALU_DEP_1)
	v_and_b32_e32 v33, 15, v26
                                        ; implicit-def: $vgpr26
; %bb.108:                              ;   in Loop: Header=BB228_105 Depth=2
	s_and_not1_saveexec_b32 s15, s15
	s_cbranch_execz .LBB228_116
; %bb.109:                              ;   in Loop: Header=BB228_105 Depth=2
	v_mov_b32_e32 v27, s2
	s_mov_b32 s17, -1
	s_mov_b32 s16, exec_lo
	ds_cmpstore_rtn_b32 v26, v26, v31, v27
	s_waitcnt lgkmcnt(0)
	v_cmpx_eq_u32_e64 s2, v26
	s_cbranch_execz .LBB228_115
; %bb.110:                              ;   in Loop: Header=BB228_105 Depth=2
	v_lshlrev_b32_e32 v26, 6, v33
	s_mov_b32 s17, 0
	s_delay_alu instid0(VALU_DEP_1)
	v_add_nc_u32_e32 v34, v58, v26
	ds_load_b64 v[26:27], v34
.LBB228_111:                            ;   Parent Loop BB228_103 Depth=1
                                        ;     Parent Loop BB228_105 Depth=2
                                        ; =>    This Inner Loop Header: Depth=3
	s_waitcnt lgkmcnt(0)
	v_add_f64 v[35:36], v[26:27], v[22:23]
	ds_cmpstore_rtn_b64 v[35:36], v34, v[35:36], v[26:27]
	s_waitcnt lgkmcnt(0)
	v_cmp_eq_u64_e32 vcc_lo, v[35:36], v[26:27]
	v_dual_mov_b32 v26, v35 :: v_dual_mov_b32 v27, v36
	s_or_b32 s17, vcc_lo, s17
	s_delay_alu instid0(SALU_CYCLE_1)
	s_and_not1_b32 exec_lo, exec_lo, s17
	s_cbranch_execnz .LBB228_111
; %bb.112:                              ;   in Loop: Header=BB228_105 Depth=2
	s_or_b32 exec_lo, exec_lo, s17
	ds_load_b64 v[26:27], v34 offset:8
	s_mov_b32 s17, 0
.LBB228_113:                            ;   Parent Loop BB228_103 Depth=1
                                        ;     Parent Loop BB228_105 Depth=2
                                        ; =>    This Inner Loop Header: Depth=3
	s_waitcnt lgkmcnt(0)
	v_add_f64 v[35:36], v[26:27], v[24:25]
	ds_cmpstore_rtn_b64 v[35:36], v34, v[35:36], v[26:27] offset:8
	s_waitcnt lgkmcnt(0)
	v_cmp_eq_u64_e32 vcc_lo, v[35:36], v[26:27]
	v_dual_mov_b32 v26, v35 :: v_dual_mov_b32 v27, v36
	s_or_b32 s17, vcc_lo, s17
	s_delay_alu instid0(SALU_CYCLE_1)
	s_and_not1_b32 exec_lo, exec_lo, s17
	s_cbranch_execnz .LBB228_113
; %bb.114:                              ;   in Loop: Header=BB228_105 Depth=2
	s_or_b32 exec_lo, exec_lo, s17
	s_delay_alu instid0(SALU_CYCLE_1)
	s_xor_b32 s17, exec_lo, -1
.LBB228_115:                            ;   in Loop: Header=BB228_105 Depth=2
	s_or_b32 exec_lo, exec_lo, s16
	s_delay_alu instid0(SALU_CYCLE_1) | instskip(SKIP_1) | instid1(SALU_CYCLE_1)
	s_and_not1_b32 s14, s14, exec_lo
	s_and_b32 s16, s17, exec_lo
	s_or_b32 s14, s14, s16
.LBB228_116:                            ;   in Loop: Header=BB228_105 Depth=2
	s_or_b32 exec_lo, exec_lo, s15
	s_delay_alu instid0(SALU_CYCLE_1)
	s_and_b32 s14, s14, exec_lo
.LBB228_117:                            ;   in Loop: Header=BB228_105 Depth=2
	s_and_not1_saveexec_b32 s13, s13
	s_cbranch_execz .LBB228_104
; %bb.118:                              ;   in Loop: Header=BB228_105 Depth=2
	v_lshlrev_b32_e32 v26, 6, v33
	s_mov_b32 s15, 0
	s_delay_alu instid0(VALU_DEP_1)
	v_add_nc_u32_e32 v34, v58, v26
	ds_load_b64 v[26:27], v34
.LBB228_119:                            ;   Parent Loop BB228_103 Depth=1
                                        ;     Parent Loop BB228_105 Depth=2
                                        ; =>    This Inner Loop Header: Depth=3
	s_waitcnt lgkmcnt(0)
	v_add_f64 v[35:36], v[26:27], v[22:23]
	ds_cmpstore_rtn_b64 v[35:36], v34, v[35:36], v[26:27]
	s_waitcnt lgkmcnt(0)
	v_cmp_eq_u64_e32 vcc_lo, v[35:36], v[26:27]
	v_dual_mov_b32 v26, v35 :: v_dual_mov_b32 v27, v36
	s_or_b32 s15, vcc_lo, s15
	s_delay_alu instid0(SALU_CYCLE_1)
	s_and_not1_b32 exec_lo, exec_lo, s15
	s_cbranch_execnz .LBB228_119
; %bb.120:                              ;   in Loop: Header=BB228_105 Depth=2
	s_or_b32 exec_lo, exec_lo, s15
	ds_load_b64 v[26:27], v34 offset:8
	s_mov_b32 s15, 0
.LBB228_121:                            ;   Parent Loop BB228_103 Depth=1
                                        ;     Parent Loop BB228_105 Depth=2
                                        ; =>    This Inner Loop Header: Depth=3
	s_waitcnt lgkmcnt(0)
	v_add_f64 v[35:36], v[26:27], v[24:25]
	ds_cmpstore_rtn_b64 v[35:36], v34, v[35:36], v[26:27] offset:8
	s_waitcnt lgkmcnt(0)
	v_cmp_eq_u64_e32 vcc_lo, v[35:36], v[26:27]
	v_dual_mov_b32 v26, v35 :: v_dual_mov_b32 v27, v36
	s_or_b32 s15, vcc_lo, s15
	s_delay_alu instid0(SALU_CYCLE_1)
	s_and_not1_b32 exec_lo, exec_lo, s15
	s_cbranch_execnz .LBB228_121
; %bb.122:                              ;   in Loop: Header=BB228_105 Depth=2
	s_or_b32 exec_lo, exec_lo, s15
	s_delay_alu instid0(SALU_CYCLE_1)
	s_and_not1_b32 s14, s14, exec_lo
	s_branch .LBB228_104
.LBB228_123:                            ;   in Loop: Header=BB228_103 Depth=1
	s_or_b32 exec_lo, exec_lo, s12
	s_waitcnt vmcnt(1)
	v_mul_f64 v[22:23], v[10:11], -v[16:17]
	v_mul_f64 v[24:25], v[18:19], v[10:11]
	s_mov_b32 s12, 0
	s_delay_alu instid0(VALU_DEP_2) | instskip(NEXT) | instid1(VALU_DEP_2)
	v_fma_f64 v[10:11], v[18:19], v[8:9], v[22:23]
	v_fma_f64 v[8:9], v[16:17], v[8:9], v[24:25]
	v_mov_b32_e32 v24, v32
	s_branch .LBB228_125
.LBB228_124:                            ;   in Loop: Header=BB228_125 Depth=2
	s_or_b32 exec_lo, exec_lo, s13
	s_xor_b32 s13, s14, -1
	s_delay_alu instid0(SALU_CYCLE_1) | instskip(NEXT) | instid1(SALU_CYCLE_1)
	s_and_b32 s13, exec_lo, s13
	s_or_b32 s12, s13, s12
	s_delay_alu instid0(SALU_CYCLE_1)
	s_and_not1_b32 exec_lo, exec_lo, s12
	s_cbranch_execz .LBB228_143
.LBB228_125:                            ;   Parent Loop BB228_103 Depth=1
                                        ; =>  This Loop Header: Depth=2
                                        ;       Child Loop BB228_131 Depth 3
                                        ;       Child Loop BB228_133 Depth 3
	;; [unrolled: 1-line block ×4, first 2 shown]
	s_delay_alu instid0(VALU_DEP_1)
	v_lshl_add_u32 v22, v24, 2, v57
	s_mov_b32 s13, exec_lo
                                        ; implicit-def: $sgpr14
	ds_load_b32 v23, v22
	s_waitcnt lgkmcnt(0)
	v_cmpx_ne_u32_e64 v23, v31
	s_xor_b32 s13, exec_lo, s13
	s_cbranch_execz .LBB228_137
; %bb.126:                              ;   in Loop: Header=BB228_125 Depth=2
	s_mov_b32 s15, exec_lo
                                        ; implicit-def: $sgpr14
	v_cmpx_ne_u32_e64 s2, v23
	s_xor_b32 s15, exec_lo, s15
; %bb.127:                              ;   in Loop: Header=BB228_125 Depth=2
	v_add_nc_u32_e32 v22, 1, v24
	s_mov_b32 s14, -1
	s_delay_alu instid0(VALU_DEP_1)
	v_and_b32_e32 v24, 15, v22
                                        ; implicit-def: $vgpr22
; %bb.128:                              ;   in Loop: Header=BB228_125 Depth=2
	s_and_not1_saveexec_b32 s15, s15
	s_cbranch_execz .LBB228_136
; %bb.129:                              ;   in Loop: Header=BB228_125 Depth=2
	v_mov_b32_e32 v23, s2
	s_mov_b32 s17, -1
	s_mov_b32 s16, exec_lo
	ds_cmpstore_rtn_b32 v22, v22, v31, v23
	s_waitcnt lgkmcnt(0)
	v_cmpx_eq_u32_e64 s2, v22
	s_cbranch_execz .LBB228_135
; %bb.130:                              ;   in Loop: Header=BB228_125 Depth=2
	v_lshl_add_u32 v25, v24, 6, v28
	s_mov_b32 s17, 0
	ds_load_b64 v[22:23], v25
.LBB228_131:                            ;   Parent Loop BB228_103 Depth=1
                                        ;     Parent Loop BB228_125 Depth=2
                                        ; =>    This Inner Loop Header: Depth=3
	s_waitcnt lgkmcnt(0)
	v_add_f64 v[26:27], v[22:23], v[10:11]
	ds_cmpstore_rtn_b64 v[26:27], v25, v[26:27], v[22:23]
	s_waitcnt lgkmcnt(0)
	v_cmp_eq_u64_e32 vcc_lo, v[26:27], v[22:23]
	v_dual_mov_b32 v22, v26 :: v_dual_mov_b32 v23, v27
	s_or_b32 s17, vcc_lo, s17
	s_delay_alu instid0(SALU_CYCLE_1)
	s_and_not1_b32 exec_lo, exec_lo, s17
	s_cbranch_execnz .LBB228_131
; %bb.132:                              ;   in Loop: Header=BB228_125 Depth=2
	s_or_b32 exec_lo, exec_lo, s17
	ds_load_b64 v[22:23], v25 offset:8
	s_mov_b32 s17, 0
.LBB228_133:                            ;   Parent Loop BB228_103 Depth=1
                                        ;     Parent Loop BB228_125 Depth=2
                                        ; =>    This Inner Loop Header: Depth=3
	s_waitcnt lgkmcnt(0)
	v_add_f64 v[26:27], v[22:23], v[8:9]
	ds_cmpstore_rtn_b64 v[26:27], v25, v[26:27], v[22:23] offset:8
	s_waitcnt lgkmcnt(0)
	v_cmp_eq_u64_e32 vcc_lo, v[26:27], v[22:23]
	v_dual_mov_b32 v22, v26 :: v_dual_mov_b32 v23, v27
	s_or_b32 s17, vcc_lo, s17
	s_delay_alu instid0(SALU_CYCLE_1)
	s_and_not1_b32 exec_lo, exec_lo, s17
	s_cbranch_execnz .LBB228_133
; %bb.134:                              ;   in Loop: Header=BB228_125 Depth=2
	s_or_b32 exec_lo, exec_lo, s17
	s_delay_alu instid0(SALU_CYCLE_1)
	s_xor_b32 s17, exec_lo, -1
.LBB228_135:                            ;   in Loop: Header=BB228_125 Depth=2
	s_or_b32 exec_lo, exec_lo, s16
	s_delay_alu instid0(SALU_CYCLE_1) | instskip(SKIP_1) | instid1(SALU_CYCLE_1)
	s_and_not1_b32 s14, s14, exec_lo
	s_and_b32 s16, s17, exec_lo
	s_or_b32 s14, s14, s16
.LBB228_136:                            ;   in Loop: Header=BB228_125 Depth=2
	s_or_b32 exec_lo, exec_lo, s15
	s_delay_alu instid0(SALU_CYCLE_1)
	s_and_b32 s14, s14, exec_lo
.LBB228_137:                            ;   in Loop: Header=BB228_125 Depth=2
	s_and_not1_saveexec_b32 s13, s13
	s_cbranch_execz .LBB228_124
; %bb.138:                              ;   in Loop: Header=BB228_125 Depth=2
	v_lshl_add_u32 v25, v24, 6, v28
	s_mov_b32 s15, 0
	ds_load_b64 v[22:23], v25
.LBB228_139:                            ;   Parent Loop BB228_103 Depth=1
                                        ;     Parent Loop BB228_125 Depth=2
                                        ; =>    This Inner Loop Header: Depth=3
	s_waitcnt lgkmcnt(0)
	v_add_f64 v[26:27], v[22:23], v[10:11]
	ds_cmpstore_rtn_b64 v[26:27], v25, v[26:27], v[22:23]
	s_waitcnt lgkmcnt(0)
	v_cmp_eq_u64_e32 vcc_lo, v[26:27], v[22:23]
	v_dual_mov_b32 v22, v26 :: v_dual_mov_b32 v23, v27
	s_or_b32 s15, vcc_lo, s15
	s_delay_alu instid0(SALU_CYCLE_1)
	s_and_not1_b32 exec_lo, exec_lo, s15
	s_cbranch_execnz .LBB228_139
; %bb.140:                              ;   in Loop: Header=BB228_125 Depth=2
	s_or_b32 exec_lo, exec_lo, s15
	ds_load_b64 v[22:23], v25 offset:8
	s_mov_b32 s15, 0
.LBB228_141:                            ;   Parent Loop BB228_103 Depth=1
                                        ;     Parent Loop BB228_125 Depth=2
                                        ; =>    This Inner Loop Header: Depth=3
	s_waitcnt lgkmcnt(0)
	v_add_f64 v[26:27], v[22:23], v[8:9]
	ds_cmpstore_rtn_b64 v[26:27], v25, v[26:27], v[22:23] offset:8
	s_waitcnt lgkmcnt(0)
	v_cmp_eq_u64_e32 vcc_lo, v[26:27], v[22:23]
	v_dual_mov_b32 v22, v26 :: v_dual_mov_b32 v23, v27
	s_or_b32 s15, vcc_lo, s15
	s_delay_alu instid0(SALU_CYCLE_1)
	s_and_not1_b32 exec_lo, exec_lo, s15
	s_cbranch_execnz .LBB228_141
; %bb.142:                              ;   in Loop: Header=BB228_125 Depth=2
	s_or_b32 exec_lo, exec_lo, s15
	s_delay_alu instid0(SALU_CYCLE_1)
	s_and_not1_b32 s14, s14, exec_lo
	s_branch .LBB228_124
.LBB228_143:                            ;   in Loop: Header=BB228_103 Depth=1
	s_or_b32 exec_lo, exec_lo, s12
	s_waitcnt vmcnt(0)
	v_mul_f64 v[8:9], v[6:7], -v[16:17]
	v_mul_f64 v[10:11], v[18:19], v[6:7]
	s_mov_b32 s12, 0
	s_delay_alu instid0(VALU_DEP_2) | instskip(NEXT) | instid1(VALU_DEP_2)
	v_fma_f64 v[6:7], v[18:19], v[4:5], v[8:9]
	v_fma_f64 v[4:5], v[16:17], v[4:5], v[10:11]
	v_mov_b32_e32 v10, v32
	s_branch .LBB228_145
.LBB228_144:                            ;   in Loop: Header=BB228_145 Depth=2
	s_or_b32 exec_lo, exec_lo, s13
	s_xor_b32 s13, s14, -1
	s_delay_alu instid0(SALU_CYCLE_1) | instskip(NEXT) | instid1(SALU_CYCLE_1)
	s_and_b32 s13, exec_lo, s13
	s_or_b32 s12, s13, s12
	s_delay_alu instid0(SALU_CYCLE_1)
	s_and_not1_b32 exec_lo, exec_lo, s12
	s_cbranch_execz .LBB228_163
.LBB228_145:                            ;   Parent Loop BB228_103 Depth=1
                                        ; =>  This Loop Header: Depth=2
                                        ;       Child Loop BB228_151 Depth 3
                                        ;       Child Loop BB228_153 Depth 3
	;; [unrolled: 1-line block ×4, first 2 shown]
	s_delay_alu instid0(VALU_DEP_1)
	v_lshl_add_u32 v8, v10, 2, v57
	s_mov_b32 s13, exec_lo
                                        ; implicit-def: $sgpr14
	ds_load_b32 v9, v8
	s_waitcnt lgkmcnt(0)
	v_cmpx_ne_u32_e64 v9, v31
	s_xor_b32 s13, exec_lo, s13
	s_cbranch_execz .LBB228_157
; %bb.146:                              ;   in Loop: Header=BB228_145 Depth=2
	s_mov_b32 s15, exec_lo
                                        ; implicit-def: $sgpr14
	v_cmpx_ne_u32_e64 s2, v9
	s_xor_b32 s15, exec_lo, s15
; %bb.147:                              ;   in Loop: Header=BB228_145 Depth=2
	v_add_nc_u32_e32 v8, 1, v10
	s_mov_b32 s14, -1
	s_delay_alu instid0(VALU_DEP_1)
	v_and_b32_e32 v10, 15, v8
                                        ; implicit-def: $vgpr8
; %bb.148:                              ;   in Loop: Header=BB228_145 Depth=2
	s_and_not1_saveexec_b32 s15, s15
	s_cbranch_execz .LBB228_156
; %bb.149:                              ;   in Loop: Header=BB228_145 Depth=2
	v_mov_b32_e32 v9, s2
	s_mov_b32 s17, -1
	s_mov_b32 s16, exec_lo
	ds_cmpstore_rtn_b32 v8, v8, v31, v9
	s_waitcnt lgkmcnt(0)
	v_cmpx_eq_u32_e64 s2, v8
	s_cbranch_execz .LBB228_155
; %bb.150:                              ;   in Loop: Header=BB228_145 Depth=2
	v_lshl_add_u32 v11, v10, 6, v29
	s_mov_b32 s17, 0
	ds_load_b64 v[8:9], v11
.LBB228_151:                            ;   Parent Loop BB228_103 Depth=1
                                        ;     Parent Loop BB228_145 Depth=2
                                        ; =>    This Inner Loop Header: Depth=3
	s_waitcnt lgkmcnt(0)
	v_add_f64 v[22:23], v[8:9], v[6:7]
	ds_cmpstore_rtn_b64 v[22:23], v11, v[22:23], v[8:9]
	s_waitcnt lgkmcnt(0)
	v_cmp_eq_u64_e32 vcc_lo, v[22:23], v[8:9]
	v_dual_mov_b32 v8, v22 :: v_dual_mov_b32 v9, v23
	s_or_b32 s17, vcc_lo, s17
	s_delay_alu instid0(SALU_CYCLE_1)
	s_and_not1_b32 exec_lo, exec_lo, s17
	s_cbranch_execnz .LBB228_151
; %bb.152:                              ;   in Loop: Header=BB228_145 Depth=2
	s_or_b32 exec_lo, exec_lo, s17
	ds_load_b64 v[8:9], v11 offset:8
	s_mov_b32 s17, 0
.LBB228_153:                            ;   Parent Loop BB228_103 Depth=1
                                        ;     Parent Loop BB228_145 Depth=2
                                        ; =>    This Inner Loop Header: Depth=3
	s_waitcnt lgkmcnt(0)
	v_add_f64 v[22:23], v[8:9], v[4:5]
	ds_cmpstore_rtn_b64 v[22:23], v11, v[22:23], v[8:9] offset:8
	s_waitcnt lgkmcnt(0)
	v_cmp_eq_u64_e32 vcc_lo, v[22:23], v[8:9]
	v_dual_mov_b32 v8, v22 :: v_dual_mov_b32 v9, v23
	s_or_b32 s17, vcc_lo, s17
	s_delay_alu instid0(SALU_CYCLE_1)
	s_and_not1_b32 exec_lo, exec_lo, s17
	s_cbranch_execnz .LBB228_153
; %bb.154:                              ;   in Loop: Header=BB228_145 Depth=2
	s_or_b32 exec_lo, exec_lo, s17
	s_delay_alu instid0(SALU_CYCLE_1)
	s_xor_b32 s17, exec_lo, -1
.LBB228_155:                            ;   in Loop: Header=BB228_145 Depth=2
	s_or_b32 exec_lo, exec_lo, s16
	s_delay_alu instid0(SALU_CYCLE_1) | instskip(SKIP_1) | instid1(SALU_CYCLE_1)
	s_and_not1_b32 s14, s14, exec_lo
	s_and_b32 s16, s17, exec_lo
	s_or_b32 s14, s14, s16
.LBB228_156:                            ;   in Loop: Header=BB228_145 Depth=2
	s_or_b32 exec_lo, exec_lo, s15
	s_delay_alu instid0(SALU_CYCLE_1)
	s_and_b32 s14, s14, exec_lo
.LBB228_157:                            ;   in Loop: Header=BB228_145 Depth=2
	s_and_not1_saveexec_b32 s13, s13
	s_cbranch_execz .LBB228_144
; %bb.158:                              ;   in Loop: Header=BB228_145 Depth=2
	v_lshl_add_u32 v11, v10, 6, v29
	s_mov_b32 s15, 0
	ds_load_b64 v[8:9], v11
.LBB228_159:                            ;   Parent Loop BB228_103 Depth=1
                                        ;     Parent Loop BB228_145 Depth=2
                                        ; =>    This Inner Loop Header: Depth=3
	s_waitcnt lgkmcnt(0)
	v_add_f64 v[22:23], v[8:9], v[6:7]
	ds_cmpstore_rtn_b64 v[22:23], v11, v[22:23], v[8:9]
	s_waitcnt lgkmcnt(0)
	v_cmp_eq_u64_e32 vcc_lo, v[22:23], v[8:9]
	v_dual_mov_b32 v8, v22 :: v_dual_mov_b32 v9, v23
	s_or_b32 s15, vcc_lo, s15
	s_delay_alu instid0(SALU_CYCLE_1)
	s_and_not1_b32 exec_lo, exec_lo, s15
	s_cbranch_execnz .LBB228_159
; %bb.160:                              ;   in Loop: Header=BB228_145 Depth=2
	s_or_b32 exec_lo, exec_lo, s15
	ds_load_b64 v[8:9], v11 offset:8
	s_mov_b32 s15, 0
.LBB228_161:                            ;   Parent Loop BB228_103 Depth=1
                                        ;     Parent Loop BB228_145 Depth=2
                                        ; =>    This Inner Loop Header: Depth=3
	s_waitcnt lgkmcnt(0)
	v_add_f64 v[22:23], v[8:9], v[4:5]
	ds_cmpstore_rtn_b64 v[22:23], v11, v[22:23], v[8:9] offset:8
	s_waitcnt lgkmcnt(0)
	v_cmp_eq_u64_e32 vcc_lo, v[22:23], v[8:9]
	v_dual_mov_b32 v8, v22 :: v_dual_mov_b32 v9, v23
	s_or_b32 s15, vcc_lo, s15
	s_delay_alu instid0(SALU_CYCLE_1)
	s_and_not1_b32 exec_lo, exec_lo, s15
	s_cbranch_execnz .LBB228_161
; %bb.162:                              ;   in Loop: Header=BB228_145 Depth=2
	s_or_b32 exec_lo, exec_lo, s15
	s_delay_alu instid0(SALU_CYCLE_1)
	s_and_not1_b32 s14, s14, exec_lo
	s_branch .LBB228_144
.LBB228_163:                            ;   in Loop: Header=BB228_103 Depth=1
	s_or_b32 exec_lo, exec_lo, s12
	v_mul_f64 v[4:5], v[2:3], -v[16:17]
	v_mul_f64 v[6:7], v[18:19], v[2:3]
	s_mov_b32 s12, 0
	s_delay_alu instid0(VALU_DEP_2) | instskip(NEXT) | instid1(VALU_DEP_2)
	v_fma_f64 v[2:3], v[18:19], v[0:1], v[4:5]
	v_fma_f64 v[0:1], v[16:17], v[0:1], v[6:7]
	s_branch .LBB228_165
.LBB228_164:                            ;   in Loop: Header=BB228_165 Depth=2
	s_or_b32 exec_lo, exec_lo, s13
	s_xor_b32 s13, s14, -1
	s_delay_alu instid0(SALU_CYCLE_1) | instskip(NEXT) | instid1(SALU_CYCLE_1)
	s_and_b32 s13, exec_lo, s13
	s_or_b32 s12, s13, s12
	s_delay_alu instid0(SALU_CYCLE_1)
	s_and_not1_b32 exec_lo, exec_lo, s12
	s_cbranch_execz .LBB228_102
.LBB228_165:                            ;   Parent Loop BB228_103 Depth=1
                                        ; =>  This Loop Header: Depth=2
                                        ;       Child Loop BB228_171 Depth 3
                                        ;       Child Loop BB228_173 Depth 3
	;; [unrolled: 1-line block ×4, first 2 shown]
	v_lshl_add_u32 v4, v32, 2, v57
	s_mov_b32 s13, exec_lo
                                        ; implicit-def: $sgpr14
	ds_load_b32 v5, v4
	s_waitcnt lgkmcnt(0)
	v_cmpx_ne_u32_e64 v5, v31
	s_xor_b32 s13, exec_lo, s13
	s_cbranch_execz .LBB228_177
; %bb.166:                              ;   in Loop: Header=BB228_165 Depth=2
	s_mov_b32 s15, exec_lo
                                        ; implicit-def: $sgpr14
	v_cmpx_ne_u32_e64 s2, v5
	s_xor_b32 s15, exec_lo, s15
; %bb.167:                              ;   in Loop: Header=BB228_165 Depth=2
	v_add_nc_u32_e32 v4, 1, v32
	s_mov_b32 s14, -1
	s_delay_alu instid0(VALU_DEP_1)
	v_and_b32_e32 v32, 15, v4
                                        ; implicit-def: $vgpr4
; %bb.168:                              ;   in Loop: Header=BB228_165 Depth=2
	s_and_not1_saveexec_b32 s15, s15
	s_cbranch_execz .LBB228_176
; %bb.169:                              ;   in Loop: Header=BB228_165 Depth=2
	v_mov_b32_e32 v5, s2
	s_mov_b32 s17, -1
	s_mov_b32 s16, exec_lo
	ds_cmpstore_rtn_b32 v4, v4, v31, v5
	s_waitcnt lgkmcnt(0)
	v_cmpx_eq_u32_e64 s2, v4
	s_cbranch_execz .LBB228_175
; %bb.170:                              ;   in Loop: Header=BB228_165 Depth=2
	v_lshl_add_u32 v6, v32, 6, v30
	s_mov_b32 s17, 0
	ds_load_b64 v[4:5], v6
.LBB228_171:                            ;   Parent Loop BB228_103 Depth=1
                                        ;     Parent Loop BB228_165 Depth=2
                                        ; =>    This Inner Loop Header: Depth=3
	s_waitcnt lgkmcnt(0)
	v_add_f64 v[7:8], v[4:5], v[2:3]
	ds_cmpstore_rtn_b64 v[7:8], v6, v[7:8], v[4:5]
	s_waitcnt lgkmcnt(0)
	v_cmp_eq_u64_e32 vcc_lo, v[7:8], v[4:5]
	v_dual_mov_b32 v4, v7 :: v_dual_mov_b32 v5, v8
	s_or_b32 s17, vcc_lo, s17
	s_delay_alu instid0(SALU_CYCLE_1)
	s_and_not1_b32 exec_lo, exec_lo, s17
	s_cbranch_execnz .LBB228_171
; %bb.172:                              ;   in Loop: Header=BB228_165 Depth=2
	s_or_b32 exec_lo, exec_lo, s17
	ds_load_b64 v[4:5], v6 offset:8
	s_mov_b32 s17, 0
.LBB228_173:                            ;   Parent Loop BB228_103 Depth=1
                                        ;     Parent Loop BB228_165 Depth=2
                                        ; =>    This Inner Loop Header: Depth=3
	s_waitcnt lgkmcnt(0)
	v_add_f64 v[7:8], v[4:5], v[0:1]
	ds_cmpstore_rtn_b64 v[7:8], v6, v[7:8], v[4:5] offset:8
	s_waitcnt lgkmcnt(0)
	v_cmp_eq_u64_e32 vcc_lo, v[7:8], v[4:5]
	v_dual_mov_b32 v4, v7 :: v_dual_mov_b32 v5, v8
	s_or_b32 s17, vcc_lo, s17
	s_delay_alu instid0(SALU_CYCLE_1)
	s_and_not1_b32 exec_lo, exec_lo, s17
	s_cbranch_execnz .LBB228_173
; %bb.174:                              ;   in Loop: Header=BB228_165 Depth=2
	s_or_b32 exec_lo, exec_lo, s17
	s_delay_alu instid0(SALU_CYCLE_1)
	s_xor_b32 s17, exec_lo, -1
.LBB228_175:                            ;   in Loop: Header=BB228_165 Depth=2
	s_or_b32 exec_lo, exec_lo, s16
	s_delay_alu instid0(SALU_CYCLE_1) | instskip(SKIP_1) | instid1(SALU_CYCLE_1)
	s_and_not1_b32 s14, s14, exec_lo
	s_and_b32 s16, s17, exec_lo
	s_or_b32 s14, s14, s16
.LBB228_176:                            ;   in Loop: Header=BB228_165 Depth=2
	s_or_b32 exec_lo, exec_lo, s15
	s_delay_alu instid0(SALU_CYCLE_1)
	s_and_b32 s14, s14, exec_lo
.LBB228_177:                            ;   in Loop: Header=BB228_165 Depth=2
	s_and_not1_saveexec_b32 s13, s13
	s_cbranch_execz .LBB228_164
; %bb.178:                              ;   in Loop: Header=BB228_165 Depth=2
	v_lshl_add_u32 v6, v32, 6, v30
	s_mov_b32 s15, 0
	ds_load_b64 v[4:5], v6
.LBB228_179:                            ;   Parent Loop BB228_103 Depth=1
                                        ;     Parent Loop BB228_165 Depth=2
                                        ; =>    This Inner Loop Header: Depth=3
	s_waitcnt lgkmcnt(0)
	v_add_f64 v[7:8], v[4:5], v[2:3]
	ds_cmpstore_rtn_b64 v[7:8], v6, v[7:8], v[4:5]
	s_waitcnt lgkmcnt(0)
	v_cmp_eq_u64_e32 vcc_lo, v[7:8], v[4:5]
	v_dual_mov_b32 v4, v7 :: v_dual_mov_b32 v5, v8
	s_or_b32 s15, vcc_lo, s15
	s_delay_alu instid0(SALU_CYCLE_1)
	s_and_not1_b32 exec_lo, exec_lo, s15
	s_cbranch_execnz .LBB228_179
; %bb.180:                              ;   in Loop: Header=BB228_165 Depth=2
	s_or_b32 exec_lo, exec_lo, s15
	ds_load_b64 v[4:5], v6 offset:8
	s_mov_b32 s15, 0
.LBB228_181:                            ;   Parent Loop BB228_103 Depth=1
                                        ;     Parent Loop BB228_165 Depth=2
                                        ; =>    This Inner Loop Header: Depth=3
	s_waitcnt lgkmcnt(0)
	v_add_f64 v[7:8], v[4:5], v[0:1]
	ds_cmpstore_rtn_b64 v[7:8], v6, v[7:8], v[4:5] offset:8
	s_waitcnt lgkmcnt(0)
	v_cmp_eq_u64_e32 vcc_lo, v[7:8], v[4:5]
	v_dual_mov_b32 v4, v7 :: v_dual_mov_b32 v5, v8
	s_or_b32 s15, vcc_lo, s15
	s_delay_alu instid0(SALU_CYCLE_1)
	s_and_not1_b32 exec_lo, exec_lo, s15
	s_cbranch_execnz .LBB228_181
; %bb.182:                              ;   in Loop: Header=BB228_165 Depth=2
	s_or_b32 exec_lo, exec_lo, s15
	s_delay_alu instid0(SALU_CYCLE_1)
	s_and_not1_b32 s14, s14, exec_lo
	s_branch .LBB228_164
.LBB228_183:
	s_or_b32 exec_lo, exec_lo, s1
.LBB228_184:
	buffer_gl0_inv
	ds_load_b32 v0, v59
	s_waitcnt lgkmcnt(0)
	v_cmp_gt_i32_e32 vcc_lo, s2, v0
	s_and_b32 exec_lo, exec_lo, vcc_lo
	s_cbranch_execz .LBB228_186
; %bb.185:
	v_add_co_u32 v1, vcc_lo, s10, v20
	v_add_co_ci_u32_e32 v2, vcc_lo, s11, v21, vcc_lo
	v_lshlrev_b32_e32 v19, 2, v56
	s_cmp_eq_u32 s0, 0
	v_lshl_add_u32 v21, v56, 6, v58
	global_load_b64 v[17:18], v[1:2], off
	ds_load_b128 v[1:4], v57
	ds_load_b128 v[5:8], v57 offset:16
	ds_load_b128 v[9:12], v57 offset:32
	;; [unrolled: 1-line block ×3, first 2 shown]
	s_cselect_b32 s0, 1, 2
	s_delay_alu instid0(SALU_CYCLE_1) | instskip(SKIP_1) | instid1(SALU_CYCLE_1)
	v_or_b32_e32 v20, s0, v19
	s_cselect_b32 s0, 2, 1
	v_or_b32_e32 v19, s0, v19
	s_delay_alu instid0(VALU_DEP_2)
	v_lshl_add_u32 v20, v20, 4, v58
	s_waitcnt lgkmcnt(3)
	v_cmp_gt_i32_e32 vcc_lo, v0, v1
	v_cndmask_b32_e64 v1, 0, 1, vcc_lo
	s_waitcnt vmcnt(0)
	v_sub_co_u32 v17, vcc_lo, v17, s26
	v_subrev_co_ci_u32_e32 v18, vcc_lo, 0, v18, vcc_lo
	v_cmp_gt_i32_e32 vcc_lo, v0, v2
	v_cndmask_b32_e64 v2, 0, 1, vcc_lo
	s_delay_alu instid0(VALU_DEP_4) | instskip(NEXT) | instid1(VALU_DEP_4)
	v_add_co_u32 v1, vcc_lo, v17, v1
	v_add_co_ci_u32_e32 v17, vcc_lo, 0, v18, vcc_lo
	v_cmp_gt_i32_e32 vcc_lo, v0, v3
	v_cndmask_b32_e64 v3, 0, 1, vcc_lo
	s_delay_alu instid0(VALU_DEP_4) | instskip(NEXT) | instid1(VALU_DEP_4)
	v_add_co_u32 v1, vcc_lo, v1, v2
	v_add_co_ci_u32_e32 v2, vcc_lo, 0, v17, vcc_lo
	;; [unrolled: 5-line block ×3, first 2 shown]
	s_waitcnt lgkmcnt(2)
	v_cmp_gt_i32_e32 vcc_lo, v0, v5
	v_cndmask_b32_e64 v3, 0, 1, vcc_lo
	v_add_co_u32 v1, vcc_lo, v1, v4
	v_add_co_ci_u32_e32 v2, vcc_lo, 0, v2, vcc_lo
	v_cmp_gt_i32_e32 vcc_lo, v0, v6
	v_cndmask_b32_e64 v4, 0, 1, vcc_lo
	s_delay_alu instid0(VALU_DEP_4) | instskip(NEXT) | instid1(VALU_DEP_4)
	v_add_co_u32 v1, vcc_lo, v1, v3
	v_add_co_ci_u32_e32 v2, vcc_lo, 0, v2, vcc_lo
	v_cmp_gt_i32_e32 vcc_lo, v0, v7
	v_cndmask_b32_e64 v3, 0, 1, vcc_lo
	s_delay_alu instid0(VALU_DEP_4) | instskip(NEXT) | instid1(VALU_DEP_4)
	;; [unrolled: 5-line block ×3, first 2 shown]
	v_add_co_u32 v1, vcc_lo, v1, v3
	v_add_co_ci_u32_e32 v2, vcc_lo, 0, v2, vcc_lo
	s_waitcnt lgkmcnt(1)
	v_cmp_gt_i32_e32 vcc_lo, v0, v9
	v_cndmask_b32_e64 v3, 0, 1, vcc_lo
	v_add_co_u32 v1, vcc_lo, v1, v4
	v_add_co_ci_u32_e32 v2, vcc_lo, 0, v2, vcc_lo
	v_cmp_gt_i32_e32 vcc_lo, v0, v10
	v_cndmask_b32_e64 v4, 0, 1, vcc_lo
	s_delay_alu instid0(VALU_DEP_4) | instskip(NEXT) | instid1(VALU_DEP_4)
	v_add_co_u32 v1, vcc_lo, v1, v3
	v_add_co_ci_u32_e32 v2, vcc_lo, 0, v2, vcc_lo
	v_cmp_gt_i32_e32 vcc_lo, v0, v11
	v_cndmask_b32_e64 v3, 0, 1, vcc_lo
	s_delay_alu instid0(VALU_DEP_4) | instskip(NEXT) | instid1(VALU_DEP_4)
	;; [unrolled: 5-line block ×3, first 2 shown]
	v_add_co_u32 v1, vcc_lo, v1, v3
	v_add_co_ci_u32_e32 v2, vcc_lo, 0, v2, vcc_lo
	s_waitcnt lgkmcnt(0)
	v_cmp_gt_i32_e32 vcc_lo, v0, v13
	v_lshl_add_u32 v13, v19, 4, v58
	v_cndmask_b32_e64 v3, 0, 1, vcc_lo
	v_add_co_u32 v1, vcc_lo, v1, v4
	v_add_co_ci_u32_e32 v2, vcc_lo, 0, v2, vcc_lo
	v_cmp_gt_i32_e32 vcc_lo, v0, v14
	v_cndmask_b32_e64 v4, 0, 1, vcc_lo
	s_delay_alu instid0(VALU_DEP_4) | instskip(NEXT) | instid1(VALU_DEP_4)
	v_add_co_u32 v1, vcc_lo, v1, v3
	v_add_co_ci_u32_e32 v2, vcc_lo, 0, v2, vcc_lo
	v_cmp_gt_i32_e32 vcc_lo, v0, v15
	v_cndmask_b32_e64 v3, 0, 1, vcc_lo
	s_delay_alu instid0(VALU_DEP_4) | instskip(NEXT) | instid1(VALU_DEP_4)
	v_add_co_u32 v1, vcc_lo, v1, v4
	v_add_co_ci_u32_e32 v2, vcc_lo, 0, v2, vcc_lo
	v_cmp_gt_i32_e32 vcc_lo, v0, v16
	v_add_nc_u32_e32 v0, s26, v0
	v_cndmask_b32_e64 v4, 0, 1, vcc_lo
	v_add_co_u32 v1, vcc_lo, v1, v3
	v_add_co_ci_u32_e32 v2, vcc_lo, 0, v2, vcc_lo
	s_delay_alu instid0(VALU_DEP_2) | instskip(NEXT) | instid1(VALU_DEP_2)
	v_add_co_u32 v17, vcc_lo, v1, v4
	v_add_co_ci_u32_e32 v18, vcc_lo, 0, v2, vcc_lo
	ds_load_2addr_b64 v[1:4], v21 offset1:1
	ds_load_2addr_b64 v[5:8], v21 offset0:6 offset1:7
	ds_load_2addr_b64 v[9:12], v20 offset1:1
	ds_load_2addr_b64 v[13:16], v13 offset1:1
	v_lshlrev_b64 v[19:20], 2, v[17:18]
	v_lshlrev_b64 v[17:18], 6, v[17:18]
	s_delay_alu instid0(VALU_DEP_2) | instskip(NEXT) | instid1(VALU_DEP_3)
	v_add_co_u32 v19, vcc_lo, s28, v19
	v_add_co_ci_u32_e32 v20, vcc_lo, s29, v20, vcc_lo
	s_delay_alu instid0(VALU_DEP_3) | instskip(NEXT) | instid1(VALU_DEP_4)
	v_add_co_u32 v17, vcc_lo, s30, v17
	v_add_co_ci_u32_e32 v18, vcc_lo, s31, v18, vcc_lo
	global_store_b32 v[19:20], v0, off
	s_waitcnt lgkmcnt(3)
	global_store_b128 v[17:18], v[1:4], off
	s_waitcnt lgkmcnt(1)
	global_store_b128 v[17:18], v[9:12], off offset:16
	s_waitcnt lgkmcnt(0)
	s_clause 0x1
	global_store_b128 v[17:18], v[13:16], off offset:32
	global_store_b128 v[17:18], v[5:8], off offset:48
.LBB228_186:
	s_nop 0
	s_sendmsg sendmsg(MSG_DEALLOC_VGPRS)
	s_endpgm
	.section	.rodata,"a",@progbits
	.p2align	6, 0x0
	.amdhsa_kernel _ZN9rocsparseL27bsrgemm_fill_wf_per_row_2x2ILj256ELj16ELj16ELj137Eli21rocsparse_complex_numIdEEEv20rocsparse_direction_T4_S4_PKS4_S6_NS_24const_host_device_scalarIT5_EEPKT3_S6_PKS8_SC_S6_SE_S9_SC_S6_SE_SC_PS4_PS8_21rocsparse_index_base_SH_SH_SH_bbb
		.amdhsa_group_segment_fixed_size 17408
		.amdhsa_private_segment_fixed_size 24
		.amdhsa_kernarg_size 180
		.amdhsa_user_sgpr_count 15
		.amdhsa_user_sgpr_dispatch_ptr 0
		.amdhsa_user_sgpr_queue_ptr 0
		.amdhsa_user_sgpr_kernarg_segment_ptr 1
		.amdhsa_user_sgpr_dispatch_id 0
		.amdhsa_user_sgpr_private_segment_size 0
		.amdhsa_wavefront_size32 1
		.amdhsa_uses_dynamic_stack 0
		.amdhsa_enable_private_segment 1
		.amdhsa_system_sgpr_workgroup_id_x 1
		.amdhsa_system_sgpr_workgroup_id_y 0
		.amdhsa_system_sgpr_workgroup_id_z 0
		.amdhsa_system_sgpr_workgroup_info 0
		.amdhsa_system_vgpr_workitem_id 0
		.amdhsa_next_free_vgpr 69
		.amdhsa_next_free_sgpr 48
		.amdhsa_reserve_vcc 1
		.amdhsa_float_round_mode_32 0
		.amdhsa_float_round_mode_16_64 0
		.amdhsa_float_denorm_mode_32 3
		.amdhsa_float_denorm_mode_16_64 3
		.amdhsa_dx10_clamp 1
		.amdhsa_ieee_mode 1
		.amdhsa_fp16_overflow 0
		.amdhsa_workgroup_processor_mode 1
		.amdhsa_memory_ordered 1
		.amdhsa_forward_progress 0
		.amdhsa_shared_vgpr_count 0
		.amdhsa_exception_fp_ieee_invalid_op 0
		.amdhsa_exception_fp_denorm_src 0
		.amdhsa_exception_fp_ieee_div_zero 0
		.amdhsa_exception_fp_ieee_overflow 0
		.amdhsa_exception_fp_ieee_underflow 0
		.amdhsa_exception_fp_ieee_inexact 0
		.amdhsa_exception_int_div_zero 0
	.end_amdhsa_kernel
	.section	.text._ZN9rocsparseL27bsrgemm_fill_wf_per_row_2x2ILj256ELj16ELj16ELj137Eli21rocsparse_complex_numIdEEEv20rocsparse_direction_T4_S4_PKS4_S6_NS_24const_host_device_scalarIT5_EEPKT3_S6_PKS8_SC_S6_SE_S9_SC_S6_SE_SC_PS4_PS8_21rocsparse_index_base_SH_SH_SH_bbb,"axG",@progbits,_ZN9rocsparseL27bsrgemm_fill_wf_per_row_2x2ILj256ELj16ELj16ELj137Eli21rocsparse_complex_numIdEEEv20rocsparse_direction_T4_S4_PKS4_S6_NS_24const_host_device_scalarIT5_EEPKT3_S6_PKS8_SC_S6_SE_S9_SC_S6_SE_SC_PS4_PS8_21rocsparse_index_base_SH_SH_SH_bbb,comdat
.Lfunc_end228:
	.size	_ZN9rocsparseL27bsrgemm_fill_wf_per_row_2x2ILj256ELj16ELj16ELj137Eli21rocsparse_complex_numIdEEEv20rocsparse_direction_T4_S4_PKS4_S6_NS_24const_host_device_scalarIT5_EEPKT3_S6_PKS8_SC_S6_SE_S9_SC_S6_SE_SC_PS4_PS8_21rocsparse_index_base_SH_SH_SH_bbb, .Lfunc_end228-_ZN9rocsparseL27bsrgemm_fill_wf_per_row_2x2ILj256ELj16ELj16ELj137Eli21rocsparse_complex_numIdEEEv20rocsparse_direction_T4_S4_PKS4_S6_NS_24const_host_device_scalarIT5_EEPKT3_S6_PKS8_SC_S6_SE_S9_SC_S6_SE_SC_PS4_PS8_21rocsparse_index_base_SH_SH_SH_bbb
                                        ; -- End function
	.section	.AMDGPU.csdata,"",@progbits
; Kernel info:
; codeLenInByte = 7128
; NumSgprs: 50
; NumVgprs: 69
; ScratchSize: 24
; MemoryBound: 0
; FloatMode: 240
; IeeeMode: 1
; LDSByteSize: 17408 bytes/workgroup (compile time only)
; SGPRBlocks: 6
; VGPRBlocks: 8
; NumSGPRsForWavesPerEU: 50
; NumVGPRsForWavesPerEU: 69
; Occupancy: 14
; WaveLimiterHint : 1
; COMPUTE_PGM_RSRC2:SCRATCH_EN: 1
; COMPUTE_PGM_RSRC2:USER_SGPR: 15
; COMPUTE_PGM_RSRC2:TRAP_HANDLER: 0
; COMPUTE_PGM_RSRC2:TGID_X_EN: 1
; COMPUTE_PGM_RSRC2:TGID_Y_EN: 0
; COMPUTE_PGM_RSRC2:TGID_Z_EN: 0
; COMPUTE_PGM_RSRC2:TIDIG_COMP_CNT: 0
	.section	.text._ZN9rocsparseL27bsrgemm_fill_wf_per_row_2x2ILj256ELj16ELj32ELj137Eli21rocsparse_complex_numIdEEEv20rocsparse_direction_T4_S4_PKS4_S6_NS_24const_host_device_scalarIT5_EEPKT3_S6_PKS8_SC_S6_SE_S9_SC_S6_SE_SC_PS4_PS8_21rocsparse_index_base_SH_SH_SH_bbb,"axG",@progbits,_ZN9rocsparseL27bsrgemm_fill_wf_per_row_2x2ILj256ELj16ELj32ELj137Eli21rocsparse_complex_numIdEEEv20rocsparse_direction_T4_S4_PKS4_S6_NS_24const_host_device_scalarIT5_EEPKT3_S6_PKS8_SC_S6_SE_S9_SC_S6_SE_SC_PS4_PS8_21rocsparse_index_base_SH_SH_SH_bbb,comdat
	.globl	_ZN9rocsparseL27bsrgemm_fill_wf_per_row_2x2ILj256ELj16ELj32ELj137Eli21rocsparse_complex_numIdEEEv20rocsparse_direction_T4_S4_PKS4_S6_NS_24const_host_device_scalarIT5_EEPKT3_S6_PKS8_SC_S6_SE_S9_SC_S6_SE_SC_PS4_PS8_21rocsparse_index_base_SH_SH_SH_bbb ; -- Begin function _ZN9rocsparseL27bsrgemm_fill_wf_per_row_2x2ILj256ELj16ELj32ELj137Eli21rocsparse_complex_numIdEEEv20rocsparse_direction_T4_S4_PKS4_S6_NS_24const_host_device_scalarIT5_EEPKT3_S6_PKS8_SC_S6_SE_S9_SC_S6_SE_SC_PS4_PS8_21rocsparse_index_base_SH_SH_SH_bbb
	.p2align	8
	.type	_ZN9rocsparseL27bsrgemm_fill_wf_per_row_2x2ILj256ELj16ELj32ELj137Eli21rocsparse_complex_numIdEEEv20rocsparse_direction_T4_S4_PKS4_S6_NS_24const_host_device_scalarIT5_EEPKT3_S6_PKS8_SC_S6_SE_S9_SC_S6_SE_SC_PS4_PS8_21rocsparse_index_base_SH_SH_SH_bbb,@function
_ZN9rocsparseL27bsrgemm_fill_wf_per_row_2x2ILj256ELj16ELj32ELj137Eli21rocsparse_complex_numIdEEEv20rocsparse_direction_T4_S4_PKS4_S6_NS_24const_host_device_scalarIT5_EEPKT3_S6_PKS8_SC_S6_SE_S9_SC_S6_SE_SC_PS4_PS8_21rocsparse_index_base_SH_SH_SH_bbb: ; @_ZN9rocsparseL27bsrgemm_fill_wf_per_row_2x2ILj256ELj16ELj32ELj137Eli21rocsparse_complex_numIdEEEv20rocsparse_direction_T4_S4_PKS4_S6_NS_24const_host_device_scalarIT5_EEPKT3_S6_PKS8_SC_S6_SE_S9_SC_S6_SE_SC_PS4_PS8_21rocsparse_index_base_SH_SH_SH_bbb
; %bb.0:
	s_load_b32 s14, s[2:3], 0xb0
	s_load_b64 s[8:9], s[0:1], 0x4
	s_clause 0x1
	s_load_b128 s[4:7], s[2:3], 0x20
	s_load_b128 s[44:47], s[2:3], 0x60
	v_dual_mov_b32 v16, 0 :: v_dual_and_b32 v1, 0x3ff, v0
	s_load_b128 s[24:27], s[2:3], 0xa0
	v_bfe_u32 v3, v0, 10, 10
	v_mov_b32_e32 v17, 0
	v_bfe_u32 v0, v0, 20, 10
	s_waitcnt lgkmcnt(0)
	s_bitcmp1_b32 s14, 0
	s_cselect_b32 s13, -1, 0
	s_bitcmp1_b32 s14, 16
	v_mov_b32_e32 v4, s44
	s_cselect_b32 s0, -1, 0
	s_lshr_b32 s1, s8, 16
	s_delay_alu instid0(SALU_CYCLE_1) | instskip(NEXT) | instid1(SALU_CYCLE_1)
	s_mul_i32 s1, s1, s9
	v_mul_lo_u32 v2, s1, v1
	s_xor_b32 s1, s0, -1
	s_bitcmp0_b32 s14, 0
	v_cndmask_b32_e64 v6, 0, 1, s1
	s_delay_alu instid0(VALU_DEP_2)
	v_mad_u32_u24 v7, v3, s9, v2
	v_dual_mov_b32 v2, s4 :: v_dual_mov_b32 v3, s5
	v_mov_b32_e32 v23, v17
	v_dual_mov_b32 v25, v17 :: v_dual_mov_b32 v24, v16
	v_dual_mov_b32 v5, s45 :: v_dual_mov_b32 v22, v16
	v_cmp_ne_u32_e32 vcc_lo, 1, v6
	v_add_lshl_u32 v0, v7, v0, 3
	ds_store_2addr_stride64_b64 v0, v[4:5], v[2:3] offset0:68 offset1:72
	s_cbranch_scc1 .LBB229_3
; %bb.1:
	s_mov_b64 s[8:9], src_shared_base
	s_and_b32 s8, s0, exec_lo
	s_cselect_b32 s8, s9, s5
	s_delay_alu instid0(SALU_CYCLE_1) | instskip(SKIP_2) | instid1(VALU_DEP_2)
	v_dual_mov_b32 v3, s8 :: v_dual_add_nc_u32 v2, 0x9000, v0
	v_dual_mov_b32 v25, s7 :: v_dual_mov_b32 v24, s6
	s_and_b32 vcc_lo, exec_lo, vcc_lo
	v_cndmask_b32_e64 v2, s4, v2, s0
	flat_load_b64 v[22:23], v[2:3]
	s_cbranch_vccnz .LBB229_3
; %bb.2:
	v_dual_mov_b32 v2, s4 :: v_dual_mov_b32 v3, s5
	flat_load_b64 v[24:25], v[2:3] offset:8
.LBB229_3:
	s_clause 0x4
	s_load_b128 s[28:31], s[2:3], 0x90
	s_load_b256 s[4:11], s[2:3], 0x70
	s_load_b128 s[36:39], s[2:3], 0x50
	s_load_b128 s[40:43], s[2:3], 0x10
	s_load_b256 s[16:23], s[2:3], 0x30
	s_bitcmp1_b32 s14, 8
	v_dual_mov_b32 v19, v17 :: v_dual_mov_b32 v18, v16
	s_cselect_b32 s12, -1, 0
	s_bfe_u32 s14, s14, 0x10008
	s_delay_alu instid0(SALU_CYCLE_1)
	s_cmp_eq_u32 s14, 0
	s_cbranch_scc1 .LBB229_6
; %bb.4:
	s_mov_b64 s[34:35], src_shared_base
	s_and_b32 s14, s0, exec_lo
	s_cselect_b32 s14, s35, s45
	s_delay_alu instid0(SALU_CYCLE_1) | instskip(SKIP_2) | instid1(VALU_DEP_2)
	v_dual_mov_b32 v3, s14 :: v_dual_add_nc_u32 v0, 0x8800, v0
	v_dual_mov_b32 v16, s46 :: v_dual_mov_b32 v17, s47
	s_and_not1_b32 vcc_lo, exec_lo, s1
	v_cndmask_b32_e64 v2, s44, v0, s0
	flat_load_b64 v[18:19], v[2:3]
	s_cbranch_vccnz .LBB229_6
; %bb.5:
	v_dual_mov_b32 v2, s44 :: v_dual_mov_b32 v3, s45
	flat_load_b64 v[16:17], v[2:3] offset:8
.LBB229_6:
	s_load_b128 s[0:3], s[2:3], 0x0
	v_lshrrev_b32_e32 v4, 4, v1
	v_and_b32_e32 v59, 15, v1
	s_waitcnt lgkmcnt(0)
	s_mov_b32 s3, 0
	s_delay_alu instid0(VALU_DEP_2) | instskip(NEXT) | instid1(VALU_DEP_2)
	v_lshlrev_b32_e32 v5, 7, v4
	v_dual_mov_b32 v1, s2 :: v_dual_lshlrev_b32 v0, 2, v59
	s_delay_alu instid0(VALU_DEP_1) | instskip(NEXT) | instid1(VALU_DEP_1)
	v_or3_b32 v56, v5, v0, 0x8000
	v_mov_b32_e32 v0, v56
	v_or_b32_e32 v57, -16, v59
	s_delay_alu instid0(VALU_DEP_1)
	v_mov_b32_e32 v2, v57
.LBB229_7:                              ; =>This Inner Loop Header: Depth=1
	s_delay_alu instid0(VALU_DEP_1) | instskip(NEXT) | instid1(VALU_DEP_1)
	v_add_co_u32 v2, s14, v2, 16
	s_xor_b32 s14, s14, -1
	ds_store_b32 v0, v1
	v_add_nc_u32_e32 v0, 64, v0
	s_and_b32 s14, exec_lo, s14
	s_delay_alu instid0(SALU_CYCLE_1) | instskip(NEXT) | instid1(SALU_CYCLE_1)
	s_or_b32 s3, s14, s3
	s_and_not1_b32 exec_lo, exec_lo, s3
	s_cbranch_execnz .LBB229_7
; %bb.8:
	s_or_b32 exec_lo, exec_lo, s3
	v_dual_mov_b32 v0, 0 :: v_dual_mov_b32 v7, v57
	v_lshlrev_b32_e32 v60, 11, v4
	s_mov_b32 s3, 0
	s_delay_alu instid0(VALU_DEP_2) | instskip(SKIP_1) | instid1(VALU_DEP_3)
	v_mov_b32_e32 v1, v0
	v_mov_b32_e32 v2, v0
	v_lshl_or_b32 v6, v59, 4, v60
	v_mov_b32_e32 v3, v0
.LBB229_9:                              ; =>This Inner Loop Header: Depth=1
	v_add_nc_u32_e32 v7, 16, v7
	ds_store_b128 v6, v[0:3]
	v_add_nc_u32_e32 v6, 0x100, v6
	v_cmp_lt_u32_e32 vcc_lo, 0x6f, v7
	s_or_b32 s3, vcc_lo, s3
	s_delay_alu instid0(SALU_CYCLE_1)
	s_and_not1_b32 exec_lo, exec_lo, s3
	s_cbranch_execnz .LBB229_9
; %bb.10:
	s_or_b32 exec_lo, exec_lo, s3
	v_lshl_or_b32 v0, s15, 4, v4
	s_waitcnt vmcnt(0) lgkmcnt(0)
	s_barrier
	buffer_gl0_inv
	v_cmp_gt_i32_e32 vcc_lo, s1, v0
	s_and_saveexec_b32 s1, vcc_lo
	s_cbranch_execz .LBB229_190
; %bb.11:
	s_cmp_eq_u64 s[42:43], 0
	s_cbranch_scc1 .LBB229_13
; %bb.12:
	s_load_b32 s1, s[40:41], 0x0
	s_waitcnt lgkmcnt(0)
	v_add_nc_u32_e32 v0, s1, v0
	s_delay_alu instid0(VALU_DEP_1) | instskip(NEXT) | instid1(VALU_DEP_1)
	v_ashrrev_i32_e32 v1, 31, v0
	v_lshlrev_b64 v[0:1], 2, v[0:1]
	s_delay_alu instid0(VALU_DEP_1) | instskip(NEXT) | instid1(VALU_DEP_2)
	v_add_co_u32 v0, vcc_lo, s42, v0
	v_add_co_ci_u32_e32 v1, vcc_lo, s43, v1, vcc_lo
	global_load_b32 v0, v[0:1], off
.LBB229_13:
	s_waitcnt vmcnt(0)
	v_ashrrev_i32_e32 v1, 31, v0
	v_lshlrev_b32_e32 v61, 4, v5
	v_lshl_or_b32 v58, v4, 7, 0x8000
	s_and_not1_b32 vcc_lo, exec_lo, s13
	s_delay_alu instid0(VALU_DEP_3)
	v_lshlrev_b64 v[20:21], 3, v[0:1]
	s_cbranch_vccnz .LBB229_101
; %bb.14:
	s_delay_alu instid0(VALU_DEP_1) | instskip(NEXT) | instid1(VALU_DEP_2)
	v_add_co_u32 v0, vcc_lo, s16, v20
	v_add_co_ci_u32_e32 v1, vcc_lo, s17, v21, vcc_lo
	v_sub_co_u32 v4, s1, v59, s24
	s_delay_alu instid0(VALU_DEP_1)
	v_sub_co_ci_u32_e64 v5, null, 0, 0, s1
	global_load_b128 v[0:3], v[0:1], off
	s_mov_b32 s3, 0
	s_mov_b32 s1, exec_lo
	s_waitcnt vmcnt(0)
	v_sub_co_u32 v26, vcc_lo, v2, s24
	v_subrev_co_ci_u32_e32 v27, vcc_lo, 0, v3, vcc_lo
	v_add_co_u32 v28, vcc_lo, v0, v4
	v_add_co_ci_u32_e32 v29, vcc_lo, v1, v5, vcc_lo
	s_delay_alu instid0(VALU_DEP_1)
	v_cmpx_lt_i64_e64 v[28:29], v[26:27]
	s_cbranch_execz .LBB229_100
; %bb.15:
	v_add_nc_u32_e32 v62, 16, v61
	v_add_nc_u32_e32 v63, 32, v61
	;; [unrolled: 1-line block ×3, first 2 shown]
	s_cmp_eq_u32 s0, 0
	s_mov_b32 s13, s25
	s_cselect_b32 s14, 1, 2
	s_cselect_b32 s15, 2, 1
	s_branch .LBB229_17
.LBB229_16:                             ;   in Loop: Header=BB229_17 Depth=1
	s_or_b32 exec_lo, exec_lo, s16
	v_add_co_u32 v28, vcc_lo, v28, 16
	v_add_co_ci_u32_e32 v29, vcc_lo, 0, v29, vcc_lo
	s_delay_alu instid0(VALU_DEP_1) | instskip(SKIP_1) | instid1(SALU_CYCLE_1)
	v_cmp_ge_i64_e32 vcc_lo, v[28:29], v[26:27]
	s_or_b32 s3, vcc_lo, s3
	s_and_not1_b32 exec_lo, exec_lo, s3
	s_cbranch_execz .LBB229_100
.LBB229_17:                             ; =>This Loop Header: Depth=1
                                        ;     Child Loop BB229_20 Depth 2
                                        ;       Child Loop BB229_22 Depth 3
                                        ;         Child Loop BB229_28 Depth 4
                                        ;         Child Loop BB229_30 Depth 4
                                        ;         Child Loop BB229_36 Depth 4
                                        ;         Child Loop BB229_38 Depth 4
                                        ;       Child Loop BB229_42 Depth 3
                                        ;         Child Loop BB229_48 Depth 4
                                        ;         Child Loop BB229_50 Depth 4
                                        ;         Child Loop BB229_56 Depth 4
                                        ;         Child Loop BB229_58 Depth 4
	;; [unrolled: 5-line block ×4, first 2 shown]
	v_lshlrev_b64 v[4:5], 2, v[28:29]
	s_mov_b32 s16, exec_lo
	s_delay_alu instid0(VALU_DEP_1) | instskip(NEXT) | instid1(VALU_DEP_2)
	v_add_co_u32 v0, vcc_lo, s18, v4
	v_add_co_ci_u32_e32 v1, vcc_lo, s19, v5, vcc_lo
	global_load_b32 v0, v[0:1], off
	s_waitcnt vmcnt(0)
	v_subrev_nc_u32_e32 v0, s24, v0
	s_delay_alu instid0(VALU_DEP_1) | instskip(NEXT) | instid1(VALU_DEP_1)
	v_ashrrev_i32_e32 v1, 31, v0
	v_lshlrev_b64 v[0:1], 3, v[0:1]
	s_delay_alu instid0(VALU_DEP_1) | instskip(NEXT) | instid1(VALU_DEP_2)
	v_add_co_u32 v0, vcc_lo, s22, v0
	v_add_co_ci_u32_e32 v1, vcc_lo, s23, v1, vcc_lo
	global_load_b128 v[0:3], v[0:1], off
	s_waitcnt vmcnt(0)
	v_cmpx_lt_i64_e64 v[0:1], v[2:3]
	s_cbranch_execz .LBB229_16
; %bb.18:                               ;   in Loop: Header=BB229_17 Depth=1
	v_or_b32_e32 v9, 0, v5
	v_or_b32_e32 v8, s14, v4
	v_lshlrev_b64 v[6:7], 6, v[28:29]
	v_or_b32_e32 v5, 0, v5
	v_or_b32_e32 v4, s15, v4
	s_mov_b32 s17, 0
	v_lshlrev_b64 v[8:9], 4, v[8:9]
	s_delay_alu instid0(VALU_DEP_4) | instskip(NEXT) | instid1(VALU_DEP_3)
	v_add_co_u32 v10, vcc_lo, s20, v6
	v_lshlrev_b64 v[12:13], 4, v[4:5]
	v_add_co_ci_u32_e32 v11, vcc_lo, s21, v7, vcc_lo
	s_delay_alu instid0(VALU_DEP_4) | instskip(SKIP_1) | instid1(VALU_DEP_4)
	v_add_co_u32 v14, vcc_lo, s20, v8
	v_add_co_ci_u32_e32 v15, vcc_lo, s21, v9, vcc_lo
	v_add_co_u32 v30, vcc_lo, s20, v12
	v_add_co_ci_u32_e32 v31, vcc_lo, s21, v13, vcc_lo
	s_clause 0x3
	global_load_b128 v[4:7], v[10:11], off
	global_load_b128 v[8:11], v[10:11], off offset:48
	global_load_b128 v[12:15], v[14:15], off
	global_load_b128 v[44:47], v[30:31], off
	s_waitcnt vmcnt(2)
	v_mul_f64 v[34:35], v[10:11], -v[24:25]
	v_mul_f64 v[30:31], v[6:7], -v[24:25]
	v_mul_f64 v[6:7], v[22:23], v[6:7]
	v_mul_f64 v[10:11], v[22:23], v[10:11]
	s_waitcnt vmcnt(1)
	v_mul_f64 v[38:39], v[14:15], -v[24:25]
	v_mul_f64 v[14:15], v[22:23], v[14:15]
	s_waitcnt vmcnt(0)
	v_mul_f64 v[42:43], v[46:47], -v[24:25]
	v_mul_f64 v[46:47], v[22:23], v[46:47]
	v_fma_f64 v[34:35], v[22:23], v[8:9], v[34:35]
	v_fma_f64 v[30:31], v[22:23], v[4:5], v[30:31]
	;; [unrolled: 1-line block ×8, first 2 shown]
	v_sub_co_u32 v46, vcc_lo, v2, s13
	v_subrev_co_ci_u32_e32 v47, vcc_lo, 0, v3, vcc_lo
	v_sub_co_u32 v48, vcc_lo, v0, s13
	v_subrev_co_ci_u32_e32 v49, vcc_lo, 0, v1, vcc_lo
	s_branch .LBB229_20
.LBB229_19:                             ;   in Loop: Header=BB229_20 Depth=2
	s_or_b32 exec_lo, exec_lo, s33
	v_add_co_u32 v48, vcc_lo, v48, 1
	v_add_co_ci_u32_e32 v49, vcc_lo, 0, v49, vcc_lo
	s_delay_alu instid0(VALU_DEP_1) | instskip(SKIP_1) | instid1(SALU_CYCLE_1)
	v_cmp_ge_i64_e32 vcc_lo, v[48:49], v[46:47]
	s_or_b32 s17, vcc_lo, s17
	s_and_not1_b32 exec_lo, exec_lo, s17
	s_cbranch_execz .LBB229_16
.LBB229_20:                             ;   Parent Loop BB229_17 Depth=1
                                        ; =>  This Loop Header: Depth=2
                                        ;       Child Loop BB229_22 Depth 3
                                        ;         Child Loop BB229_28 Depth 4
                                        ;         Child Loop BB229_30 Depth 4
                                        ;         Child Loop BB229_36 Depth 4
                                        ;         Child Loop BB229_38 Depth 4
                                        ;       Child Loop BB229_42 Depth 3
                                        ;         Child Loop BB229_48 Depth 4
                                        ;         Child Loop BB229_50 Depth 4
                                        ;         Child Loop BB229_56 Depth 4
                                        ;         Child Loop BB229_58 Depth 4
                                        ;       Child Loop BB229_62 Depth 3
                                        ;         Child Loop BB229_68 Depth 4
                                        ;         Child Loop BB229_70 Depth 4
                                        ;         Child Loop BB229_76 Depth 4
                                        ;         Child Loop BB229_78 Depth 4
                                        ;       Child Loop BB229_82 Depth 3
                                        ;         Child Loop BB229_88 Depth 4
                                        ;         Child Loop BB229_90 Depth 4
                                        ;         Child Loop BB229_96 Depth 4
                                        ;         Child Loop BB229_98 Depth 4
	s_delay_alu instid0(VALU_DEP_1) | instskip(SKIP_1) | instid1(VALU_DEP_1)
	v_lshlrev_b64 v[0:1], 2, v[48:49]
	s_mov_b32 s33, 0
	v_or_b32_e32 v3, 0, v1
	s_delay_alu instid0(VALU_DEP_2) | instskip(NEXT) | instid1(VALU_DEP_1)
	v_or_b32_e32 v2, s15, v0
	v_lshlrev_b64 v[2:3], 4, v[2:3]
	s_delay_alu instid0(VALU_DEP_1) | instskip(NEXT) | instid1(VALU_DEP_2)
	v_add_co_u32 v2, vcc_lo, s38, v2
	v_add_co_ci_u32_e32 v3, vcc_lo, s39, v3, vcc_lo
	global_load_b128 v[12:15], v[2:3], off
	v_lshlrev_b64 v[2:3], 6, v[48:49]
	s_delay_alu instid0(VALU_DEP_1) | instskip(NEXT) | instid1(VALU_DEP_2)
	v_add_co_u32 v4, vcc_lo, s38, v2
	v_add_co_ci_u32_e32 v5, vcc_lo, s39, v3, vcc_lo
	v_add_co_u32 v2, vcc_lo, s36, v0
	v_add_co_ci_u32_e32 v3, vcc_lo, s37, v1, vcc_lo
	global_load_b128 v[8:11], v[4:5], off
	v_or_b32_e32 v1, 0, v1
	v_or_b32_e32 v0, s14, v0
	global_load_b32 v54, v[2:3], off
	v_lshlrev_b64 v[0:1], 4, v[0:1]
	s_delay_alu instid0(VALU_DEP_1) | instskip(NEXT) | instid1(VALU_DEP_2)
	v_add_co_u32 v0, vcc_lo, s38, v0
	v_add_co_ci_u32_e32 v1, vcc_lo, s39, v1, vcc_lo
	s_clause 0x1
	global_load_b128 v[0:3], v[0:1], off
	global_load_b128 v[4:7], v[4:5], off offset:48
	s_waitcnt vmcnt(4)
	v_mul_f64 v[50:51], v[14:15], -v[40:41]
	v_mul_f64 v[52:53], v[38:39], v[14:15]
	s_waitcnt vmcnt(2)
	v_subrev_nc_u32_e32 v65, s25, v54
	s_delay_alu instid0(VALU_DEP_1) | instskip(NEXT) | instid1(VALU_DEP_1)
	v_lshl_add_u32 v54, v65, 3, v65
	v_and_b32_e32 v66, 31, v54
	s_delay_alu instid0(VALU_DEP_1) | instskip(SKIP_2) | instid1(VALU_DEP_2)
	v_mov_b32_e32 v67, v66
	v_fma_f64 v[50:51], v[38:39], v[12:13], v[50:51]
	v_fma_f64 v[52:53], v[40:41], v[12:13], v[52:53]
	;; [unrolled: 1-line block ×3, first 2 shown]
	s_delay_alu instid0(VALU_DEP_2) | instskip(NEXT) | instid1(VALU_DEP_2)
	v_fma_f64 v[52:53], v[32:33], v[8:9], v[52:53]
	v_fma_f64 v[50:51], -v[32:33], v[10:11], v[50:51]
	s_delay_alu instid0(VALU_DEP_2)
	v_fma_f64 v[52:53], v[30:31], v[10:11], v[52:53]
	s_branch .LBB229_22
.LBB229_21:                             ;   in Loop: Header=BB229_22 Depth=3
	s_or_b32 exec_lo, exec_lo, s34
	s_xor_b32 s34, s35, -1
	s_delay_alu instid0(SALU_CYCLE_1) | instskip(NEXT) | instid1(SALU_CYCLE_1)
	s_and_b32 s34, exec_lo, s34
	s_or_b32 s33, s34, s33
	s_delay_alu instid0(SALU_CYCLE_1)
	s_and_not1_b32 exec_lo, exec_lo, s33
	s_cbranch_execz .LBB229_40
.LBB229_22:                             ;   Parent Loop BB229_17 Depth=1
                                        ;     Parent Loop BB229_20 Depth=2
                                        ; =>    This Loop Header: Depth=3
                                        ;         Child Loop BB229_28 Depth 4
                                        ;         Child Loop BB229_30 Depth 4
	;; [unrolled: 1-line block ×4, first 2 shown]
	v_lshl_add_u32 v54, v67, 2, v58
	s_mov_b32 s34, exec_lo
                                        ; implicit-def: $sgpr35
	ds_load_b32 v55, v54
	s_waitcnt lgkmcnt(0)
	v_cmpx_ne_u32_e64 v55, v65
	s_xor_b32 s34, exec_lo, s34
	s_cbranch_execz .LBB229_34
; %bb.23:                               ;   in Loop: Header=BB229_22 Depth=3
	s_mov_b32 s40, exec_lo
                                        ; implicit-def: $sgpr35
	v_cmpx_ne_u32_e64 s2, v55
	s_xor_b32 s40, exec_lo, s40
; %bb.24:                               ;   in Loop: Header=BB229_22 Depth=3
	v_add_nc_u32_e32 v54, 1, v67
	s_mov_b32 s35, -1
	s_delay_alu instid0(VALU_DEP_1)
	v_and_b32_e32 v67, 31, v54
                                        ; implicit-def: $vgpr54
; %bb.25:                               ;   in Loop: Header=BB229_22 Depth=3
	s_and_not1_saveexec_b32 s40, s40
	s_cbranch_execz .LBB229_33
; %bb.26:                               ;   in Loop: Header=BB229_22 Depth=3
	v_mov_b32_e32 v55, s2
	s_mov_b32 s42, -1
	s_mov_b32 s41, exec_lo
	ds_cmpstore_rtn_b32 v54, v54, v65, v55
	s_waitcnt lgkmcnt(0)
	v_cmpx_eq_u32_e64 s2, v54
	s_cbranch_execz .LBB229_32
; %bb.27:                               ;   in Loop: Header=BB229_22 Depth=3
	v_lshlrev_b32_e32 v54, 6, v67
	s_mov_b32 s42, 0
	s_delay_alu instid0(VALU_DEP_1)
	v_add_nc_u32_e32 v68, v61, v54
	ds_load_b64 v[54:55], v68
.LBB229_28:                             ;   Parent Loop BB229_17 Depth=1
                                        ;     Parent Loop BB229_20 Depth=2
                                        ;       Parent Loop BB229_22 Depth=3
                                        ; =>      This Inner Loop Header: Depth=4
	s_waitcnt lgkmcnt(0)
	v_add_f64 v[69:70], v[54:55], v[50:51]
	ds_cmpstore_rtn_b64 v[69:70], v68, v[69:70], v[54:55]
	s_waitcnt lgkmcnt(0)
	v_cmp_eq_u64_e32 vcc_lo, v[69:70], v[54:55]
	v_dual_mov_b32 v54, v69 :: v_dual_mov_b32 v55, v70
	s_or_b32 s42, vcc_lo, s42
	s_delay_alu instid0(SALU_CYCLE_1)
	s_and_not1_b32 exec_lo, exec_lo, s42
	s_cbranch_execnz .LBB229_28
; %bb.29:                               ;   in Loop: Header=BB229_22 Depth=3
	s_or_b32 exec_lo, exec_lo, s42
	ds_load_b64 v[54:55], v68 offset:8
	s_mov_b32 s42, 0
.LBB229_30:                             ;   Parent Loop BB229_17 Depth=1
                                        ;     Parent Loop BB229_20 Depth=2
                                        ;       Parent Loop BB229_22 Depth=3
                                        ; =>      This Inner Loop Header: Depth=4
	s_waitcnt lgkmcnt(0)
	v_add_f64 v[69:70], v[54:55], v[52:53]
	ds_cmpstore_rtn_b64 v[69:70], v68, v[69:70], v[54:55] offset:8
	s_waitcnt lgkmcnt(0)
	v_cmp_eq_u64_e32 vcc_lo, v[69:70], v[54:55]
	v_dual_mov_b32 v54, v69 :: v_dual_mov_b32 v55, v70
	s_or_b32 s42, vcc_lo, s42
	s_delay_alu instid0(SALU_CYCLE_1)
	s_and_not1_b32 exec_lo, exec_lo, s42
	s_cbranch_execnz .LBB229_30
; %bb.31:                               ;   in Loop: Header=BB229_22 Depth=3
	s_or_b32 exec_lo, exec_lo, s42
	s_delay_alu instid0(SALU_CYCLE_1)
	s_xor_b32 s42, exec_lo, -1
.LBB229_32:                             ;   in Loop: Header=BB229_22 Depth=3
	s_or_b32 exec_lo, exec_lo, s41
	s_delay_alu instid0(SALU_CYCLE_1) | instskip(SKIP_1) | instid1(SALU_CYCLE_1)
	s_and_not1_b32 s35, s35, exec_lo
	s_and_b32 s41, s42, exec_lo
	s_or_b32 s35, s35, s41
.LBB229_33:                             ;   in Loop: Header=BB229_22 Depth=3
	s_or_b32 exec_lo, exec_lo, s40
	s_delay_alu instid0(SALU_CYCLE_1)
	s_and_b32 s35, s35, exec_lo
.LBB229_34:                             ;   in Loop: Header=BB229_22 Depth=3
	s_and_not1_saveexec_b32 s34, s34
	s_cbranch_execz .LBB229_21
; %bb.35:                               ;   in Loop: Header=BB229_22 Depth=3
	v_lshlrev_b32_e32 v54, 6, v67
	s_mov_b32 s40, 0
	s_delay_alu instid0(VALU_DEP_1)
	v_add_nc_u32_e32 v68, v61, v54
	ds_load_b64 v[54:55], v68
.LBB229_36:                             ;   Parent Loop BB229_17 Depth=1
                                        ;     Parent Loop BB229_20 Depth=2
                                        ;       Parent Loop BB229_22 Depth=3
                                        ; =>      This Inner Loop Header: Depth=4
	s_waitcnt lgkmcnt(0)
	v_add_f64 v[69:70], v[54:55], v[50:51]
	ds_cmpstore_rtn_b64 v[69:70], v68, v[69:70], v[54:55]
	s_waitcnt lgkmcnt(0)
	v_cmp_eq_u64_e32 vcc_lo, v[69:70], v[54:55]
	v_dual_mov_b32 v54, v69 :: v_dual_mov_b32 v55, v70
	s_or_b32 s40, vcc_lo, s40
	s_delay_alu instid0(SALU_CYCLE_1)
	s_and_not1_b32 exec_lo, exec_lo, s40
	s_cbranch_execnz .LBB229_36
; %bb.37:                               ;   in Loop: Header=BB229_22 Depth=3
	s_or_b32 exec_lo, exec_lo, s40
	ds_load_b64 v[54:55], v68 offset:8
	s_mov_b32 s40, 0
.LBB229_38:                             ;   Parent Loop BB229_17 Depth=1
                                        ;     Parent Loop BB229_20 Depth=2
                                        ;       Parent Loop BB229_22 Depth=3
                                        ; =>      This Inner Loop Header: Depth=4
	s_waitcnt lgkmcnt(0)
	v_add_f64 v[69:70], v[54:55], v[52:53]
	ds_cmpstore_rtn_b64 v[69:70], v68, v[69:70], v[54:55] offset:8
	s_waitcnt lgkmcnt(0)
	v_cmp_eq_u64_e32 vcc_lo, v[69:70], v[54:55]
	v_dual_mov_b32 v54, v69 :: v_dual_mov_b32 v55, v70
	s_or_b32 s40, vcc_lo, s40
	s_delay_alu instid0(SALU_CYCLE_1)
	s_and_not1_b32 exec_lo, exec_lo, s40
	s_cbranch_execnz .LBB229_38
; %bb.39:                               ;   in Loop: Header=BB229_22 Depth=3
	s_or_b32 exec_lo, exec_lo, s40
	s_delay_alu instid0(SALU_CYCLE_1)
	s_and_not1_b32 s35, s35, exec_lo
	s_branch .LBB229_21
.LBB229_40:                             ;   in Loop: Header=BB229_20 Depth=2
	s_or_b32 exec_lo, exec_lo, s33
	s_waitcnt vmcnt(0)
	v_mul_f64 v[50:51], v[6:7], -v[40:41]
	v_mul_f64 v[52:53], v[38:39], v[6:7]
	v_mov_b32_e32 v67, v66
	s_mov_b32 s33, 0
	s_delay_alu instid0(VALU_DEP_3) | instskip(NEXT) | instid1(VALU_DEP_3)
	v_fma_f64 v[50:51], v[38:39], v[4:5], v[50:51]
	v_fma_f64 v[52:53], v[40:41], v[4:5], v[52:53]
	s_delay_alu instid0(VALU_DEP_2) | instskip(NEXT) | instid1(VALU_DEP_2)
	v_fma_f64 v[50:51], v[30:31], v[0:1], v[50:51]
	v_fma_f64 v[52:53], v[32:33], v[0:1], v[52:53]
	s_delay_alu instid0(VALU_DEP_2) | instskip(NEXT) | instid1(VALU_DEP_2)
	v_fma_f64 v[50:51], -v[32:33], v[2:3], v[50:51]
	v_fma_f64 v[52:53], v[30:31], v[2:3], v[52:53]
	s_branch .LBB229_42
.LBB229_41:                             ;   in Loop: Header=BB229_42 Depth=3
	s_or_b32 exec_lo, exec_lo, s34
	s_xor_b32 s34, s35, -1
	s_delay_alu instid0(SALU_CYCLE_1) | instskip(NEXT) | instid1(SALU_CYCLE_1)
	s_and_b32 s34, exec_lo, s34
	s_or_b32 s33, s34, s33
	s_delay_alu instid0(SALU_CYCLE_1)
	s_and_not1_b32 exec_lo, exec_lo, s33
	s_cbranch_execz .LBB229_60
.LBB229_42:                             ;   Parent Loop BB229_17 Depth=1
                                        ;     Parent Loop BB229_20 Depth=2
                                        ; =>    This Loop Header: Depth=3
                                        ;         Child Loop BB229_48 Depth 4
                                        ;         Child Loop BB229_50 Depth 4
	;; [unrolled: 1-line block ×4, first 2 shown]
	v_lshl_add_u32 v54, v67, 2, v58
	s_mov_b32 s34, exec_lo
                                        ; implicit-def: $sgpr35
	ds_load_b32 v55, v54
	s_waitcnt lgkmcnt(0)
	v_cmpx_ne_u32_e64 v55, v65
	s_xor_b32 s34, exec_lo, s34
	s_cbranch_execz .LBB229_54
; %bb.43:                               ;   in Loop: Header=BB229_42 Depth=3
	s_mov_b32 s40, exec_lo
                                        ; implicit-def: $sgpr35
	v_cmpx_ne_u32_e64 s2, v55
	s_xor_b32 s40, exec_lo, s40
; %bb.44:                               ;   in Loop: Header=BB229_42 Depth=3
	v_add_nc_u32_e32 v54, 1, v67
	s_mov_b32 s35, -1
	s_delay_alu instid0(VALU_DEP_1)
	v_and_b32_e32 v67, 31, v54
                                        ; implicit-def: $vgpr54
; %bb.45:                               ;   in Loop: Header=BB229_42 Depth=3
	s_and_not1_saveexec_b32 s40, s40
	s_cbranch_execz .LBB229_53
; %bb.46:                               ;   in Loop: Header=BB229_42 Depth=3
	v_mov_b32_e32 v55, s2
	s_mov_b32 s42, -1
	s_mov_b32 s41, exec_lo
	ds_cmpstore_rtn_b32 v54, v54, v65, v55
	s_waitcnt lgkmcnt(0)
	v_cmpx_eq_u32_e64 s2, v54
	s_cbranch_execz .LBB229_52
; %bb.47:                               ;   in Loop: Header=BB229_42 Depth=3
	v_lshl_add_u32 v68, v67, 6, v62
	s_mov_b32 s42, 0
	ds_load_b64 v[54:55], v68
.LBB229_48:                             ;   Parent Loop BB229_17 Depth=1
                                        ;     Parent Loop BB229_20 Depth=2
                                        ;       Parent Loop BB229_42 Depth=3
                                        ; =>      This Inner Loop Header: Depth=4
	s_waitcnt lgkmcnt(0)
	v_add_f64 v[69:70], v[54:55], v[50:51]
	ds_cmpstore_rtn_b64 v[69:70], v68, v[69:70], v[54:55]
	s_waitcnt lgkmcnt(0)
	v_cmp_eq_u64_e32 vcc_lo, v[69:70], v[54:55]
	v_dual_mov_b32 v54, v69 :: v_dual_mov_b32 v55, v70
	s_or_b32 s42, vcc_lo, s42
	s_delay_alu instid0(SALU_CYCLE_1)
	s_and_not1_b32 exec_lo, exec_lo, s42
	s_cbranch_execnz .LBB229_48
; %bb.49:                               ;   in Loop: Header=BB229_42 Depth=3
	s_or_b32 exec_lo, exec_lo, s42
	ds_load_b64 v[54:55], v68 offset:8
	s_mov_b32 s42, 0
.LBB229_50:                             ;   Parent Loop BB229_17 Depth=1
                                        ;     Parent Loop BB229_20 Depth=2
                                        ;       Parent Loop BB229_42 Depth=3
                                        ; =>      This Inner Loop Header: Depth=4
	s_waitcnt lgkmcnt(0)
	v_add_f64 v[69:70], v[54:55], v[52:53]
	ds_cmpstore_rtn_b64 v[69:70], v68, v[69:70], v[54:55] offset:8
	s_waitcnt lgkmcnt(0)
	v_cmp_eq_u64_e32 vcc_lo, v[69:70], v[54:55]
	v_dual_mov_b32 v54, v69 :: v_dual_mov_b32 v55, v70
	s_or_b32 s42, vcc_lo, s42
	s_delay_alu instid0(SALU_CYCLE_1)
	s_and_not1_b32 exec_lo, exec_lo, s42
	s_cbranch_execnz .LBB229_50
; %bb.51:                               ;   in Loop: Header=BB229_42 Depth=3
	s_or_b32 exec_lo, exec_lo, s42
	s_delay_alu instid0(SALU_CYCLE_1)
	s_xor_b32 s42, exec_lo, -1
.LBB229_52:                             ;   in Loop: Header=BB229_42 Depth=3
	s_or_b32 exec_lo, exec_lo, s41
	s_delay_alu instid0(SALU_CYCLE_1) | instskip(SKIP_1) | instid1(SALU_CYCLE_1)
	s_and_not1_b32 s35, s35, exec_lo
	s_and_b32 s41, s42, exec_lo
	s_or_b32 s35, s35, s41
.LBB229_53:                             ;   in Loop: Header=BB229_42 Depth=3
	s_or_b32 exec_lo, exec_lo, s40
	s_delay_alu instid0(SALU_CYCLE_1)
	s_and_b32 s35, s35, exec_lo
.LBB229_54:                             ;   in Loop: Header=BB229_42 Depth=3
	s_and_not1_saveexec_b32 s34, s34
	s_cbranch_execz .LBB229_41
; %bb.55:                               ;   in Loop: Header=BB229_42 Depth=3
	v_lshl_add_u32 v68, v67, 6, v62
	s_mov_b32 s40, 0
	ds_load_b64 v[54:55], v68
.LBB229_56:                             ;   Parent Loop BB229_17 Depth=1
                                        ;     Parent Loop BB229_20 Depth=2
                                        ;       Parent Loop BB229_42 Depth=3
                                        ; =>      This Inner Loop Header: Depth=4
	s_waitcnt lgkmcnt(0)
	v_add_f64 v[69:70], v[54:55], v[50:51]
	ds_cmpstore_rtn_b64 v[69:70], v68, v[69:70], v[54:55]
	s_waitcnt lgkmcnt(0)
	v_cmp_eq_u64_e32 vcc_lo, v[69:70], v[54:55]
	v_dual_mov_b32 v54, v69 :: v_dual_mov_b32 v55, v70
	s_or_b32 s40, vcc_lo, s40
	s_delay_alu instid0(SALU_CYCLE_1)
	s_and_not1_b32 exec_lo, exec_lo, s40
	s_cbranch_execnz .LBB229_56
; %bb.57:                               ;   in Loop: Header=BB229_42 Depth=3
	s_or_b32 exec_lo, exec_lo, s40
	ds_load_b64 v[54:55], v68 offset:8
	s_mov_b32 s40, 0
.LBB229_58:                             ;   Parent Loop BB229_17 Depth=1
                                        ;     Parent Loop BB229_20 Depth=2
                                        ;       Parent Loop BB229_42 Depth=3
                                        ; =>      This Inner Loop Header: Depth=4
	s_waitcnt lgkmcnt(0)
	v_add_f64 v[69:70], v[54:55], v[52:53]
	ds_cmpstore_rtn_b64 v[69:70], v68, v[69:70], v[54:55] offset:8
	s_waitcnt lgkmcnt(0)
	v_cmp_eq_u64_e32 vcc_lo, v[69:70], v[54:55]
	v_dual_mov_b32 v54, v69 :: v_dual_mov_b32 v55, v70
	s_or_b32 s40, vcc_lo, s40
	s_delay_alu instid0(SALU_CYCLE_1)
	s_and_not1_b32 exec_lo, exec_lo, s40
	s_cbranch_execnz .LBB229_58
; %bb.59:                               ;   in Loop: Header=BB229_42 Depth=3
	s_or_b32 exec_lo, exec_lo, s40
	s_delay_alu instid0(SALU_CYCLE_1)
	s_and_not1_b32 s35, s35, exec_lo
	s_branch .LBB229_41
.LBB229_60:                             ;   in Loop: Header=BB229_20 Depth=2
	s_or_b32 exec_lo, exec_lo, s33
	v_mul_f64 v[50:51], v[14:15], -v[36:37]
	v_mul_f64 v[14:15], v[34:35], v[14:15]
	s_mov_b32 s33, 0
	s_delay_alu instid0(VALU_DEP_2) | instskip(NEXT) | instid1(VALU_DEP_2)
	v_fma_f64 v[50:51], v[34:35], v[12:13], v[50:51]
	v_fma_f64 v[12:13], v[36:37], v[12:13], v[14:15]
	s_delay_alu instid0(VALU_DEP_2) | instskip(NEXT) | instid1(VALU_DEP_2)
	v_fma_f64 v[14:15], v[42:43], v[8:9], v[50:51]
	v_fma_f64 v[12:13], v[44:45], v[8:9], v[12:13]
	s_delay_alu instid0(VALU_DEP_2) | instskip(NEXT) | instid1(VALU_DEP_2)
	v_fma_f64 v[8:9], -v[44:45], v[10:11], v[14:15]
	v_fma_f64 v[10:11], v[42:43], v[10:11], v[12:13]
	v_mov_b32_e32 v14, v66
	s_branch .LBB229_62
.LBB229_61:                             ;   in Loop: Header=BB229_62 Depth=3
	s_or_b32 exec_lo, exec_lo, s34
	s_xor_b32 s34, s35, -1
	s_delay_alu instid0(SALU_CYCLE_1) | instskip(NEXT) | instid1(SALU_CYCLE_1)
	s_and_b32 s34, exec_lo, s34
	s_or_b32 s33, s34, s33
	s_delay_alu instid0(SALU_CYCLE_1)
	s_and_not1_b32 exec_lo, exec_lo, s33
	s_cbranch_execz .LBB229_80
.LBB229_62:                             ;   Parent Loop BB229_17 Depth=1
                                        ;     Parent Loop BB229_20 Depth=2
                                        ; =>    This Loop Header: Depth=3
                                        ;         Child Loop BB229_68 Depth 4
                                        ;         Child Loop BB229_70 Depth 4
	;; [unrolled: 1-line block ×4, first 2 shown]
	s_delay_alu instid0(VALU_DEP_1)
	v_lshl_add_u32 v12, v14, 2, v58
	s_mov_b32 s34, exec_lo
                                        ; implicit-def: $sgpr35
	ds_load_b32 v13, v12
	s_waitcnt lgkmcnt(0)
	v_cmpx_ne_u32_e64 v13, v65
	s_xor_b32 s34, exec_lo, s34
	s_cbranch_execz .LBB229_74
; %bb.63:                               ;   in Loop: Header=BB229_62 Depth=3
	s_mov_b32 s40, exec_lo
                                        ; implicit-def: $sgpr35
	v_cmpx_ne_u32_e64 s2, v13
	s_xor_b32 s40, exec_lo, s40
; %bb.64:                               ;   in Loop: Header=BB229_62 Depth=3
	v_add_nc_u32_e32 v12, 1, v14
	s_mov_b32 s35, -1
	s_delay_alu instid0(VALU_DEP_1)
	v_and_b32_e32 v14, 31, v12
                                        ; implicit-def: $vgpr12
; %bb.65:                               ;   in Loop: Header=BB229_62 Depth=3
	s_and_not1_saveexec_b32 s40, s40
	s_cbranch_execz .LBB229_73
; %bb.66:                               ;   in Loop: Header=BB229_62 Depth=3
	v_mov_b32_e32 v13, s2
	s_mov_b32 s42, -1
	s_mov_b32 s41, exec_lo
	ds_cmpstore_rtn_b32 v12, v12, v65, v13
	s_waitcnt lgkmcnt(0)
	v_cmpx_eq_u32_e64 s2, v12
	s_cbranch_execz .LBB229_72
; %bb.67:                               ;   in Loop: Header=BB229_62 Depth=3
	v_lshl_add_u32 v15, v14, 6, v63
	s_mov_b32 s42, 0
	ds_load_b64 v[12:13], v15
.LBB229_68:                             ;   Parent Loop BB229_17 Depth=1
                                        ;     Parent Loop BB229_20 Depth=2
                                        ;       Parent Loop BB229_62 Depth=3
                                        ; =>      This Inner Loop Header: Depth=4
	s_waitcnt lgkmcnt(0)
	v_add_f64 v[50:51], v[12:13], v[8:9]
	ds_cmpstore_rtn_b64 v[50:51], v15, v[50:51], v[12:13]
	s_waitcnt lgkmcnt(0)
	v_cmp_eq_u64_e32 vcc_lo, v[50:51], v[12:13]
	v_dual_mov_b32 v12, v50 :: v_dual_mov_b32 v13, v51
	s_or_b32 s42, vcc_lo, s42
	s_delay_alu instid0(SALU_CYCLE_1)
	s_and_not1_b32 exec_lo, exec_lo, s42
	s_cbranch_execnz .LBB229_68
; %bb.69:                               ;   in Loop: Header=BB229_62 Depth=3
	s_or_b32 exec_lo, exec_lo, s42
	ds_load_b64 v[12:13], v15 offset:8
	s_mov_b32 s42, 0
.LBB229_70:                             ;   Parent Loop BB229_17 Depth=1
                                        ;     Parent Loop BB229_20 Depth=2
                                        ;       Parent Loop BB229_62 Depth=3
                                        ; =>      This Inner Loop Header: Depth=4
	s_waitcnt lgkmcnt(0)
	v_add_f64 v[50:51], v[12:13], v[10:11]
	ds_cmpstore_rtn_b64 v[50:51], v15, v[50:51], v[12:13] offset:8
	s_waitcnt lgkmcnt(0)
	v_cmp_eq_u64_e32 vcc_lo, v[50:51], v[12:13]
	v_dual_mov_b32 v12, v50 :: v_dual_mov_b32 v13, v51
	s_or_b32 s42, vcc_lo, s42
	s_delay_alu instid0(SALU_CYCLE_1)
	s_and_not1_b32 exec_lo, exec_lo, s42
	s_cbranch_execnz .LBB229_70
; %bb.71:                               ;   in Loop: Header=BB229_62 Depth=3
	s_or_b32 exec_lo, exec_lo, s42
	s_delay_alu instid0(SALU_CYCLE_1)
	s_xor_b32 s42, exec_lo, -1
.LBB229_72:                             ;   in Loop: Header=BB229_62 Depth=3
	s_or_b32 exec_lo, exec_lo, s41
	s_delay_alu instid0(SALU_CYCLE_1) | instskip(SKIP_1) | instid1(SALU_CYCLE_1)
	s_and_not1_b32 s35, s35, exec_lo
	s_and_b32 s41, s42, exec_lo
	s_or_b32 s35, s35, s41
.LBB229_73:                             ;   in Loop: Header=BB229_62 Depth=3
	s_or_b32 exec_lo, exec_lo, s40
	s_delay_alu instid0(SALU_CYCLE_1)
	s_and_b32 s35, s35, exec_lo
.LBB229_74:                             ;   in Loop: Header=BB229_62 Depth=3
	s_and_not1_saveexec_b32 s34, s34
	s_cbranch_execz .LBB229_61
; %bb.75:                               ;   in Loop: Header=BB229_62 Depth=3
	v_lshl_add_u32 v15, v14, 6, v63
	s_mov_b32 s40, 0
	ds_load_b64 v[12:13], v15
.LBB229_76:                             ;   Parent Loop BB229_17 Depth=1
                                        ;     Parent Loop BB229_20 Depth=2
                                        ;       Parent Loop BB229_62 Depth=3
                                        ; =>      This Inner Loop Header: Depth=4
	s_waitcnt lgkmcnt(0)
	v_add_f64 v[50:51], v[12:13], v[8:9]
	ds_cmpstore_rtn_b64 v[50:51], v15, v[50:51], v[12:13]
	s_waitcnt lgkmcnt(0)
	v_cmp_eq_u64_e32 vcc_lo, v[50:51], v[12:13]
	v_dual_mov_b32 v12, v50 :: v_dual_mov_b32 v13, v51
	s_or_b32 s40, vcc_lo, s40
	s_delay_alu instid0(SALU_CYCLE_1)
	s_and_not1_b32 exec_lo, exec_lo, s40
	s_cbranch_execnz .LBB229_76
; %bb.77:                               ;   in Loop: Header=BB229_62 Depth=3
	s_or_b32 exec_lo, exec_lo, s40
	ds_load_b64 v[12:13], v15 offset:8
	s_mov_b32 s40, 0
.LBB229_78:                             ;   Parent Loop BB229_17 Depth=1
                                        ;     Parent Loop BB229_20 Depth=2
                                        ;       Parent Loop BB229_62 Depth=3
                                        ; =>      This Inner Loop Header: Depth=4
	s_waitcnt lgkmcnt(0)
	v_add_f64 v[50:51], v[12:13], v[10:11]
	ds_cmpstore_rtn_b64 v[50:51], v15, v[50:51], v[12:13] offset:8
	s_waitcnt lgkmcnt(0)
	v_cmp_eq_u64_e32 vcc_lo, v[50:51], v[12:13]
	v_dual_mov_b32 v12, v50 :: v_dual_mov_b32 v13, v51
	s_or_b32 s40, vcc_lo, s40
	s_delay_alu instid0(SALU_CYCLE_1)
	s_and_not1_b32 exec_lo, exec_lo, s40
	s_cbranch_execnz .LBB229_78
; %bb.79:                               ;   in Loop: Header=BB229_62 Depth=3
	s_or_b32 exec_lo, exec_lo, s40
	s_delay_alu instid0(SALU_CYCLE_1)
	s_and_not1_b32 s35, s35, exec_lo
	s_branch .LBB229_61
.LBB229_80:                             ;   in Loop: Header=BB229_20 Depth=2
	s_or_b32 exec_lo, exec_lo, s33
	v_mul_f64 v[8:9], v[6:7], -v[36:37]
	v_mul_f64 v[6:7], v[34:35], v[6:7]
	s_mov_b32 s33, 0
	s_delay_alu instid0(VALU_DEP_2) | instskip(NEXT) | instid1(VALU_DEP_2)
	v_fma_f64 v[8:9], v[34:35], v[4:5], v[8:9]
	v_fma_f64 v[4:5], v[36:37], v[4:5], v[6:7]
	s_delay_alu instid0(VALU_DEP_2) | instskip(NEXT) | instid1(VALU_DEP_2)
	v_fma_f64 v[6:7], v[42:43], v[0:1], v[8:9]
	v_fma_f64 v[4:5], v[44:45], v[0:1], v[4:5]
	s_delay_alu instid0(VALU_DEP_2) | instskip(NEXT) | instid1(VALU_DEP_2)
	v_fma_f64 v[0:1], -v[44:45], v[2:3], v[6:7]
	v_fma_f64 v[2:3], v[42:43], v[2:3], v[4:5]
	s_branch .LBB229_82
.LBB229_81:                             ;   in Loop: Header=BB229_82 Depth=3
	s_or_b32 exec_lo, exec_lo, s34
	s_xor_b32 s34, s35, -1
	s_delay_alu instid0(SALU_CYCLE_1) | instskip(NEXT) | instid1(SALU_CYCLE_1)
	s_and_b32 s34, exec_lo, s34
	s_or_b32 s33, s34, s33
	s_delay_alu instid0(SALU_CYCLE_1)
	s_and_not1_b32 exec_lo, exec_lo, s33
	s_cbranch_execz .LBB229_19
.LBB229_82:                             ;   Parent Loop BB229_17 Depth=1
                                        ;     Parent Loop BB229_20 Depth=2
                                        ; =>    This Loop Header: Depth=3
                                        ;         Child Loop BB229_88 Depth 4
                                        ;         Child Loop BB229_90 Depth 4
	;; [unrolled: 1-line block ×4, first 2 shown]
	v_lshl_add_u32 v4, v66, 2, v58
	s_mov_b32 s34, exec_lo
                                        ; implicit-def: $sgpr35
	ds_load_b32 v5, v4
	s_waitcnt lgkmcnt(0)
	v_cmpx_ne_u32_e64 v5, v65
	s_xor_b32 s34, exec_lo, s34
	s_cbranch_execz .LBB229_94
; %bb.83:                               ;   in Loop: Header=BB229_82 Depth=3
	s_mov_b32 s40, exec_lo
                                        ; implicit-def: $sgpr35
	v_cmpx_ne_u32_e64 s2, v5
	s_xor_b32 s40, exec_lo, s40
; %bb.84:                               ;   in Loop: Header=BB229_82 Depth=3
	v_add_nc_u32_e32 v4, 1, v66
	s_mov_b32 s35, -1
	s_delay_alu instid0(VALU_DEP_1)
	v_and_b32_e32 v66, 31, v4
                                        ; implicit-def: $vgpr4
; %bb.85:                               ;   in Loop: Header=BB229_82 Depth=3
	s_and_not1_saveexec_b32 s40, s40
	s_cbranch_execz .LBB229_93
; %bb.86:                               ;   in Loop: Header=BB229_82 Depth=3
	v_mov_b32_e32 v5, s2
	s_mov_b32 s42, -1
	s_mov_b32 s41, exec_lo
	ds_cmpstore_rtn_b32 v4, v4, v65, v5
	s_waitcnt lgkmcnt(0)
	v_cmpx_eq_u32_e64 s2, v4
	s_cbranch_execz .LBB229_92
; %bb.87:                               ;   in Loop: Header=BB229_82 Depth=3
	v_lshl_add_u32 v6, v66, 6, v64
	s_mov_b32 s42, 0
	ds_load_b64 v[4:5], v6
.LBB229_88:                             ;   Parent Loop BB229_17 Depth=1
                                        ;     Parent Loop BB229_20 Depth=2
                                        ;       Parent Loop BB229_82 Depth=3
                                        ; =>      This Inner Loop Header: Depth=4
	s_waitcnt lgkmcnt(0)
	v_add_f64 v[7:8], v[4:5], v[0:1]
	ds_cmpstore_rtn_b64 v[7:8], v6, v[7:8], v[4:5]
	s_waitcnt lgkmcnt(0)
	v_cmp_eq_u64_e32 vcc_lo, v[7:8], v[4:5]
	v_dual_mov_b32 v4, v7 :: v_dual_mov_b32 v5, v8
	s_or_b32 s42, vcc_lo, s42
	s_delay_alu instid0(SALU_CYCLE_1)
	s_and_not1_b32 exec_lo, exec_lo, s42
	s_cbranch_execnz .LBB229_88
; %bb.89:                               ;   in Loop: Header=BB229_82 Depth=3
	s_or_b32 exec_lo, exec_lo, s42
	ds_load_b64 v[4:5], v6 offset:8
	s_mov_b32 s42, 0
.LBB229_90:                             ;   Parent Loop BB229_17 Depth=1
                                        ;     Parent Loop BB229_20 Depth=2
                                        ;       Parent Loop BB229_82 Depth=3
                                        ; =>      This Inner Loop Header: Depth=4
	s_waitcnt lgkmcnt(0)
	v_add_f64 v[7:8], v[4:5], v[2:3]
	ds_cmpstore_rtn_b64 v[7:8], v6, v[7:8], v[4:5] offset:8
	s_waitcnt lgkmcnt(0)
	v_cmp_eq_u64_e32 vcc_lo, v[7:8], v[4:5]
	v_dual_mov_b32 v4, v7 :: v_dual_mov_b32 v5, v8
	s_or_b32 s42, vcc_lo, s42
	s_delay_alu instid0(SALU_CYCLE_1)
	s_and_not1_b32 exec_lo, exec_lo, s42
	s_cbranch_execnz .LBB229_90
; %bb.91:                               ;   in Loop: Header=BB229_82 Depth=3
	s_or_b32 exec_lo, exec_lo, s42
	s_delay_alu instid0(SALU_CYCLE_1)
	s_xor_b32 s42, exec_lo, -1
.LBB229_92:                             ;   in Loop: Header=BB229_82 Depth=3
	s_or_b32 exec_lo, exec_lo, s41
	s_delay_alu instid0(SALU_CYCLE_1) | instskip(SKIP_1) | instid1(SALU_CYCLE_1)
	s_and_not1_b32 s35, s35, exec_lo
	s_and_b32 s41, s42, exec_lo
	s_or_b32 s35, s35, s41
.LBB229_93:                             ;   in Loop: Header=BB229_82 Depth=3
	s_or_b32 exec_lo, exec_lo, s40
	s_delay_alu instid0(SALU_CYCLE_1)
	s_and_b32 s35, s35, exec_lo
.LBB229_94:                             ;   in Loop: Header=BB229_82 Depth=3
	s_and_not1_saveexec_b32 s34, s34
	s_cbranch_execz .LBB229_81
; %bb.95:                               ;   in Loop: Header=BB229_82 Depth=3
	v_lshl_add_u32 v6, v66, 6, v64
	s_mov_b32 s40, 0
	ds_load_b64 v[4:5], v6
.LBB229_96:                             ;   Parent Loop BB229_17 Depth=1
                                        ;     Parent Loop BB229_20 Depth=2
                                        ;       Parent Loop BB229_82 Depth=3
                                        ; =>      This Inner Loop Header: Depth=4
	s_waitcnt lgkmcnt(0)
	v_add_f64 v[7:8], v[4:5], v[0:1]
	ds_cmpstore_rtn_b64 v[7:8], v6, v[7:8], v[4:5]
	s_waitcnt lgkmcnt(0)
	v_cmp_eq_u64_e32 vcc_lo, v[7:8], v[4:5]
	v_dual_mov_b32 v4, v7 :: v_dual_mov_b32 v5, v8
	s_or_b32 s40, vcc_lo, s40
	s_delay_alu instid0(SALU_CYCLE_1)
	s_and_not1_b32 exec_lo, exec_lo, s40
	s_cbranch_execnz .LBB229_96
; %bb.97:                               ;   in Loop: Header=BB229_82 Depth=3
	s_or_b32 exec_lo, exec_lo, s40
	ds_load_b64 v[4:5], v6 offset:8
	s_mov_b32 s40, 0
.LBB229_98:                             ;   Parent Loop BB229_17 Depth=1
                                        ;     Parent Loop BB229_20 Depth=2
                                        ;       Parent Loop BB229_82 Depth=3
                                        ; =>      This Inner Loop Header: Depth=4
	s_waitcnt lgkmcnt(0)
	v_add_f64 v[7:8], v[4:5], v[2:3]
	ds_cmpstore_rtn_b64 v[7:8], v6, v[7:8], v[4:5] offset:8
	s_waitcnt lgkmcnt(0)
	v_cmp_eq_u64_e32 vcc_lo, v[7:8], v[4:5]
	v_dual_mov_b32 v4, v7 :: v_dual_mov_b32 v5, v8
	s_or_b32 s40, vcc_lo, s40
	s_delay_alu instid0(SALU_CYCLE_1)
	s_and_not1_b32 exec_lo, exec_lo, s40
	s_cbranch_execnz .LBB229_98
; %bb.99:                               ;   in Loop: Header=BB229_82 Depth=3
	s_or_b32 exec_lo, exec_lo, s40
	s_delay_alu instid0(SALU_CYCLE_1)
	s_and_not1_b32 s35, s35, exec_lo
	s_branch .LBB229_81
.LBB229_100:
	s_or_b32 exec_lo, exec_lo, s1
.LBB229_101:
	s_delay_alu instid0(SALU_CYCLE_1)
	s_and_not1_b32 vcc_lo, exec_lo, s12
	buffer_gl0_inv
	s_cbranch_vccnz .LBB229_186
; %bb.102:
	v_add_co_u32 v0, vcc_lo, s4, v20
	v_add_co_ci_u32_e32 v1, vcc_lo, s5, v21, vcc_lo
	v_sub_co_u32 v4, s1, v59, s27
	s_delay_alu instid0(VALU_DEP_1)
	v_sub_co_ci_u32_e64 v5, null, 0, 0, s1
	global_load_b128 v[0:3], v[0:1], off
	s_mov_b32 s3, 0
	s_mov_b32 s1, exec_lo
	s_waitcnt vmcnt(0)
	v_sub_co_u32 v12, vcc_lo, v2, s27
	v_subrev_co_ci_u32_e32 v13, vcc_lo, 0, v3, vcc_lo
	v_add_co_u32 v14, vcc_lo, v0, v4
	v_add_co_ci_u32_e32 v15, vcc_lo, v1, v5, vcc_lo
	s_delay_alu instid0(VALU_DEP_1)
	v_cmpx_lt_i64_e64 v[14:15], v[12:13]
	s_cbranch_execz .LBB229_185
; %bb.103:
	v_add_nc_u32_e32 v28, 16, v61
	v_add_nc_u32_e32 v29, 32, v61
	;; [unrolled: 1-line block ×3, first 2 shown]
	s_cmp_eq_u32 s0, 0
	s_cselect_b32 s4, 1, 2
	s_cselect_b32 s5, 2, 1
	s_branch .LBB229_105
.LBB229_104:                            ;   in Loop: Header=BB229_105 Depth=1
	s_or_b32 exec_lo, exec_lo, s12
	v_add_co_u32 v14, vcc_lo, v14, 16
	v_add_co_ci_u32_e32 v15, vcc_lo, 0, v15, vcc_lo
	s_delay_alu instid0(VALU_DEP_1) | instskip(SKIP_1) | instid1(SALU_CYCLE_1)
	v_cmp_ge_i64_e32 vcc_lo, v[14:15], v[12:13]
	s_or_b32 s3, vcc_lo, s3
	s_and_not1_b32 exec_lo, exec_lo, s3
	s_cbranch_execz .LBB229_185
.LBB229_105:                            ; =>This Loop Header: Depth=1
                                        ;     Child Loop BB229_107 Depth 2
                                        ;       Child Loop BB229_113 Depth 3
                                        ;       Child Loop BB229_115 Depth 3
                                        ;       Child Loop BB229_121 Depth 3
                                        ;       Child Loop BB229_123 Depth 3
                                        ;     Child Loop BB229_127 Depth 2
                                        ;       Child Loop BB229_133 Depth 3
                                        ;       Child Loop BB229_135 Depth 3
                                        ;       Child Loop BB229_141 Depth 3
                                        ;       Child Loop BB229_143 Depth 3
	;; [unrolled: 5-line block ×4, first 2 shown]
	v_lshlrev_b64 v[0:1], 6, v[14:15]
	v_lshlrev_b64 v[2:3], 2, v[14:15]
	s_mov_b32 s12, 0
	s_delay_alu instid0(VALU_DEP_2) | instskip(NEXT) | instid1(VALU_DEP_3)
	v_add_co_u32 v0, vcc_lo, s8, v0
	v_add_co_ci_u32_e32 v1, vcc_lo, s9, v1, vcc_lo
	s_delay_alu instid0(VALU_DEP_3) | instskip(NEXT) | instid1(VALU_DEP_4)
	v_add_co_u32 v4, vcc_lo, s6, v2
	v_add_co_ci_u32_e32 v5, vcc_lo, s7, v3, vcc_lo
	global_load_b128 v[24:27], v[0:1], off
	v_or_b32_e32 v7, 0, v3
	v_or_b32_e32 v6, s4, v2
	global_load_b32 v31, v[4:5], off
	v_or_b32_e32 v3, 0, v3
	v_or_b32_e32 v2, s5, v2
	v_lshlrev_b64 v[4:5], 4, v[6:7]
	s_delay_alu instid0(VALU_DEP_2) | instskip(NEXT) | instid1(VALU_DEP_2)
	v_lshlrev_b64 v[2:3], 4, v[2:3]
	v_add_co_u32 v4, vcc_lo, s8, v4
	s_delay_alu instid0(VALU_DEP_3) | instskip(NEXT) | instid1(VALU_DEP_3)
	v_add_co_ci_u32_e32 v5, vcc_lo, s9, v5, vcc_lo
	v_add_co_u32 v6, vcc_lo, s8, v2
	s_delay_alu instid0(VALU_DEP_4)
	v_add_co_ci_u32_e32 v7, vcc_lo, s9, v3, vcc_lo
	s_clause 0x2
	global_load_b128 v[0:3], v[0:1], off offset:48
	global_load_b128 v[8:11], v[4:5], off
	global_load_b128 v[4:7], v[6:7], off
	s_waitcnt vmcnt(4)
	v_mul_f64 v[22:23], v[26:27], -v[16:17]
	v_mul_f64 v[26:27], v[18:19], v[26:27]
	s_waitcnt vmcnt(3)
	v_subrev_nc_u32_e32 v31, s27, v31
	s_delay_alu instid0(VALU_DEP_3) | instskip(NEXT) | instid1(VALU_DEP_3)
	v_fma_f64 v[22:23], v[18:19], v[24:25], v[22:23]
	v_fma_f64 v[24:25], v[16:17], v[24:25], v[26:27]
	s_delay_alu instid0(VALU_DEP_3) | instskip(NEXT) | instid1(VALU_DEP_1)
	v_lshl_add_u32 v26, v31, 3, v31
	v_and_b32_e32 v32, 31, v26
	s_delay_alu instid0(VALU_DEP_1)
	v_mov_b32_e32 v33, v32
	s_branch .LBB229_107
.LBB229_106:                            ;   in Loop: Header=BB229_107 Depth=2
	s_or_b32 exec_lo, exec_lo, s13
	s_xor_b32 s13, s14, -1
	s_delay_alu instid0(SALU_CYCLE_1) | instskip(NEXT) | instid1(SALU_CYCLE_1)
	s_and_b32 s13, exec_lo, s13
	s_or_b32 s12, s13, s12
	s_delay_alu instid0(SALU_CYCLE_1)
	s_and_not1_b32 exec_lo, exec_lo, s12
	s_cbranch_execz .LBB229_125
.LBB229_107:                            ;   Parent Loop BB229_105 Depth=1
                                        ; =>  This Loop Header: Depth=2
                                        ;       Child Loop BB229_113 Depth 3
                                        ;       Child Loop BB229_115 Depth 3
	;; [unrolled: 1-line block ×4, first 2 shown]
	s_delay_alu instid0(VALU_DEP_1)
	v_lshl_add_u32 v26, v33, 2, v58
	s_mov_b32 s13, exec_lo
                                        ; implicit-def: $sgpr14
	ds_load_b32 v27, v26
	s_waitcnt lgkmcnt(0)
	v_cmpx_ne_u32_e64 v27, v31
	s_xor_b32 s13, exec_lo, s13
	s_cbranch_execz .LBB229_119
; %bb.108:                              ;   in Loop: Header=BB229_107 Depth=2
	s_mov_b32 s15, exec_lo
                                        ; implicit-def: $sgpr14
	v_cmpx_ne_u32_e64 s2, v27
	s_xor_b32 s15, exec_lo, s15
; %bb.109:                              ;   in Loop: Header=BB229_107 Depth=2
	v_add_nc_u32_e32 v26, 1, v33
	s_mov_b32 s14, -1
	s_delay_alu instid0(VALU_DEP_1)
	v_and_b32_e32 v33, 31, v26
                                        ; implicit-def: $vgpr26
; %bb.110:                              ;   in Loop: Header=BB229_107 Depth=2
	s_and_not1_saveexec_b32 s15, s15
	s_cbranch_execz .LBB229_118
; %bb.111:                              ;   in Loop: Header=BB229_107 Depth=2
	v_mov_b32_e32 v27, s2
	s_mov_b32 s17, -1
	s_mov_b32 s16, exec_lo
	ds_cmpstore_rtn_b32 v26, v26, v31, v27
	s_waitcnt lgkmcnt(0)
	v_cmpx_eq_u32_e64 s2, v26
	s_cbranch_execz .LBB229_117
; %bb.112:                              ;   in Loop: Header=BB229_107 Depth=2
	v_lshlrev_b32_e32 v26, 6, v33
	s_mov_b32 s17, 0
	s_delay_alu instid0(VALU_DEP_1)
	v_add_nc_u32_e32 v34, v61, v26
	ds_load_b64 v[26:27], v34
.LBB229_113:                            ;   Parent Loop BB229_105 Depth=1
                                        ;     Parent Loop BB229_107 Depth=2
                                        ; =>    This Inner Loop Header: Depth=3
	s_waitcnt lgkmcnt(0)
	v_add_f64 v[35:36], v[26:27], v[22:23]
	ds_cmpstore_rtn_b64 v[35:36], v34, v[35:36], v[26:27]
	s_waitcnt lgkmcnt(0)
	v_cmp_eq_u64_e32 vcc_lo, v[35:36], v[26:27]
	v_dual_mov_b32 v26, v35 :: v_dual_mov_b32 v27, v36
	s_or_b32 s17, vcc_lo, s17
	s_delay_alu instid0(SALU_CYCLE_1)
	s_and_not1_b32 exec_lo, exec_lo, s17
	s_cbranch_execnz .LBB229_113
; %bb.114:                              ;   in Loop: Header=BB229_107 Depth=2
	s_or_b32 exec_lo, exec_lo, s17
	ds_load_b64 v[26:27], v34 offset:8
	s_mov_b32 s17, 0
.LBB229_115:                            ;   Parent Loop BB229_105 Depth=1
                                        ;     Parent Loop BB229_107 Depth=2
                                        ; =>    This Inner Loop Header: Depth=3
	s_waitcnt lgkmcnt(0)
	v_add_f64 v[35:36], v[26:27], v[24:25]
	ds_cmpstore_rtn_b64 v[35:36], v34, v[35:36], v[26:27] offset:8
	s_waitcnt lgkmcnt(0)
	v_cmp_eq_u64_e32 vcc_lo, v[35:36], v[26:27]
	v_dual_mov_b32 v26, v35 :: v_dual_mov_b32 v27, v36
	s_or_b32 s17, vcc_lo, s17
	s_delay_alu instid0(SALU_CYCLE_1)
	s_and_not1_b32 exec_lo, exec_lo, s17
	s_cbranch_execnz .LBB229_115
; %bb.116:                              ;   in Loop: Header=BB229_107 Depth=2
	s_or_b32 exec_lo, exec_lo, s17
	s_delay_alu instid0(SALU_CYCLE_1)
	s_xor_b32 s17, exec_lo, -1
.LBB229_117:                            ;   in Loop: Header=BB229_107 Depth=2
	s_or_b32 exec_lo, exec_lo, s16
	s_delay_alu instid0(SALU_CYCLE_1) | instskip(SKIP_1) | instid1(SALU_CYCLE_1)
	s_and_not1_b32 s14, s14, exec_lo
	s_and_b32 s16, s17, exec_lo
	s_or_b32 s14, s14, s16
.LBB229_118:                            ;   in Loop: Header=BB229_107 Depth=2
	s_or_b32 exec_lo, exec_lo, s15
	s_delay_alu instid0(SALU_CYCLE_1)
	s_and_b32 s14, s14, exec_lo
.LBB229_119:                            ;   in Loop: Header=BB229_107 Depth=2
	s_and_not1_saveexec_b32 s13, s13
	s_cbranch_execz .LBB229_106
; %bb.120:                              ;   in Loop: Header=BB229_107 Depth=2
	v_lshlrev_b32_e32 v26, 6, v33
	s_mov_b32 s15, 0
	s_delay_alu instid0(VALU_DEP_1)
	v_add_nc_u32_e32 v34, v61, v26
	ds_load_b64 v[26:27], v34
.LBB229_121:                            ;   Parent Loop BB229_105 Depth=1
                                        ;     Parent Loop BB229_107 Depth=2
                                        ; =>    This Inner Loop Header: Depth=3
	s_waitcnt lgkmcnt(0)
	v_add_f64 v[35:36], v[26:27], v[22:23]
	ds_cmpstore_rtn_b64 v[35:36], v34, v[35:36], v[26:27]
	s_waitcnt lgkmcnt(0)
	v_cmp_eq_u64_e32 vcc_lo, v[35:36], v[26:27]
	v_dual_mov_b32 v26, v35 :: v_dual_mov_b32 v27, v36
	s_or_b32 s15, vcc_lo, s15
	s_delay_alu instid0(SALU_CYCLE_1)
	s_and_not1_b32 exec_lo, exec_lo, s15
	s_cbranch_execnz .LBB229_121
; %bb.122:                              ;   in Loop: Header=BB229_107 Depth=2
	s_or_b32 exec_lo, exec_lo, s15
	ds_load_b64 v[26:27], v34 offset:8
	s_mov_b32 s15, 0
.LBB229_123:                            ;   Parent Loop BB229_105 Depth=1
                                        ;     Parent Loop BB229_107 Depth=2
                                        ; =>    This Inner Loop Header: Depth=3
	s_waitcnt lgkmcnt(0)
	v_add_f64 v[35:36], v[26:27], v[24:25]
	ds_cmpstore_rtn_b64 v[35:36], v34, v[35:36], v[26:27] offset:8
	s_waitcnt lgkmcnt(0)
	v_cmp_eq_u64_e32 vcc_lo, v[35:36], v[26:27]
	v_dual_mov_b32 v26, v35 :: v_dual_mov_b32 v27, v36
	s_or_b32 s15, vcc_lo, s15
	s_delay_alu instid0(SALU_CYCLE_1)
	s_and_not1_b32 exec_lo, exec_lo, s15
	s_cbranch_execnz .LBB229_123
; %bb.124:                              ;   in Loop: Header=BB229_107 Depth=2
	s_or_b32 exec_lo, exec_lo, s15
	s_delay_alu instid0(SALU_CYCLE_1)
	s_and_not1_b32 s14, s14, exec_lo
	s_branch .LBB229_106
.LBB229_125:                            ;   in Loop: Header=BB229_105 Depth=1
	s_or_b32 exec_lo, exec_lo, s12
	s_waitcnt vmcnt(1)
	v_mul_f64 v[22:23], v[10:11], -v[16:17]
	v_mul_f64 v[24:25], v[18:19], v[10:11]
	s_mov_b32 s12, 0
	s_delay_alu instid0(VALU_DEP_2) | instskip(NEXT) | instid1(VALU_DEP_2)
	v_fma_f64 v[10:11], v[18:19], v[8:9], v[22:23]
	v_fma_f64 v[8:9], v[16:17], v[8:9], v[24:25]
	v_mov_b32_e32 v24, v32
	s_branch .LBB229_127
.LBB229_126:                            ;   in Loop: Header=BB229_127 Depth=2
	s_or_b32 exec_lo, exec_lo, s13
	s_xor_b32 s13, s14, -1
	s_delay_alu instid0(SALU_CYCLE_1) | instskip(NEXT) | instid1(SALU_CYCLE_1)
	s_and_b32 s13, exec_lo, s13
	s_or_b32 s12, s13, s12
	s_delay_alu instid0(SALU_CYCLE_1)
	s_and_not1_b32 exec_lo, exec_lo, s12
	s_cbranch_execz .LBB229_145
.LBB229_127:                            ;   Parent Loop BB229_105 Depth=1
                                        ; =>  This Loop Header: Depth=2
                                        ;       Child Loop BB229_133 Depth 3
                                        ;       Child Loop BB229_135 Depth 3
	;; [unrolled: 1-line block ×4, first 2 shown]
	s_delay_alu instid0(VALU_DEP_1)
	v_lshl_add_u32 v22, v24, 2, v58
	s_mov_b32 s13, exec_lo
                                        ; implicit-def: $sgpr14
	ds_load_b32 v23, v22
	s_waitcnt lgkmcnt(0)
	v_cmpx_ne_u32_e64 v23, v31
	s_xor_b32 s13, exec_lo, s13
	s_cbranch_execz .LBB229_139
; %bb.128:                              ;   in Loop: Header=BB229_127 Depth=2
	s_mov_b32 s15, exec_lo
                                        ; implicit-def: $sgpr14
	v_cmpx_ne_u32_e64 s2, v23
	s_xor_b32 s15, exec_lo, s15
; %bb.129:                              ;   in Loop: Header=BB229_127 Depth=2
	v_add_nc_u32_e32 v22, 1, v24
	s_mov_b32 s14, -1
	s_delay_alu instid0(VALU_DEP_1)
	v_and_b32_e32 v24, 31, v22
                                        ; implicit-def: $vgpr22
; %bb.130:                              ;   in Loop: Header=BB229_127 Depth=2
	s_and_not1_saveexec_b32 s15, s15
	s_cbranch_execz .LBB229_138
; %bb.131:                              ;   in Loop: Header=BB229_127 Depth=2
	v_mov_b32_e32 v23, s2
	s_mov_b32 s17, -1
	s_mov_b32 s16, exec_lo
	ds_cmpstore_rtn_b32 v22, v22, v31, v23
	s_waitcnt lgkmcnt(0)
	v_cmpx_eq_u32_e64 s2, v22
	s_cbranch_execz .LBB229_137
; %bb.132:                              ;   in Loop: Header=BB229_127 Depth=2
	v_lshl_add_u32 v25, v24, 6, v28
	s_mov_b32 s17, 0
	ds_load_b64 v[22:23], v25
.LBB229_133:                            ;   Parent Loop BB229_105 Depth=1
                                        ;     Parent Loop BB229_127 Depth=2
                                        ; =>    This Inner Loop Header: Depth=3
	s_waitcnt lgkmcnt(0)
	v_add_f64 v[26:27], v[22:23], v[10:11]
	ds_cmpstore_rtn_b64 v[26:27], v25, v[26:27], v[22:23]
	s_waitcnt lgkmcnt(0)
	v_cmp_eq_u64_e32 vcc_lo, v[26:27], v[22:23]
	v_dual_mov_b32 v22, v26 :: v_dual_mov_b32 v23, v27
	s_or_b32 s17, vcc_lo, s17
	s_delay_alu instid0(SALU_CYCLE_1)
	s_and_not1_b32 exec_lo, exec_lo, s17
	s_cbranch_execnz .LBB229_133
; %bb.134:                              ;   in Loop: Header=BB229_127 Depth=2
	s_or_b32 exec_lo, exec_lo, s17
	ds_load_b64 v[22:23], v25 offset:8
	s_mov_b32 s17, 0
.LBB229_135:                            ;   Parent Loop BB229_105 Depth=1
                                        ;     Parent Loop BB229_127 Depth=2
                                        ; =>    This Inner Loop Header: Depth=3
	s_waitcnt lgkmcnt(0)
	v_add_f64 v[26:27], v[22:23], v[8:9]
	ds_cmpstore_rtn_b64 v[26:27], v25, v[26:27], v[22:23] offset:8
	s_waitcnt lgkmcnt(0)
	v_cmp_eq_u64_e32 vcc_lo, v[26:27], v[22:23]
	v_dual_mov_b32 v22, v26 :: v_dual_mov_b32 v23, v27
	s_or_b32 s17, vcc_lo, s17
	s_delay_alu instid0(SALU_CYCLE_1)
	s_and_not1_b32 exec_lo, exec_lo, s17
	s_cbranch_execnz .LBB229_135
; %bb.136:                              ;   in Loop: Header=BB229_127 Depth=2
	s_or_b32 exec_lo, exec_lo, s17
	s_delay_alu instid0(SALU_CYCLE_1)
	s_xor_b32 s17, exec_lo, -1
.LBB229_137:                            ;   in Loop: Header=BB229_127 Depth=2
	s_or_b32 exec_lo, exec_lo, s16
	s_delay_alu instid0(SALU_CYCLE_1) | instskip(SKIP_1) | instid1(SALU_CYCLE_1)
	s_and_not1_b32 s14, s14, exec_lo
	s_and_b32 s16, s17, exec_lo
	s_or_b32 s14, s14, s16
.LBB229_138:                            ;   in Loop: Header=BB229_127 Depth=2
	s_or_b32 exec_lo, exec_lo, s15
	s_delay_alu instid0(SALU_CYCLE_1)
	s_and_b32 s14, s14, exec_lo
.LBB229_139:                            ;   in Loop: Header=BB229_127 Depth=2
	s_and_not1_saveexec_b32 s13, s13
	s_cbranch_execz .LBB229_126
; %bb.140:                              ;   in Loop: Header=BB229_127 Depth=2
	v_lshl_add_u32 v25, v24, 6, v28
	s_mov_b32 s15, 0
	ds_load_b64 v[22:23], v25
.LBB229_141:                            ;   Parent Loop BB229_105 Depth=1
                                        ;     Parent Loop BB229_127 Depth=2
                                        ; =>    This Inner Loop Header: Depth=3
	s_waitcnt lgkmcnt(0)
	v_add_f64 v[26:27], v[22:23], v[10:11]
	ds_cmpstore_rtn_b64 v[26:27], v25, v[26:27], v[22:23]
	s_waitcnt lgkmcnt(0)
	v_cmp_eq_u64_e32 vcc_lo, v[26:27], v[22:23]
	v_dual_mov_b32 v22, v26 :: v_dual_mov_b32 v23, v27
	s_or_b32 s15, vcc_lo, s15
	s_delay_alu instid0(SALU_CYCLE_1)
	s_and_not1_b32 exec_lo, exec_lo, s15
	s_cbranch_execnz .LBB229_141
; %bb.142:                              ;   in Loop: Header=BB229_127 Depth=2
	s_or_b32 exec_lo, exec_lo, s15
	ds_load_b64 v[22:23], v25 offset:8
	s_mov_b32 s15, 0
.LBB229_143:                            ;   Parent Loop BB229_105 Depth=1
                                        ;     Parent Loop BB229_127 Depth=2
                                        ; =>    This Inner Loop Header: Depth=3
	s_waitcnt lgkmcnt(0)
	v_add_f64 v[26:27], v[22:23], v[8:9]
	ds_cmpstore_rtn_b64 v[26:27], v25, v[26:27], v[22:23] offset:8
	s_waitcnt lgkmcnt(0)
	v_cmp_eq_u64_e32 vcc_lo, v[26:27], v[22:23]
	v_dual_mov_b32 v22, v26 :: v_dual_mov_b32 v23, v27
	s_or_b32 s15, vcc_lo, s15
	s_delay_alu instid0(SALU_CYCLE_1)
	s_and_not1_b32 exec_lo, exec_lo, s15
	s_cbranch_execnz .LBB229_143
; %bb.144:                              ;   in Loop: Header=BB229_127 Depth=2
	s_or_b32 exec_lo, exec_lo, s15
	s_delay_alu instid0(SALU_CYCLE_1)
	s_and_not1_b32 s14, s14, exec_lo
	s_branch .LBB229_126
.LBB229_145:                            ;   in Loop: Header=BB229_105 Depth=1
	s_or_b32 exec_lo, exec_lo, s12
	s_waitcnt vmcnt(0)
	v_mul_f64 v[8:9], v[6:7], -v[16:17]
	v_mul_f64 v[10:11], v[18:19], v[6:7]
	s_mov_b32 s12, 0
	s_delay_alu instid0(VALU_DEP_2) | instskip(NEXT) | instid1(VALU_DEP_2)
	v_fma_f64 v[6:7], v[18:19], v[4:5], v[8:9]
	v_fma_f64 v[4:5], v[16:17], v[4:5], v[10:11]
	v_mov_b32_e32 v10, v32
	s_branch .LBB229_147
.LBB229_146:                            ;   in Loop: Header=BB229_147 Depth=2
	s_or_b32 exec_lo, exec_lo, s13
	s_xor_b32 s13, s14, -1
	s_delay_alu instid0(SALU_CYCLE_1) | instskip(NEXT) | instid1(SALU_CYCLE_1)
	s_and_b32 s13, exec_lo, s13
	s_or_b32 s12, s13, s12
	s_delay_alu instid0(SALU_CYCLE_1)
	s_and_not1_b32 exec_lo, exec_lo, s12
	s_cbranch_execz .LBB229_165
.LBB229_147:                            ;   Parent Loop BB229_105 Depth=1
                                        ; =>  This Loop Header: Depth=2
                                        ;       Child Loop BB229_153 Depth 3
                                        ;       Child Loop BB229_155 Depth 3
	;; [unrolled: 1-line block ×4, first 2 shown]
	s_delay_alu instid0(VALU_DEP_1)
	v_lshl_add_u32 v8, v10, 2, v58
	s_mov_b32 s13, exec_lo
                                        ; implicit-def: $sgpr14
	ds_load_b32 v9, v8
	s_waitcnt lgkmcnt(0)
	v_cmpx_ne_u32_e64 v9, v31
	s_xor_b32 s13, exec_lo, s13
	s_cbranch_execz .LBB229_159
; %bb.148:                              ;   in Loop: Header=BB229_147 Depth=2
	s_mov_b32 s15, exec_lo
                                        ; implicit-def: $sgpr14
	v_cmpx_ne_u32_e64 s2, v9
	s_xor_b32 s15, exec_lo, s15
; %bb.149:                              ;   in Loop: Header=BB229_147 Depth=2
	v_add_nc_u32_e32 v8, 1, v10
	s_mov_b32 s14, -1
	s_delay_alu instid0(VALU_DEP_1)
	v_and_b32_e32 v10, 31, v8
                                        ; implicit-def: $vgpr8
; %bb.150:                              ;   in Loop: Header=BB229_147 Depth=2
	s_and_not1_saveexec_b32 s15, s15
	s_cbranch_execz .LBB229_158
; %bb.151:                              ;   in Loop: Header=BB229_147 Depth=2
	v_mov_b32_e32 v9, s2
	s_mov_b32 s17, -1
	s_mov_b32 s16, exec_lo
	ds_cmpstore_rtn_b32 v8, v8, v31, v9
	s_waitcnt lgkmcnt(0)
	v_cmpx_eq_u32_e64 s2, v8
	s_cbranch_execz .LBB229_157
; %bb.152:                              ;   in Loop: Header=BB229_147 Depth=2
	v_lshl_add_u32 v11, v10, 6, v29
	s_mov_b32 s17, 0
	ds_load_b64 v[8:9], v11
.LBB229_153:                            ;   Parent Loop BB229_105 Depth=1
                                        ;     Parent Loop BB229_147 Depth=2
                                        ; =>    This Inner Loop Header: Depth=3
	s_waitcnt lgkmcnt(0)
	v_add_f64 v[22:23], v[8:9], v[6:7]
	ds_cmpstore_rtn_b64 v[22:23], v11, v[22:23], v[8:9]
	s_waitcnt lgkmcnt(0)
	v_cmp_eq_u64_e32 vcc_lo, v[22:23], v[8:9]
	v_dual_mov_b32 v8, v22 :: v_dual_mov_b32 v9, v23
	s_or_b32 s17, vcc_lo, s17
	s_delay_alu instid0(SALU_CYCLE_1)
	s_and_not1_b32 exec_lo, exec_lo, s17
	s_cbranch_execnz .LBB229_153
; %bb.154:                              ;   in Loop: Header=BB229_147 Depth=2
	s_or_b32 exec_lo, exec_lo, s17
	ds_load_b64 v[8:9], v11 offset:8
	s_mov_b32 s17, 0
.LBB229_155:                            ;   Parent Loop BB229_105 Depth=1
                                        ;     Parent Loop BB229_147 Depth=2
                                        ; =>    This Inner Loop Header: Depth=3
	s_waitcnt lgkmcnt(0)
	v_add_f64 v[22:23], v[8:9], v[4:5]
	ds_cmpstore_rtn_b64 v[22:23], v11, v[22:23], v[8:9] offset:8
	s_waitcnt lgkmcnt(0)
	v_cmp_eq_u64_e32 vcc_lo, v[22:23], v[8:9]
	v_dual_mov_b32 v8, v22 :: v_dual_mov_b32 v9, v23
	s_or_b32 s17, vcc_lo, s17
	s_delay_alu instid0(SALU_CYCLE_1)
	s_and_not1_b32 exec_lo, exec_lo, s17
	s_cbranch_execnz .LBB229_155
; %bb.156:                              ;   in Loop: Header=BB229_147 Depth=2
	s_or_b32 exec_lo, exec_lo, s17
	s_delay_alu instid0(SALU_CYCLE_1)
	s_xor_b32 s17, exec_lo, -1
.LBB229_157:                            ;   in Loop: Header=BB229_147 Depth=2
	s_or_b32 exec_lo, exec_lo, s16
	s_delay_alu instid0(SALU_CYCLE_1) | instskip(SKIP_1) | instid1(SALU_CYCLE_1)
	s_and_not1_b32 s14, s14, exec_lo
	s_and_b32 s16, s17, exec_lo
	s_or_b32 s14, s14, s16
.LBB229_158:                            ;   in Loop: Header=BB229_147 Depth=2
	s_or_b32 exec_lo, exec_lo, s15
	s_delay_alu instid0(SALU_CYCLE_1)
	s_and_b32 s14, s14, exec_lo
.LBB229_159:                            ;   in Loop: Header=BB229_147 Depth=2
	s_and_not1_saveexec_b32 s13, s13
	s_cbranch_execz .LBB229_146
; %bb.160:                              ;   in Loop: Header=BB229_147 Depth=2
	v_lshl_add_u32 v11, v10, 6, v29
	s_mov_b32 s15, 0
	ds_load_b64 v[8:9], v11
.LBB229_161:                            ;   Parent Loop BB229_105 Depth=1
                                        ;     Parent Loop BB229_147 Depth=2
                                        ; =>    This Inner Loop Header: Depth=3
	s_waitcnt lgkmcnt(0)
	v_add_f64 v[22:23], v[8:9], v[6:7]
	ds_cmpstore_rtn_b64 v[22:23], v11, v[22:23], v[8:9]
	s_waitcnt lgkmcnt(0)
	v_cmp_eq_u64_e32 vcc_lo, v[22:23], v[8:9]
	v_dual_mov_b32 v8, v22 :: v_dual_mov_b32 v9, v23
	s_or_b32 s15, vcc_lo, s15
	s_delay_alu instid0(SALU_CYCLE_1)
	s_and_not1_b32 exec_lo, exec_lo, s15
	s_cbranch_execnz .LBB229_161
; %bb.162:                              ;   in Loop: Header=BB229_147 Depth=2
	s_or_b32 exec_lo, exec_lo, s15
	ds_load_b64 v[8:9], v11 offset:8
	s_mov_b32 s15, 0
.LBB229_163:                            ;   Parent Loop BB229_105 Depth=1
                                        ;     Parent Loop BB229_147 Depth=2
                                        ; =>    This Inner Loop Header: Depth=3
	s_waitcnt lgkmcnt(0)
	v_add_f64 v[22:23], v[8:9], v[4:5]
	ds_cmpstore_rtn_b64 v[22:23], v11, v[22:23], v[8:9] offset:8
	s_waitcnt lgkmcnt(0)
	v_cmp_eq_u64_e32 vcc_lo, v[22:23], v[8:9]
	v_dual_mov_b32 v8, v22 :: v_dual_mov_b32 v9, v23
	s_or_b32 s15, vcc_lo, s15
	s_delay_alu instid0(SALU_CYCLE_1)
	s_and_not1_b32 exec_lo, exec_lo, s15
	s_cbranch_execnz .LBB229_163
; %bb.164:                              ;   in Loop: Header=BB229_147 Depth=2
	s_or_b32 exec_lo, exec_lo, s15
	s_delay_alu instid0(SALU_CYCLE_1)
	s_and_not1_b32 s14, s14, exec_lo
	s_branch .LBB229_146
.LBB229_165:                            ;   in Loop: Header=BB229_105 Depth=1
	s_or_b32 exec_lo, exec_lo, s12
	v_mul_f64 v[4:5], v[2:3], -v[16:17]
	v_mul_f64 v[6:7], v[18:19], v[2:3]
	s_mov_b32 s12, 0
	s_delay_alu instid0(VALU_DEP_2) | instskip(NEXT) | instid1(VALU_DEP_2)
	v_fma_f64 v[2:3], v[18:19], v[0:1], v[4:5]
	v_fma_f64 v[0:1], v[16:17], v[0:1], v[6:7]
	s_branch .LBB229_167
.LBB229_166:                            ;   in Loop: Header=BB229_167 Depth=2
	s_or_b32 exec_lo, exec_lo, s13
	s_xor_b32 s13, s14, -1
	s_delay_alu instid0(SALU_CYCLE_1) | instskip(NEXT) | instid1(SALU_CYCLE_1)
	s_and_b32 s13, exec_lo, s13
	s_or_b32 s12, s13, s12
	s_delay_alu instid0(SALU_CYCLE_1)
	s_and_not1_b32 exec_lo, exec_lo, s12
	s_cbranch_execz .LBB229_104
.LBB229_167:                            ;   Parent Loop BB229_105 Depth=1
                                        ; =>  This Loop Header: Depth=2
                                        ;       Child Loop BB229_173 Depth 3
                                        ;       Child Loop BB229_175 Depth 3
	;; [unrolled: 1-line block ×4, first 2 shown]
	v_lshl_add_u32 v4, v32, 2, v58
	s_mov_b32 s13, exec_lo
                                        ; implicit-def: $sgpr14
	ds_load_b32 v5, v4
	s_waitcnt lgkmcnt(0)
	v_cmpx_ne_u32_e64 v5, v31
	s_xor_b32 s13, exec_lo, s13
	s_cbranch_execz .LBB229_179
; %bb.168:                              ;   in Loop: Header=BB229_167 Depth=2
	s_mov_b32 s15, exec_lo
                                        ; implicit-def: $sgpr14
	v_cmpx_ne_u32_e64 s2, v5
	s_xor_b32 s15, exec_lo, s15
; %bb.169:                              ;   in Loop: Header=BB229_167 Depth=2
	v_add_nc_u32_e32 v4, 1, v32
	s_mov_b32 s14, -1
	s_delay_alu instid0(VALU_DEP_1)
	v_and_b32_e32 v32, 31, v4
                                        ; implicit-def: $vgpr4
; %bb.170:                              ;   in Loop: Header=BB229_167 Depth=2
	s_and_not1_saveexec_b32 s15, s15
	s_cbranch_execz .LBB229_178
; %bb.171:                              ;   in Loop: Header=BB229_167 Depth=2
	v_mov_b32_e32 v5, s2
	s_mov_b32 s17, -1
	s_mov_b32 s16, exec_lo
	ds_cmpstore_rtn_b32 v4, v4, v31, v5
	s_waitcnt lgkmcnt(0)
	v_cmpx_eq_u32_e64 s2, v4
	s_cbranch_execz .LBB229_177
; %bb.172:                              ;   in Loop: Header=BB229_167 Depth=2
	v_lshl_add_u32 v6, v32, 6, v30
	s_mov_b32 s17, 0
	ds_load_b64 v[4:5], v6
.LBB229_173:                            ;   Parent Loop BB229_105 Depth=1
                                        ;     Parent Loop BB229_167 Depth=2
                                        ; =>    This Inner Loop Header: Depth=3
	s_waitcnt lgkmcnt(0)
	v_add_f64 v[7:8], v[4:5], v[2:3]
	ds_cmpstore_rtn_b64 v[7:8], v6, v[7:8], v[4:5]
	s_waitcnt lgkmcnt(0)
	v_cmp_eq_u64_e32 vcc_lo, v[7:8], v[4:5]
	v_dual_mov_b32 v4, v7 :: v_dual_mov_b32 v5, v8
	s_or_b32 s17, vcc_lo, s17
	s_delay_alu instid0(SALU_CYCLE_1)
	s_and_not1_b32 exec_lo, exec_lo, s17
	s_cbranch_execnz .LBB229_173
; %bb.174:                              ;   in Loop: Header=BB229_167 Depth=2
	s_or_b32 exec_lo, exec_lo, s17
	ds_load_b64 v[4:5], v6 offset:8
	s_mov_b32 s17, 0
.LBB229_175:                            ;   Parent Loop BB229_105 Depth=1
                                        ;     Parent Loop BB229_167 Depth=2
                                        ; =>    This Inner Loop Header: Depth=3
	s_waitcnt lgkmcnt(0)
	v_add_f64 v[7:8], v[4:5], v[0:1]
	ds_cmpstore_rtn_b64 v[7:8], v6, v[7:8], v[4:5] offset:8
	s_waitcnt lgkmcnt(0)
	v_cmp_eq_u64_e32 vcc_lo, v[7:8], v[4:5]
	v_dual_mov_b32 v4, v7 :: v_dual_mov_b32 v5, v8
	s_or_b32 s17, vcc_lo, s17
	s_delay_alu instid0(SALU_CYCLE_1)
	s_and_not1_b32 exec_lo, exec_lo, s17
	s_cbranch_execnz .LBB229_175
; %bb.176:                              ;   in Loop: Header=BB229_167 Depth=2
	s_or_b32 exec_lo, exec_lo, s17
	s_delay_alu instid0(SALU_CYCLE_1)
	s_xor_b32 s17, exec_lo, -1
.LBB229_177:                            ;   in Loop: Header=BB229_167 Depth=2
	s_or_b32 exec_lo, exec_lo, s16
	s_delay_alu instid0(SALU_CYCLE_1) | instskip(SKIP_1) | instid1(SALU_CYCLE_1)
	s_and_not1_b32 s14, s14, exec_lo
	s_and_b32 s16, s17, exec_lo
	s_or_b32 s14, s14, s16
.LBB229_178:                            ;   in Loop: Header=BB229_167 Depth=2
	s_or_b32 exec_lo, exec_lo, s15
	s_delay_alu instid0(SALU_CYCLE_1)
	s_and_b32 s14, s14, exec_lo
.LBB229_179:                            ;   in Loop: Header=BB229_167 Depth=2
	s_and_not1_saveexec_b32 s13, s13
	s_cbranch_execz .LBB229_166
; %bb.180:                              ;   in Loop: Header=BB229_167 Depth=2
	v_lshl_add_u32 v6, v32, 6, v30
	s_mov_b32 s15, 0
	ds_load_b64 v[4:5], v6
.LBB229_181:                            ;   Parent Loop BB229_105 Depth=1
                                        ;     Parent Loop BB229_167 Depth=2
                                        ; =>    This Inner Loop Header: Depth=3
	s_waitcnt lgkmcnt(0)
	v_add_f64 v[7:8], v[4:5], v[2:3]
	ds_cmpstore_rtn_b64 v[7:8], v6, v[7:8], v[4:5]
	s_waitcnt lgkmcnt(0)
	v_cmp_eq_u64_e32 vcc_lo, v[7:8], v[4:5]
	v_dual_mov_b32 v4, v7 :: v_dual_mov_b32 v5, v8
	s_or_b32 s15, vcc_lo, s15
	s_delay_alu instid0(SALU_CYCLE_1)
	s_and_not1_b32 exec_lo, exec_lo, s15
	s_cbranch_execnz .LBB229_181
; %bb.182:                              ;   in Loop: Header=BB229_167 Depth=2
	s_or_b32 exec_lo, exec_lo, s15
	ds_load_b64 v[4:5], v6 offset:8
	s_mov_b32 s15, 0
.LBB229_183:                            ;   Parent Loop BB229_105 Depth=1
                                        ;     Parent Loop BB229_167 Depth=2
                                        ; =>    This Inner Loop Header: Depth=3
	s_waitcnt lgkmcnt(0)
	v_add_f64 v[7:8], v[4:5], v[0:1]
	ds_cmpstore_rtn_b64 v[7:8], v6, v[7:8], v[4:5] offset:8
	s_waitcnt lgkmcnt(0)
	v_cmp_eq_u64_e32 vcc_lo, v[7:8], v[4:5]
	v_dual_mov_b32 v4, v7 :: v_dual_mov_b32 v5, v8
	s_or_b32 s15, vcc_lo, s15
	s_delay_alu instid0(SALU_CYCLE_1)
	s_and_not1_b32 exec_lo, exec_lo, s15
	s_cbranch_execnz .LBB229_183
; %bb.184:                              ;   in Loop: Header=BB229_167 Depth=2
	s_or_b32 exec_lo, exec_lo, s15
	s_delay_alu instid0(SALU_CYCLE_1)
	s_and_not1_b32 s14, s14, exec_lo
	s_branch .LBB229_166
.LBB229_185:
	s_or_b32 exec_lo, exec_lo, s1
.LBB229_186:
	v_add_co_u32 v0, vcc_lo, s10, v20
	v_add_co_ci_u32_e32 v1, vcc_lo, s11, v21, vcc_lo
	buffer_gl0_inv
	v_lshl_add_u32 v2, v59, 6, v60
	s_cmp_eq_u32 s0, 0
	global_load_b64 v[0:1], v[0:1], off
	s_mov_b32 s0, 0
	s_cselect_b32 s1, 16, 32
	s_cselect_b32 s3, 32, 16
	s_waitcnt vmcnt(0)
	v_sub_co_u32 v0, vcc_lo, v0, s26
	v_subrev_co_ci_u32_e32 v1, vcc_lo, 0, v1, vcc_lo
	s_branch .LBB229_188
.LBB229_187:                            ;   in Loop: Header=BB229_188 Depth=1
	s_or_b32 exec_lo, exec_lo, s4
	v_add_co_u32 v57, s4, v57, 16
	s_delay_alu instid0(VALU_DEP_1) | instskip(SKIP_3) | instid1(SALU_CYCLE_1)
	s_xor_b32 s4, s4, -1
	v_add_nc_u32_e32 v2, 0x400, v2
	v_add_nc_u32_e32 v56, 64, v56
	s_and_b32 s4, exec_lo, s4
	s_or_b32 s0, s4, s0
	s_delay_alu instid0(SALU_CYCLE_1)
	s_and_not1_b32 exec_lo, exec_lo, s0
	s_cbranch_execz .LBB229_190
.LBB229_188:                            ; =>This Inner Loop Header: Depth=1
	ds_load_b32 v3, v56
	s_mov_b32 s4, exec_lo
	s_waitcnt lgkmcnt(0)
	v_cmpx_gt_i32_e64 s2, v3
	s_cbranch_execz .LBB229_187
; %bb.189:                              ;   in Loop: Header=BB229_188 Depth=1
	ds_load_b128 v[4:7], v58
	ds_load_b128 v[8:11], v58 offset:16
	ds_load_b128 v[12:15], v58 offset:32
	;; [unrolled: 1-line block ×4, first 2 shown]
	s_waitcnt lgkmcnt(4)
	v_cmp_gt_i32_e32 vcc_lo, v3, v4
	v_cndmask_b32_e64 v4, 0, 1, vcc_lo
	v_cmp_gt_i32_e32 vcc_lo, v3, v5
	v_cndmask_b32_e64 v5, 0, 1, vcc_lo
	s_delay_alu instid0(VALU_DEP_3) | instskip(SKIP_3) | instid1(VALU_DEP_4)
	v_add_co_u32 v4, vcc_lo, v0, v4
	v_add_co_ci_u32_e32 v24, vcc_lo, 0, v1, vcc_lo
	v_cmp_gt_i32_e32 vcc_lo, v3, v6
	v_cndmask_b32_e64 v6, 0, 1, vcc_lo
	v_add_co_u32 v4, vcc_lo, v4, v5
	s_delay_alu instid0(VALU_DEP_4) | instskip(SKIP_2) | instid1(VALU_DEP_4)
	v_add_co_ci_u32_e32 v5, vcc_lo, 0, v24, vcc_lo
	v_cmp_gt_i32_e32 vcc_lo, v3, v7
	v_cndmask_b32_e64 v7, 0, 1, vcc_lo
	v_add_co_u32 v4, vcc_lo, v4, v6
	s_delay_alu instid0(VALU_DEP_4)
	v_add_co_ci_u32_e32 v5, vcc_lo, 0, v5, vcc_lo
	s_waitcnt lgkmcnt(3)
	v_cmp_gt_i32_e32 vcc_lo, v3, v8
	v_cndmask_b32_e64 v6, 0, 1, vcc_lo
	v_add_co_u32 v4, vcc_lo, v4, v7
	v_add_co_ci_u32_e32 v5, vcc_lo, 0, v5, vcc_lo
	v_cmp_gt_i32_e32 vcc_lo, v3, v9
	v_cndmask_b32_e64 v7, 0, 1, vcc_lo
	s_delay_alu instid0(VALU_DEP_4) | instskip(NEXT) | instid1(VALU_DEP_4)
	v_add_co_u32 v4, vcc_lo, v4, v6
	v_add_co_ci_u32_e32 v5, vcc_lo, 0, v5, vcc_lo
	v_cmp_gt_i32_e32 vcc_lo, v3, v10
	v_cndmask_b32_e64 v6, 0, 1, vcc_lo
	s_delay_alu instid0(VALU_DEP_4) | instskip(NEXT) | instid1(VALU_DEP_4)
	;; [unrolled: 5-line block ×3, first 2 shown]
	v_add_co_u32 v4, vcc_lo, v4, v6
	v_add_co_ci_u32_e32 v5, vcc_lo, 0, v5, vcc_lo
	s_waitcnt lgkmcnt(2)
	v_cmp_gt_i32_e32 vcc_lo, v3, v12
	v_cndmask_b32_e64 v6, 0, 1, vcc_lo
	v_add_co_u32 v4, vcc_lo, v4, v7
	v_add_co_ci_u32_e32 v5, vcc_lo, 0, v5, vcc_lo
	v_cmp_gt_i32_e32 vcc_lo, v3, v13
	v_cndmask_b32_e64 v7, 0, 1, vcc_lo
	s_delay_alu instid0(VALU_DEP_4) | instskip(NEXT) | instid1(VALU_DEP_4)
	v_add_co_u32 v4, vcc_lo, v4, v6
	v_add_co_ci_u32_e32 v5, vcc_lo, 0, v5, vcc_lo
	v_cmp_gt_i32_e32 vcc_lo, v3, v14
	v_cndmask_b32_e64 v6, 0, 1, vcc_lo
	s_delay_alu instid0(VALU_DEP_4) | instskip(NEXT) | instid1(VALU_DEP_4)
	;; [unrolled: 5-line block ×3, first 2 shown]
	v_add_co_u32 v4, vcc_lo, v4, v6
	v_add_co_ci_u32_e32 v5, vcc_lo, 0, v5, vcc_lo
	s_waitcnt lgkmcnt(1)
	v_cmp_gt_i32_e32 vcc_lo, v3, v16
	v_cndmask_b32_e64 v6, 0, 1, vcc_lo
	v_add_co_u32 v4, vcc_lo, v4, v7
	v_add_co_ci_u32_e32 v5, vcc_lo, 0, v5, vcc_lo
	v_cmp_gt_i32_e32 vcc_lo, v3, v17
	v_cndmask_b32_e64 v7, 0, 1, vcc_lo
	s_delay_alu instid0(VALU_DEP_4) | instskip(NEXT) | instid1(VALU_DEP_4)
	v_add_co_u32 v4, vcc_lo, v4, v6
	v_add_co_ci_u32_e32 v5, vcc_lo, 0, v5, vcc_lo
	v_cmp_gt_i32_e32 vcc_lo, v3, v18
	v_cndmask_b32_e64 v6, 0, 1, vcc_lo
	s_delay_alu instid0(VALU_DEP_4) | instskip(NEXT) | instid1(VALU_DEP_4)
	v_add_co_u32 v4, vcc_lo, v4, v7
	v_add_co_ci_u32_e32 v5, vcc_lo, 0, v5, vcc_lo
	s_delay_alu instid0(VALU_DEP_2) | instskip(NEXT) | instid1(VALU_DEP_2)
	v_add_co_u32 v8, vcc_lo, v4, v6
	v_add_co_ci_u32_e32 v9, vcc_lo, 0, v5, vcc_lo
	ds_load_b128 v[4:7], v58 offset:80
	v_cmp_gt_i32_e32 vcc_lo, v3, v19
	v_cndmask_b32_e64 v10, 0, 1, vcc_lo
	s_waitcnt lgkmcnt(1)
	v_cmp_gt_i32_e32 vcc_lo, v3, v20
	v_cndmask_b32_e64 v11, 0, 1, vcc_lo
	s_delay_alu instid0(VALU_DEP_3) | instskip(SKIP_3) | instid1(VALU_DEP_4)
	v_add_co_u32 v8, vcc_lo, v8, v10
	v_add_co_ci_u32_e32 v9, vcc_lo, 0, v9, vcc_lo
	v_cmp_gt_i32_e32 vcc_lo, v3, v21
	v_cndmask_b32_e64 v10, 0, 1, vcc_lo
	v_add_co_u32 v8, vcc_lo, v8, v11
	s_delay_alu instid0(VALU_DEP_4) | instskip(SKIP_2) | instid1(VALU_DEP_4)
	v_add_co_ci_u32_e32 v9, vcc_lo, 0, v9, vcc_lo
	v_cmp_gt_i32_e32 vcc_lo, v3, v22
	v_cndmask_b32_e64 v11, 0, 1, vcc_lo
	v_add_co_u32 v8, vcc_lo, v8, v10
	s_delay_alu instid0(VALU_DEP_4) | instskip(SKIP_2) | instid1(VALU_DEP_4)
	v_add_co_ci_u32_e32 v9, vcc_lo, 0, v9, vcc_lo
	v_cmp_gt_i32_e32 vcc_lo, v3, v23
	v_cndmask_b32_e64 v10, 0, 1, vcc_lo
	v_add_co_u32 v8, vcc_lo, v8, v11
	s_delay_alu instid0(VALU_DEP_4) | instskip(NEXT) | instid1(VALU_DEP_2)
	v_add_co_ci_u32_e32 v9, vcc_lo, 0, v9, vcc_lo
	v_add_co_u32 v12, vcc_lo, v8, v10
	s_delay_alu instid0(VALU_DEP_2)
	v_add_co_ci_u32_e32 v13, vcc_lo, 0, v9, vcc_lo
	s_waitcnt lgkmcnt(0)
	v_cmp_gt_i32_e32 vcc_lo, v3, v4
	ds_load_b128 v[8:11], v58 offset:96
	v_cndmask_b32_e64 v4, 0, 1, vcc_lo
	v_cmp_gt_i32_e32 vcc_lo, v3, v5
	v_cndmask_b32_e64 v5, 0, 1, vcc_lo
	s_delay_alu instid0(VALU_DEP_3) | instskip(SKIP_3) | instid1(VALU_DEP_4)
	v_add_co_u32 v4, vcc_lo, v12, v4
	v_add_co_ci_u32_e32 v12, vcc_lo, 0, v13, vcc_lo
	v_cmp_gt_i32_e32 vcc_lo, v3, v6
	v_cndmask_b32_e64 v6, 0, 1, vcc_lo
	v_add_co_u32 v4, vcc_lo, v4, v5
	s_delay_alu instid0(VALU_DEP_4) | instskip(NEXT) | instid1(VALU_DEP_2)
	v_add_co_ci_u32_e32 v5, vcc_lo, 0, v12, vcc_lo
	v_add_co_u32 v12, vcc_lo, v4, v6
	s_delay_alu instid0(VALU_DEP_2)
	v_add_co_ci_u32_e32 v13, vcc_lo, 0, v5, vcc_lo
	v_cmp_gt_i32_e32 vcc_lo, v3, v7
	ds_load_b128 v[4:7], v58 offset:112
	v_cndmask_b32_e64 v14, 0, 1, vcc_lo
	s_waitcnt lgkmcnt(1)
	v_cmp_gt_i32_e32 vcc_lo, v3, v8
	v_cndmask_b32_e64 v8, 0, 1, vcc_lo
	s_delay_alu instid0(VALU_DEP_3) | instskip(SKIP_3) | instid1(VALU_DEP_4)
	v_add_co_u32 v12, vcc_lo, v12, v14
	v_add_co_ci_u32_e32 v13, vcc_lo, 0, v13, vcc_lo
	v_cmp_gt_i32_e32 vcc_lo, v3, v9
	v_cndmask_b32_e64 v9, 0, 1, vcc_lo
	v_add_co_u32 v8, vcc_lo, v12, v8
	s_delay_alu instid0(VALU_DEP_4) | instskip(SKIP_2) | instid1(VALU_DEP_4)
	v_add_co_ci_u32_e32 v12, vcc_lo, 0, v13, vcc_lo
	v_cmp_gt_i32_e32 vcc_lo, v3, v10
	v_cndmask_b32_e64 v10, 0, 1, vcc_lo
	v_add_co_u32 v8, vcc_lo, v8, v9
	s_delay_alu instid0(VALU_DEP_4)
	v_add_co_ci_u32_e32 v9, vcc_lo, 0, v12, vcc_lo
	v_cmp_gt_i32_e32 vcc_lo, v3, v11
	v_add_nc_u32_e32 v12, s3, v2
	v_cndmask_b32_e64 v11, 0, 1, vcc_lo
	v_add_co_u32 v8, vcc_lo, v8, v10
	v_add_co_ci_u32_e32 v9, vcc_lo, 0, v9, vcc_lo
	s_waitcnt lgkmcnt(0)
	v_cmp_gt_i32_e32 vcc_lo, v3, v4
	v_cndmask_b32_e64 v4, 0, 1, vcc_lo
	v_add_co_u32 v8, vcc_lo, v8, v11
	v_add_co_ci_u32_e32 v9, vcc_lo, 0, v9, vcc_lo
	v_cmp_gt_i32_e32 vcc_lo, v3, v5
	v_cndmask_b32_e64 v5, 0, 1, vcc_lo
	s_delay_alu instid0(VALU_DEP_4) | instskip(NEXT) | instid1(VALU_DEP_4)
	v_add_co_u32 v4, vcc_lo, v8, v4
	v_add_co_ci_u32_e32 v8, vcc_lo, 0, v9, vcc_lo
	v_cmp_gt_i32_e32 vcc_lo, v3, v6
	v_cndmask_b32_e64 v6, 0, 1, vcc_lo
	s_delay_alu instid0(VALU_DEP_4) | instskip(NEXT) | instid1(VALU_DEP_4)
	v_add_co_u32 v4, vcc_lo, v4, v5
	v_add_co_ci_u32_e32 v5, vcc_lo, 0, v8, vcc_lo
	v_cmp_gt_i32_e32 vcc_lo, v3, v7
	v_add_nc_u32_e32 v8, s1, v2
	v_add_nc_u32_e32 v3, s26, v3
	v_cndmask_b32_e64 v7, 0, 1, vcc_lo
	v_add_co_u32 v4, vcc_lo, v4, v6
	v_add_co_ci_u32_e32 v5, vcc_lo, 0, v5, vcc_lo
	s_delay_alu instid0(VALU_DEP_2) | instskip(NEXT) | instid1(VALU_DEP_2)
	v_add_co_u32 v20, vcc_lo, v4, v7
	v_add_co_ci_u32_e32 v21, vcc_lo, 0, v5, vcc_lo
	ds_load_2addr_b64 v[4:7], v2 offset1:1
	ds_load_2addr_b64 v[8:11], v8 offset1:1
	;; [unrolled: 1-line block ×3, first 2 shown]
	ds_load_2addr_b64 v[16:19], v2 offset0:6 offset1:7
	v_lshlrev_b64 v[22:23], 2, v[20:21]
	v_lshlrev_b64 v[20:21], 6, v[20:21]
	s_delay_alu instid0(VALU_DEP_2) | instskip(NEXT) | instid1(VALU_DEP_3)
	v_add_co_u32 v22, vcc_lo, s28, v22
	v_add_co_ci_u32_e32 v23, vcc_lo, s29, v23, vcc_lo
	s_delay_alu instid0(VALU_DEP_3) | instskip(NEXT) | instid1(VALU_DEP_4)
	v_add_co_u32 v20, vcc_lo, s30, v20
	v_add_co_ci_u32_e32 v21, vcc_lo, s31, v21, vcc_lo
	global_store_b32 v[22:23], v3, off
	s_waitcnt lgkmcnt(3)
	global_store_b128 v[20:21], v[4:7], off
	s_waitcnt lgkmcnt(2)
	global_store_b128 v[20:21], v[8:11], off offset:16
	s_waitcnt lgkmcnt(1)
	global_store_b128 v[20:21], v[12:15], off offset:32
	;; [unrolled: 2-line block ×3, first 2 shown]
	s_branch .LBB229_187
.LBB229_190:
	s_nop 0
	s_sendmsg sendmsg(MSG_DEALLOC_VGPRS)
	s_endpgm
	.section	.rodata,"a",@progbits
	.p2align	6, 0x0
	.amdhsa_kernel _ZN9rocsparseL27bsrgemm_fill_wf_per_row_2x2ILj256ELj16ELj32ELj137Eli21rocsparse_complex_numIdEEEv20rocsparse_direction_T4_S4_PKS4_S6_NS_24const_host_device_scalarIT5_EEPKT3_S6_PKS8_SC_S6_SE_S9_SC_S6_SE_SC_PS4_PS8_21rocsparse_index_base_SH_SH_SH_bbb
		.amdhsa_group_segment_fixed_size 38912
		.amdhsa_private_segment_fixed_size 0
		.amdhsa_kernarg_size 180
		.amdhsa_user_sgpr_count 15
		.amdhsa_user_sgpr_dispatch_ptr 1
		.amdhsa_user_sgpr_queue_ptr 0
		.amdhsa_user_sgpr_kernarg_segment_ptr 1
		.amdhsa_user_sgpr_dispatch_id 0
		.amdhsa_user_sgpr_private_segment_size 0
		.amdhsa_wavefront_size32 1
		.amdhsa_uses_dynamic_stack 0
		.amdhsa_enable_private_segment 0
		.amdhsa_system_sgpr_workgroup_id_x 1
		.amdhsa_system_sgpr_workgroup_id_y 0
		.amdhsa_system_sgpr_workgroup_id_z 0
		.amdhsa_system_sgpr_workgroup_info 0
		.amdhsa_system_vgpr_workitem_id 2
		.amdhsa_next_free_vgpr 71
		.amdhsa_next_free_sgpr 48
		.amdhsa_reserve_vcc 1
		.amdhsa_float_round_mode_32 0
		.amdhsa_float_round_mode_16_64 0
		.amdhsa_float_denorm_mode_32 3
		.amdhsa_float_denorm_mode_16_64 3
		.amdhsa_dx10_clamp 1
		.amdhsa_ieee_mode 1
		.amdhsa_fp16_overflow 0
		.amdhsa_workgroup_processor_mode 1
		.amdhsa_memory_ordered 1
		.amdhsa_forward_progress 0
		.amdhsa_shared_vgpr_count 0
		.amdhsa_exception_fp_ieee_invalid_op 0
		.amdhsa_exception_fp_denorm_src 0
		.amdhsa_exception_fp_ieee_div_zero 0
		.amdhsa_exception_fp_ieee_overflow 0
		.amdhsa_exception_fp_ieee_underflow 0
		.amdhsa_exception_fp_ieee_inexact 0
		.amdhsa_exception_int_div_zero 0
	.end_amdhsa_kernel
	.section	.text._ZN9rocsparseL27bsrgemm_fill_wf_per_row_2x2ILj256ELj16ELj32ELj137Eli21rocsparse_complex_numIdEEEv20rocsparse_direction_T4_S4_PKS4_S6_NS_24const_host_device_scalarIT5_EEPKT3_S6_PKS8_SC_S6_SE_S9_SC_S6_SE_SC_PS4_PS8_21rocsparse_index_base_SH_SH_SH_bbb,"axG",@progbits,_ZN9rocsparseL27bsrgemm_fill_wf_per_row_2x2ILj256ELj16ELj32ELj137Eli21rocsparse_complex_numIdEEEv20rocsparse_direction_T4_S4_PKS4_S6_NS_24const_host_device_scalarIT5_EEPKT3_S6_PKS8_SC_S6_SE_S9_SC_S6_SE_SC_PS4_PS8_21rocsparse_index_base_SH_SH_SH_bbb,comdat
.Lfunc_end229:
	.size	_ZN9rocsparseL27bsrgemm_fill_wf_per_row_2x2ILj256ELj16ELj32ELj137Eli21rocsparse_complex_numIdEEEv20rocsparse_direction_T4_S4_PKS4_S6_NS_24const_host_device_scalarIT5_EEPKT3_S6_PKS8_SC_S6_SE_S9_SC_S6_SE_SC_PS4_PS8_21rocsparse_index_base_SH_SH_SH_bbb, .Lfunc_end229-_ZN9rocsparseL27bsrgemm_fill_wf_per_row_2x2ILj256ELj16ELj32ELj137Eli21rocsparse_complex_numIdEEEv20rocsparse_direction_T4_S4_PKS4_S6_NS_24const_host_device_scalarIT5_EEPKT3_S6_PKS8_SC_S6_SE_S9_SC_S6_SE_SC_PS4_PS8_21rocsparse_index_base_SH_SH_SH_bbb
                                        ; -- End function
	.section	.AMDGPU.csdata,"",@progbits
; Kernel info:
; codeLenInByte = 7800
; NumSgprs: 50
; NumVgprs: 71
; ScratchSize: 0
; MemoryBound: 0
; FloatMode: 240
; IeeeMode: 1
; LDSByteSize: 38912 bytes/workgroup (compile time only)
; SGPRBlocks: 6
; VGPRBlocks: 8
; NumSGPRsForWavesPerEU: 50
; NumVGPRsForWavesPerEU: 71
; Occupancy: 6
; WaveLimiterHint : 1
; COMPUTE_PGM_RSRC2:SCRATCH_EN: 0
; COMPUTE_PGM_RSRC2:USER_SGPR: 15
; COMPUTE_PGM_RSRC2:TRAP_HANDLER: 0
; COMPUTE_PGM_RSRC2:TGID_X_EN: 1
; COMPUTE_PGM_RSRC2:TGID_Y_EN: 0
; COMPUTE_PGM_RSRC2:TGID_Z_EN: 0
; COMPUTE_PGM_RSRC2:TIDIG_COMP_CNT: 2
	.section	.text._ZN9rocsparseL30bsrgemm_fill_block_per_row_2x2ILj256ELj16ELj64ELj137Eli21rocsparse_complex_numIdEEEv20rocsparse_direction_T4_S4_PKS4_S6_NS_24const_host_device_scalarIT5_EEPKT3_S6_PKS8_SC_S6_SE_S9_SC_S6_SE_SC_PS4_PS8_21rocsparse_index_base_SH_SH_SH_bbb,"axG",@progbits,_ZN9rocsparseL30bsrgemm_fill_block_per_row_2x2ILj256ELj16ELj64ELj137Eli21rocsparse_complex_numIdEEEv20rocsparse_direction_T4_S4_PKS4_S6_NS_24const_host_device_scalarIT5_EEPKT3_S6_PKS8_SC_S6_SE_S9_SC_S6_SE_SC_PS4_PS8_21rocsparse_index_base_SH_SH_SH_bbb,comdat
	.globl	_ZN9rocsparseL30bsrgemm_fill_block_per_row_2x2ILj256ELj16ELj64ELj137Eli21rocsparse_complex_numIdEEEv20rocsparse_direction_T4_S4_PKS4_S6_NS_24const_host_device_scalarIT5_EEPKT3_S6_PKS8_SC_S6_SE_S9_SC_S6_SE_SC_PS4_PS8_21rocsparse_index_base_SH_SH_SH_bbb ; -- Begin function _ZN9rocsparseL30bsrgemm_fill_block_per_row_2x2ILj256ELj16ELj64ELj137Eli21rocsparse_complex_numIdEEEv20rocsparse_direction_T4_S4_PKS4_S6_NS_24const_host_device_scalarIT5_EEPKT3_S6_PKS8_SC_S6_SE_S9_SC_S6_SE_SC_PS4_PS8_21rocsparse_index_base_SH_SH_SH_bbb
	.p2align	8
	.type	_ZN9rocsparseL30bsrgemm_fill_block_per_row_2x2ILj256ELj16ELj64ELj137Eli21rocsparse_complex_numIdEEEv20rocsparse_direction_T4_S4_PKS4_S6_NS_24const_host_device_scalarIT5_EEPKT3_S6_PKS8_SC_S6_SE_S9_SC_S6_SE_SC_PS4_PS8_21rocsparse_index_base_SH_SH_SH_bbb,@function
_ZN9rocsparseL30bsrgemm_fill_block_per_row_2x2ILj256ELj16ELj64ELj137Eli21rocsparse_complex_numIdEEEv20rocsparse_direction_T4_S4_PKS4_S6_NS_24const_host_device_scalarIT5_EEPKT3_S6_PKS8_SC_S6_SE_S9_SC_S6_SE_SC_PS4_PS8_21rocsparse_index_base_SH_SH_SH_bbb: ; @_ZN9rocsparseL30bsrgemm_fill_block_per_row_2x2ILj256ELj16ELj64ELj137Eli21rocsparse_complex_numIdEEEv20rocsparse_direction_T4_S4_PKS4_S6_NS_24const_host_device_scalarIT5_EEPKT3_S6_PKS8_SC_S6_SE_S9_SC_S6_SE_SC_PS4_PS8_21rocsparse_index_base_SH_SH_SH_bbb
; %bb.0:
	s_clause 0x2
	s_load_b32 s12, s[0:1], 0xb0
	s_load_b128 s[8:11], s[0:1], 0x20
	s_load_b128 s[4:7], s[0:1], 0x60
	v_mov_b32_e32 v17, 0
	v_mov_b32_e32 v18, 0
	s_mov_b32 s16, s15
	s_waitcnt lgkmcnt(0)
	s_bitcmp1_b32 s12, 0
	v_mov_b32_e32 v1, s8
	s_cselect_b32 s17, -1, 0
	s_bitcmp1_b32 s12, 16
	v_dual_mov_b32 v22, v18 :: v_dual_mov_b32 v21, v17
	s_cselect_b32 s2, -1, 0
	v_mov_b32_e32 v2, s9
	s_xor_b32 s3, s2, -1
	v_dual_mov_b32 v24, v18 :: v_dual_mov_b32 v23, v17
	v_cndmask_b32_e64 v5, 0, 1, s3
	v_dual_mov_b32 v3, s4 :: v_dual_mov_b32 v4, s5
	s_bitcmp0_b32 s12, 0
	s_clause 0x1
	scratch_store_b64 off, v[1:2], off
	scratch_store_b64 off, v[3:4], off offset:8
	v_cmp_ne_u32_e32 vcc_lo, 1, v5
	s_cbranch_scc1 .LBB230_3
; %bb.1:
	s_mov_b64 s[14:15], src_private_base
	s_and_b32 s13, s2, exec_lo
	s_cselect_b32 s13, s15, s9
	s_delay_alu instid0(SALU_CYCLE_1) | instskip(SKIP_2) | instid1(VALU_DEP_2)
	v_dual_mov_b32 v1, 0 :: v_dual_mov_b32 v2, s13
	v_dual_mov_b32 v24, s11 :: v_dual_mov_b32 v23, s10
	s_and_b32 vcc_lo, exec_lo, vcc_lo
	v_cndmask_b32_e64 v1, s8, v1, s2
	flat_load_b64 v[21:22], v[1:2]
	s_cbranch_vccnz .LBB230_3
; %bb.2:
	v_dual_mov_b32 v1, s8 :: v_dual_mov_b32 v2, s9
	flat_load_b64 v[23:24], v[1:2] offset:8
.LBB230_3:
	s_bitcmp1_b32 s12, 8
	v_dual_mov_b32 v20, v18 :: v_dual_mov_b32 v19, v17
	s_cselect_b32 s23, -1, 0
	s_bfe_u32 s8, s12, 0x10008
	s_delay_alu instid0(SALU_CYCLE_1)
	s_cmp_eq_u32 s8, 0
	s_cbranch_scc1 .LBB230_6
; %bb.4:
	s_mov_b64 s[8:9], src_private_base
	s_and_b32 s8, s2, exec_lo
	s_cselect_b32 s8, s9, s5
	s_delay_alu instid0(SALU_CYCLE_1) | instskip(SKIP_2) | instid1(VALU_DEP_2)
	v_dual_mov_b32 v1, 8 :: v_dual_mov_b32 v2, s8
	v_dual_mov_b32 v18, s7 :: v_dual_mov_b32 v17, s6
	s_and_not1_b32 vcc_lo, exec_lo, s3
	v_cndmask_b32_e64 v1, s4, v1, s2
	flat_load_b64 v[19:20], v[1:2]
	s_cbranch_vccnz .LBB230_6
; %bb.5:
	v_dual_mov_b32 v1, s4 :: v_dual_mov_b32 v2, s5
	flat_load_b64 v[17:18], v[1:2] offset:8
.LBB230_6:
	s_load_b32 s3, s[0:1], 0x8
	v_cmp_gt_u32_e64 s2, 64, v0
	v_lshl_add_u32 v53, v0, 2, 0
	s_delay_alu instid0(VALU_DEP_2)
	s_and_saveexec_b32 s4, s2
	s_cbranch_execz .LBB230_8
; %bb.7:
	s_waitcnt lgkmcnt(0)
	v_mov_b32_e32 v1, s3
	ds_store_b32 v53, v1
.LBB230_8:
	s_or_b32 exec_lo, exec_lo, s4
	s_clause 0x1
	s_load_b128 s[12:15], s[0:1], 0xa0
	s_load_b64 s[4:5], s[0:1], 0x18
	s_mov_b32 s6, exec_lo
	v_cmpx_gt_u32_e32 0x100, v0
	s_cbranch_execz .LBB230_10
; %bb.9:
	s_mov_b32 s8, 0
	v_lshl_add_u32 v5, v0, 4, 0
	s_mov_b32 s9, s8
	s_mov_b32 s10, s8
	;; [unrolled: 1-line block ×3, first 2 shown]
	v_dual_mov_b32 v1, s8 :: v_dual_mov_b32 v2, s9
	v_dual_mov_b32 v3, s10 :: v_dual_mov_b32 v4, s11
	ds_store_2addr_b64 v5, v[1:2], v[3:4] offset0:32 offset1:33
.LBB230_10:
	s_or_b32 exec_lo, exec_lo, s6
	s_waitcnt lgkmcnt(0)
	s_cmp_eq_u64 s[4:5], 0
	s_waitcnt vmcnt(0)
	s_waitcnt_vscnt null, 0x0
	s_barrier
	buffer_gl0_inv
	s_cbranch_scc1 .LBB230_12
; %bb.11:
	s_load_b64 s[6:7], s[0:1], 0x10
	s_waitcnt lgkmcnt(0)
	s_load_b32 s6, s[6:7], 0x0
	s_mov_b32 s7, 0
	s_waitcnt lgkmcnt(0)
	s_add_i32 s6, s6, s16
	s_delay_alu instid0(SALU_CYCLE_1) | instskip(NEXT) | instid1(SALU_CYCLE_1)
	s_lshl_b64 s[6:7], s[6:7], 2
	s_add_u32 s4, s4, s6
	s_addc_u32 s5, s5, s7
	s_load_b32 s16, s[4:5], 0x0
.LBB230_12:
	s_load_b32 s22, s[0:1], 0x0
	s_and_not1_b32 vcc_lo, exec_lo, s17
	s_waitcnt lgkmcnt(0)
	s_ashr_i32 s17, s16, 31
	s_cbranch_vccnz .LBB230_100
; %bb.13:
	s_load_b64 s[4:5], s[0:1], 0x30
	s_lshl_b64 s[6:7], s[16:17], 3
	v_lshrrev_b32_e32 v1, 4, v0
	s_mov_b32 s25, 0
	s_mov_b32 s24, exec_lo
	s_delay_alu instid0(VALU_DEP_1) | instskip(NEXT) | instid1(VALU_DEP_1)
	v_sub_co_u32 v1, s8, v1, s12
	v_sub_co_ci_u32_e64 v2, null, 0, 0, s8
	s_waitcnt lgkmcnt(0)
	s_add_u32 s4, s4, s6
	s_addc_u32 s5, s5, s7
	s_load_b128 s[4:7], s[4:5], 0x0
	s_waitcnt lgkmcnt(0)
	v_add_co_u32 v25, vcc_lo, s4, v1
	v_add_co_ci_u32_e32 v26, vcc_lo, s5, v2, vcc_lo
	s_sub_u32 s18, s6, s12
	s_subb_u32 s19, s7, 0
	s_delay_alu instid0(VALU_DEP_1) | instid1(SALU_CYCLE_1)
	v_cmpx_gt_i64_e64 s[18:19], v[25:26]
	s_cbranch_execz .LBB230_99
; %bb.14:
	s_clause 0x1
	s_load_b64 s[20:21], s[0:1], 0x58
	s_load_b256 s[4:11], s[0:1], 0x38
	v_and_b32_e32 v1, 15, v0
	s_cmp_eq_u32 s22, 0
	s_cselect_b32 s27, 1, 2
	s_cselect_b32 s28, 2, 1
	s_delay_alu instid0(VALU_DEP_1) | instskip(NEXT) | instid1(VALU_DEP_1)
	v_sub_co_u32 v54, s26, v1, s13
	v_sub_co_ci_u32_e64 v55, null, 0, 0, s26
	s_mov_b32 s26, s13
	s_branch .LBB230_16
.LBB230_15:                             ;   in Loop: Header=BB230_16 Depth=1
	s_or_b32 exec_lo, exec_lo, s29
	v_add_co_u32 v25, vcc_lo, v25, 16
	v_add_co_ci_u32_e32 v26, vcc_lo, 0, v26, vcc_lo
	s_delay_alu instid0(VALU_DEP_1) | instskip(SKIP_1) | instid1(SALU_CYCLE_1)
	v_cmp_le_i64_e32 vcc_lo, s[18:19], v[25:26]
	s_or_b32 s25, vcc_lo, s25
	s_and_not1_b32 exec_lo, exec_lo, s25
	s_cbranch_execz .LBB230_99
.LBB230_16:                             ; =>This Loop Header: Depth=1
                                        ;     Child Loop BB230_19 Depth 2
                                        ;       Child Loop BB230_21 Depth 3
                                        ;         Child Loop BB230_27 Depth 4
                                        ;         Child Loop BB230_29 Depth 4
                                        ;         Child Loop BB230_35 Depth 4
                                        ;         Child Loop BB230_37 Depth 4
                                        ;       Child Loop BB230_41 Depth 3
                                        ;         Child Loop BB230_47 Depth 4
                                        ;         Child Loop BB230_49 Depth 4
                                        ;         Child Loop BB230_55 Depth 4
                                        ;         Child Loop BB230_57 Depth 4
	;; [unrolled: 5-line block ×4, first 2 shown]
	v_lshlrev_b64 v[1:2], 2, v[25:26]
	s_mov_b32 s29, exec_lo
	s_waitcnt lgkmcnt(0)
	s_delay_alu instid0(VALU_DEP_1) | instskip(NEXT) | instid1(VALU_DEP_2)
	v_add_co_u32 v3, vcc_lo, s4, v1
	v_add_co_ci_u32_e32 v4, vcc_lo, s5, v2, vcc_lo
	global_load_b32 v3, v[3:4], off
	s_waitcnt vmcnt(0)
	v_subrev_nc_u32_e32 v3, s12, v3
	s_delay_alu instid0(VALU_DEP_1) | instskip(NEXT) | instid1(VALU_DEP_1)
	v_ashrrev_i32_e32 v4, 31, v3
	v_lshlrev_b64 v[3:4], 3, v[3:4]
	s_delay_alu instid0(VALU_DEP_1) | instskip(NEXT) | instid1(VALU_DEP_2)
	v_add_co_u32 v3, vcc_lo, s8, v3
	v_add_co_ci_u32_e32 v4, vcc_lo, s9, v4, vcc_lo
	global_load_b128 v[3:6], v[3:4], off
	s_waitcnt vmcnt(0)
	v_sub_co_u32 v27, vcc_lo, v5, s26
	v_subrev_co_ci_u32_e32 v28, vcc_lo, 0, v6, vcc_lo
	v_add_co_u32 v29, vcc_lo, v3, v54
	v_add_co_ci_u32_e32 v30, vcc_lo, v4, v55, vcc_lo
	s_delay_alu instid0(VALU_DEP_1)
	v_cmpx_lt_i64_e64 v[29:30], v[27:28]
	s_cbranch_execz .LBB230_15
; %bb.17:                               ;   in Loop: Header=BB230_16 Depth=1
	v_or_b32_e32 v6, 0, v2
	v_or_b32_e32 v5, s27, v1
	v_lshlrev_b64 v[3:4], 6, v[25:26]
	v_or_b32_e32 v2, 0, v2
	v_or_b32_e32 v1, s28, v1
	s_mov_b32 s30, 0
	v_lshlrev_b64 v[5:6], 4, v[5:6]
	s_delay_alu instid0(VALU_DEP_4) | instskip(NEXT) | instid1(VALU_DEP_3)
	v_add_co_u32 v7, vcc_lo, s6, v3
	v_lshlrev_b64 v[9:10], 4, v[1:2]
	v_add_co_ci_u32_e32 v8, vcc_lo, s7, v4, vcc_lo
	s_delay_alu instid0(VALU_DEP_4) | instskip(SKIP_1) | instid1(VALU_DEP_4)
	v_add_co_u32 v11, vcc_lo, s6, v5
	v_add_co_ci_u32_e32 v12, vcc_lo, s7, v6, vcc_lo
	v_add_co_u32 v13, vcc_lo, s6, v9
	v_add_co_ci_u32_e32 v14, vcc_lo, s7, v10, vcc_lo
	s_clause 0x3
	global_load_b128 v[1:4], v[7:8], off
	global_load_b128 v[5:8], v[7:8], off offset:48
	global_load_b128 v[9:12], v[11:12], off
	global_load_b128 v[13:16], v[13:14], off
	s_waitcnt vmcnt(2)
	v_mul_f64 v[35:36], v[7:8], -v[23:24]
	v_mul_f64 v[31:32], v[3:4], -v[23:24]
	v_mul_f64 v[3:4], v[21:22], v[3:4]
	v_mul_f64 v[7:8], v[21:22], v[7:8]
	s_waitcnt vmcnt(1)
	v_mul_f64 v[39:40], v[11:12], -v[23:24]
	v_mul_f64 v[11:12], v[21:22], v[11:12]
	s_waitcnt vmcnt(0)
	v_mul_f64 v[43:44], v[15:16], -v[23:24]
	v_mul_f64 v[15:16], v[21:22], v[15:16]
	v_fma_f64 v[35:36], v[21:22], v[5:6], v[35:36]
	v_fma_f64 v[31:32], v[21:22], v[1:2], v[31:32]
	;; [unrolled: 1-line block ×8, first 2 shown]
	s_branch .LBB230_19
.LBB230_18:                             ;   in Loop: Header=BB230_19 Depth=2
	s_or_b32 exec_lo, exec_lo, s31
	v_add_co_u32 v29, vcc_lo, v29, 16
	v_add_co_ci_u32_e32 v30, vcc_lo, 0, v30, vcc_lo
	s_delay_alu instid0(VALU_DEP_1) | instskip(SKIP_1) | instid1(SALU_CYCLE_1)
	v_cmp_ge_i64_e32 vcc_lo, v[29:30], v[27:28]
	s_or_b32 s30, vcc_lo, s30
	s_and_not1_b32 exec_lo, exec_lo, s30
	s_cbranch_execz .LBB230_15
.LBB230_19:                             ;   Parent Loop BB230_16 Depth=1
                                        ; =>  This Loop Header: Depth=2
                                        ;       Child Loop BB230_21 Depth 3
                                        ;         Child Loop BB230_27 Depth 4
                                        ;         Child Loop BB230_29 Depth 4
                                        ;         Child Loop BB230_35 Depth 4
                                        ;         Child Loop BB230_37 Depth 4
                                        ;       Child Loop BB230_41 Depth 3
                                        ;         Child Loop BB230_47 Depth 4
                                        ;         Child Loop BB230_49 Depth 4
                                        ;         Child Loop BB230_55 Depth 4
                                        ;         Child Loop BB230_57 Depth 4
	;; [unrolled: 5-line block ×4, first 2 shown]
	v_lshlrev_b64 v[1:2], 2, v[29:30]
	s_mov_b32 s31, 0
	s_delay_alu instid0(VALU_DEP_1) | instskip(NEXT) | instid1(VALU_DEP_2)
	v_or_b32_e32 v4, 0, v2
	v_or_b32_e32 v3, s28, v1
	s_delay_alu instid0(VALU_DEP_1) | instskip(NEXT) | instid1(VALU_DEP_1)
	v_lshlrev_b64 v[3:4], 4, v[3:4]
	v_add_co_u32 v3, vcc_lo, s20, v3
	s_delay_alu instid0(VALU_DEP_2) | instskip(SKIP_2) | instid1(VALU_DEP_1)
	v_add_co_ci_u32_e32 v4, vcc_lo, s21, v4, vcc_lo
	global_load_b128 v[13:16], v[3:4], off
	v_lshlrev_b64 v[3:4], 6, v[29:30]
	v_add_co_u32 v5, vcc_lo, s20, v3
	s_delay_alu instid0(VALU_DEP_2)
	v_add_co_ci_u32_e32 v6, vcc_lo, s21, v4, vcc_lo
	v_add_co_u32 v3, vcc_lo, s10, v1
	v_add_co_ci_u32_e32 v4, vcc_lo, s11, v2, vcc_lo
	global_load_b128 v[9:12], v[5:6], off
	v_or_b32_e32 v2, 0, v2
	v_or_b32_e32 v1, s27, v1
	global_load_b32 v51, v[3:4], off
	v_lshlrev_b64 v[1:2], 4, v[1:2]
	s_delay_alu instid0(VALU_DEP_1) | instskip(NEXT) | instid1(VALU_DEP_2)
	v_add_co_u32 v1, vcc_lo, s20, v1
	v_add_co_ci_u32_e32 v2, vcc_lo, s21, v2, vcc_lo
	s_clause 0x1
	global_load_b128 v[1:4], v[1:2], off
	global_load_b128 v[5:8], v[5:6], off offset:48
	s_waitcnt vmcnt(4)
	v_mul_f64 v[47:48], v[15:16], -v[41:42]
	v_mul_f64 v[49:50], v[39:40], v[15:16]
	s_waitcnt vmcnt(2)
	v_subrev_nc_u32_e32 v56, s13, v51
	s_delay_alu instid0(VALU_DEP_1) | instskip(NEXT) | instid1(VALU_DEP_1)
	v_lshl_add_u32 v51, v56, 3, v56
	v_and_b32_e32 v57, 63, v51
	s_delay_alu instid0(VALU_DEP_1) | instskip(SKIP_2) | instid1(VALU_DEP_2)
	v_mov_b32_e32 v58, v57
	v_fma_f64 v[47:48], v[39:40], v[13:14], v[47:48]
	v_fma_f64 v[49:50], v[41:42], v[13:14], v[49:50]
	;; [unrolled: 1-line block ×3, first 2 shown]
	s_delay_alu instid0(VALU_DEP_2) | instskip(NEXT) | instid1(VALU_DEP_2)
	v_fma_f64 v[49:50], v[33:34], v[9:10], v[49:50]
	v_fma_f64 v[47:48], -v[33:34], v[11:12], v[47:48]
	s_delay_alu instid0(VALU_DEP_2)
	v_fma_f64 v[49:50], v[31:32], v[11:12], v[49:50]
	s_branch .LBB230_21
.LBB230_20:                             ;   in Loop: Header=BB230_21 Depth=3
	s_or_b32 exec_lo, exec_lo, s33
	s_xor_b32 s33, s34, -1
	s_delay_alu instid0(SALU_CYCLE_1) | instskip(NEXT) | instid1(SALU_CYCLE_1)
	s_and_b32 s33, exec_lo, s33
	s_or_b32 s31, s33, s31
	s_delay_alu instid0(SALU_CYCLE_1)
	s_and_not1_b32 exec_lo, exec_lo, s31
	s_cbranch_execz .LBB230_39
.LBB230_21:                             ;   Parent Loop BB230_16 Depth=1
                                        ;     Parent Loop BB230_19 Depth=2
                                        ; =>    This Loop Header: Depth=3
                                        ;         Child Loop BB230_27 Depth 4
                                        ;         Child Loop BB230_29 Depth 4
	;; [unrolled: 1-line block ×4, first 2 shown]
	v_lshl_add_u32 v51, v58, 2, 0
	s_mov_b32 s33, exec_lo
                                        ; implicit-def: $sgpr34
	ds_load_b32 v52, v51
	s_waitcnt lgkmcnt(0)
	v_cmpx_ne_u32_e64 v52, v56
	s_xor_b32 s33, exec_lo, s33
	s_cbranch_execz .LBB230_33
; %bb.22:                               ;   in Loop: Header=BB230_21 Depth=3
	s_mov_b32 s35, exec_lo
                                        ; implicit-def: $sgpr34
	v_cmpx_ne_u32_e64 s3, v52
	s_xor_b32 s35, exec_lo, s35
; %bb.23:                               ;   in Loop: Header=BB230_21 Depth=3
	v_add_nc_u32_e32 v51, 1, v58
	s_mov_b32 s34, -1
	s_delay_alu instid0(VALU_DEP_1)
	v_and_b32_e32 v58, 63, v51
                                        ; implicit-def: $vgpr51
; %bb.24:                               ;   in Loop: Header=BB230_21 Depth=3
	s_and_not1_saveexec_b32 s35, s35
	s_cbranch_execz .LBB230_32
; %bb.25:                               ;   in Loop: Header=BB230_21 Depth=3
	v_mov_b32_e32 v52, s3
	s_mov_b32 s37, -1
	s_mov_b32 s36, exec_lo
	ds_cmpstore_rtn_b32 v52, v51, v56, v52
	s_waitcnt lgkmcnt(0)
	v_cmpx_eq_u32_e64 s3, v52
	s_cbranch_execz .LBB230_31
; %bb.26:                               ;   in Loop: Header=BB230_21 Depth=3
	v_mul_lo_u32 v52, v58, 60
	s_mov_b32 s37, 0
	s_delay_alu instid0(VALU_DEP_1)
	v_add_nc_u32_e32 v59, v51, v52
	ds_load_b64 v[51:52], v59 offset:256
.LBB230_27:                             ;   Parent Loop BB230_16 Depth=1
                                        ;     Parent Loop BB230_19 Depth=2
                                        ;       Parent Loop BB230_21 Depth=3
                                        ; =>      This Inner Loop Header: Depth=4
	s_waitcnt lgkmcnt(0)
	v_add_f64 v[60:61], v[51:52], v[47:48]
	ds_cmpstore_rtn_b64 v[60:61], v59, v[60:61], v[51:52] offset:256
	s_waitcnt lgkmcnt(0)
	v_cmp_eq_u64_e32 vcc_lo, v[60:61], v[51:52]
	v_dual_mov_b32 v51, v60 :: v_dual_mov_b32 v52, v61
	s_or_b32 s37, vcc_lo, s37
	s_delay_alu instid0(SALU_CYCLE_1)
	s_and_not1_b32 exec_lo, exec_lo, s37
	s_cbranch_execnz .LBB230_27
; %bb.28:                               ;   in Loop: Header=BB230_21 Depth=3
	s_or_b32 exec_lo, exec_lo, s37
	ds_load_b64 v[51:52], v59 offset:264
	s_mov_b32 s37, 0
.LBB230_29:                             ;   Parent Loop BB230_16 Depth=1
                                        ;     Parent Loop BB230_19 Depth=2
                                        ;       Parent Loop BB230_21 Depth=3
                                        ; =>      This Inner Loop Header: Depth=4
	s_waitcnt lgkmcnt(0)
	v_add_f64 v[60:61], v[51:52], v[49:50]
	ds_cmpstore_rtn_b64 v[60:61], v59, v[60:61], v[51:52] offset:264
	s_waitcnt lgkmcnt(0)
	v_cmp_eq_u64_e32 vcc_lo, v[60:61], v[51:52]
	v_dual_mov_b32 v51, v60 :: v_dual_mov_b32 v52, v61
	s_or_b32 s37, vcc_lo, s37
	s_delay_alu instid0(SALU_CYCLE_1)
	s_and_not1_b32 exec_lo, exec_lo, s37
	s_cbranch_execnz .LBB230_29
; %bb.30:                               ;   in Loop: Header=BB230_21 Depth=3
	s_or_b32 exec_lo, exec_lo, s37
	s_delay_alu instid0(SALU_CYCLE_1)
	s_xor_b32 s37, exec_lo, -1
.LBB230_31:                             ;   in Loop: Header=BB230_21 Depth=3
	s_or_b32 exec_lo, exec_lo, s36
	s_delay_alu instid0(SALU_CYCLE_1) | instskip(SKIP_1) | instid1(SALU_CYCLE_1)
	s_and_not1_b32 s34, s34, exec_lo
	s_and_b32 s36, s37, exec_lo
	s_or_b32 s34, s34, s36
.LBB230_32:                             ;   in Loop: Header=BB230_21 Depth=3
	s_or_b32 exec_lo, exec_lo, s35
	s_delay_alu instid0(SALU_CYCLE_1)
	s_and_b32 s34, s34, exec_lo
                                        ; implicit-def: $vgpr51
.LBB230_33:                             ;   in Loop: Header=BB230_21 Depth=3
	s_and_not1_saveexec_b32 s33, s33
	s_cbranch_execz .LBB230_20
; %bb.34:                               ;   in Loop: Header=BB230_21 Depth=3
	v_mul_lo_u32 v52, v58, 60
	s_mov_b32 s35, 0
	s_delay_alu instid0(VALU_DEP_1)
	v_add_nc_u32_e32 v59, v51, v52
	ds_load_b64 v[51:52], v59 offset:256
.LBB230_35:                             ;   Parent Loop BB230_16 Depth=1
                                        ;     Parent Loop BB230_19 Depth=2
                                        ;       Parent Loop BB230_21 Depth=3
                                        ; =>      This Inner Loop Header: Depth=4
	s_waitcnt lgkmcnt(0)
	v_add_f64 v[60:61], v[51:52], v[47:48]
	ds_cmpstore_rtn_b64 v[60:61], v59, v[60:61], v[51:52] offset:256
	s_waitcnt lgkmcnt(0)
	v_cmp_eq_u64_e32 vcc_lo, v[60:61], v[51:52]
	v_dual_mov_b32 v51, v60 :: v_dual_mov_b32 v52, v61
	s_or_b32 s35, vcc_lo, s35
	s_delay_alu instid0(SALU_CYCLE_1)
	s_and_not1_b32 exec_lo, exec_lo, s35
	s_cbranch_execnz .LBB230_35
; %bb.36:                               ;   in Loop: Header=BB230_21 Depth=3
	s_or_b32 exec_lo, exec_lo, s35
	ds_load_b64 v[51:52], v59 offset:264
	s_mov_b32 s35, 0
.LBB230_37:                             ;   Parent Loop BB230_16 Depth=1
                                        ;     Parent Loop BB230_19 Depth=2
                                        ;       Parent Loop BB230_21 Depth=3
                                        ; =>      This Inner Loop Header: Depth=4
	s_waitcnt lgkmcnt(0)
	v_add_f64 v[60:61], v[51:52], v[49:50]
	ds_cmpstore_rtn_b64 v[60:61], v59, v[60:61], v[51:52] offset:264
	s_waitcnt lgkmcnt(0)
	v_cmp_eq_u64_e32 vcc_lo, v[60:61], v[51:52]
	v_dual_mov_b32 v51, v60 :: v_dual_mov_b32 v52, v61
	s_or_b32 s35, vcc_lo, s35
	s_delay_alu instid0(SALU_CYCLE_1)
	s_and_not1_b32 exec_lo, exec_lo, s35
	s_cbranch_execnz .LBB230_37
; %bb.38:                               ;   in Loop: Header=BB230_21 Depth=3
	s_or_b32 exec_lo, exec_lo, s35
	s_delay_alu instid0(SALU_CYCLE_1)
	s_and_not1_b32 s34, s34, exec_lo
	s_branch .LBB230_20
.LBB230_39:                             ;   in Loop: Header=BB230_19 Depth=2
	s_or_b32 exec_lo, exec_lo, s31
	s_waitcnt vmcnt(0)
	v_mul_f64 v[47:48], v[7:8], -v[41:42]
	v_mul_f64 v[49:50], v[39:40], v[7:8]
	v_mov_b32_e32 v58, v57
	s_mov_b32 s31, 0
	s_delay_alu instid0(VALU_DEP_3) | instskip(NEXT) | instid1(VALU_DEP_3)
	v_fma_f64 v[47:48], v[39:40], v[5:6], v[47:48]
	v_fma_f64 v[49:50], v[41:42], v[5:6], v[49:50]
	s_delay_alu instid0(VALU_DEP_2) | instskip(NEXT) | instid1(VALU_DEP_2)
	v_fma_f64 v[47:48], v[31:32], v[1:2], v[47:48]
	v_fma_f64 v[49:50], v[33:34], v[1:2], v[49:50]
	s_delay_alu instid0(VALU_DEP_2) | instskip(NEXT) | instid1(VALU_DEP_2)
	v_fma_f64 v[47:48], -v[33:34], v[3:4], v[47:48]
	v_fma_f64 v[49:50], v[31:32], v[3:4], v[49:50]
	s_branch .LBB230_41
.LBB230_40:                             ;   in Loop: Header=BB230_41 Depth=3
	s_or_b32 exec_lo, exec_lo, s33
	s_xor_b32 s33, s34, -1
	s_delay_alu instid0(SALU_CYCLE_1) | instskip(NEXT) | instid1(SALU_CYCLE_1)
	s_and_b32 s33, exec_lo, s33
	s_or_b32 s31, s33, s31
	s_delay_alu instid0(SALU_CYCLE_1)
	s_and_not1_b32 exec_lo, exec_lo, s31
	s_cbranch_execz .LBB230_59
.LBB230_41:                             ;   Parent Loop BB230_16 Depth=1
                                        ;     Parent Loop BB230_19 Depth=2
                                        ; =>    This Loop Header: Depth=3
                                        ;         Child Loop BB230_47 Depth 4
                                        ;         Child Loop BB230_49 Depth 4
	;; [unrolled: 1-line block ×4, first 2 shown]
	v_lshl_add_u32 v51, v58, 2, 0
	s_mov_b32 s33, exec_lo
                                        ; implicit-def: $sgpr34
	ds_load_b32 v52, v51
	s_waitcnt lgkmcnt(0)
	v_cmpx_ne_u32_e64 v52, v56
	s_xor_b32 s33, exec_lo, s33
	s_cbranch_execz .LBB230_53
; %bb.42:                               ;   in Loop: Header=BB230_41 Depth=3
	s_mov_b32 s35, exec_lo
                                        ; implicit-def: $sgpr34
	v_cmpx_ne_u32_e64 s3, v52
	s_xor_b32 s35, exec_lo, s35
; %bb.43:                               ;   in Loop: Header=BB230_41 Depth=3
	v_add_nc_u32_e32 v51, 1, v58
	s_mov_b32 s34, -1
	s_delay_alu instid0(VALU_DEP_1)
	v_and_b32_e32 v58, 63, v51
                                        ; implicit-def: $vgpr51
; %bb.44:                               ;   in Loop: Header=BB230_41 Depth=3
	s_and_not1_saveexec_b32 s35, s35
	s_cbranch_execz .LBB230_52
; %bb.45:                               ;   in Loop: Header=BB230_41 Depth=3
	v_mov_b32_e32 v52, s3
	s_mov_b32 s37, -1
	s_mov_b32 s36, exec_lo
	ds_cmpstore_rtn_b32 v52, v51, v56, v52
	s_waitcnt lgkmcnt(0)
	v_cmpx_eq_u32_e64 s3, v52
	s_cbranch_execz .LBB230_51
; %bb.46:                               ;   in Loop: Header=BB230_41 Depth=3
	v_mul_lo_u32 v52, v58, 60
	s_mov_b32 s37, 0
	s_delay_alu instid0(VALU_DEP_1)
	v_add_nc_u32_e32 v59, v51, v52
	ds_load_b64 v[51:52], v59 offset:272
.LBB230_47:                             ;   Parent Loop BB230_16 Depth=1
                                        ;     Parent Loop BB230_19 Depth=2
                                        ;       Parent Loop BB230_41 Depth=3
                                        ; =>      This Inner Loop Header: Depth=4
	s_waitcnt lgkmcnt(0)
	v_add_f64 v[60:61], v[51:52], v[47:48]
	ds_cmpstore_rtn_b64 v[60:61], v59, v[60:61], v[51:52] offset:272
	s_waitcnt lgkmcnt(0)
	v_cmp_eq_u64_e32 vcc_lo, v[60:61], v[51:52]
	v_dual_mov_b32 v51, v60 :: v_dual_mov_b32 v52, v61
	s_or_b32 s37, vcc_lo, s37
	s_delay_alu instid0(SALU_CYCLE_1)
	s_and_not1_b32 exec_lo, exec_lo, s37
	s_cbranch_execnz .LBB230_47
; %bb.48:                               ;   in Loop: Header=BB230_41 Depth=3
	s_or_b32 exec_lo, exec_lo, s37
	ds_load_b64 v[51:52], v59 offset:280
	s_mov_b32 s37, 0
.LBB230_49:                             ;   Parent Loop BB230_16 Depth=1
                                        ;     Parent Loop BB230_19 Depth=2
                                        ;       Parent Loop BB230_41 Depth=3
                                        ; =>      This Inner Loop Header: Depth=4
	s_waitcnt lgkmcnt(0)
	v_add_f64 v[60:61], v[51:52], v[49:50]
	ds_cmpstore_rtn_b64 v[60:61], v59, v[60:61], v[51:52] offset:280
	s_waitcnt lgkmcnt(0)
	v_cmp_eq_u64_e32 vcc_lo, v[60:61], v[51:52]
	v_dual_mov_b32 v51, v60 :: v_dual_mov_b32 v52, v61
	s_or_b32 s37, vcc_lo, s37
	s_delay_alu instid0(SALU_CYCLE_1)
	s_and_not1_b32 exec_lo, exec_lo, s37
	s_cbranch_execnz .LBB230_49
; %bb.50:                               ;   in Loop: Header=BB230_41 Depth=3
	s_or_b32 exec_lo, exec_lo, s37
	s_delay_alu instid0(SALU_CYCLE_1)
	s_xor_b32 s37, exec_lo, -1
.LBB230_51:                             ;   in Loop: Header=BB230_41 Depth=3
	s_or_b32 exec_lo, exec_lo, s36
	s_delay_alu instid0(SALU_CYCLE_1) | instskip(SKIP_1) | instid1(SALU_CYCLE_1)
	s_and_not1_b32 s34, s34, exec_lo
	s_and_b32 s36, s37, exec_lo
	s_or_b32 s34, s34, s36
.LBB230_52:                             ;   in Loop: Header=BB230_41 Depth=3
	s_or_b32 exec_lo, exec_lo, s35
	s_delay_alu instid0(SALU_CYCLE_1)
	s_and_b32 s34, s34, exec_lo
                                        ; implicit-def: $vgpr51
.LBB230_53:                             ;   in Loop: Header=BB230_41 Depth=3
	s_and_not1_saveexec_b32 s33, s33
	s_cbranch_execz .LBB230_40
; %bb.54:                               ;   in Loop: Header=BB230_41 Depth=3
	v_mul_lo_u32 v52, v58, 60
	s_mov_b32 s35, 0
	s_delay_alu instid0(VALU_DEP_1)
	v_add_nc_u32_e32 v59, v51, v52
	ds_load_b64 v[51:52], v59 offset:272
.LBB230_55:                             ;   Parent Loop BB230_16 Depth=1
                                        ;     Parent Loop BB230_19 Depth=2
                                        ;       Parent Loop BB230_41 Depth=3
                                        ; =>      This Inner Loop Header: Depth=4
	s_waitcnt lgkmcnt(0)
	v_add_f64 v[60:61], v[51:52], v[47:48]
	ds_cmpstore_rtn_b64 v[60:61], v59, v[60:61], v[51:52] offset:272
	s_waitcnt lgkmcnt(0)
	v_cmp_eq_u64_e32 vcc_lo, v[60:61], v[51:52]
	v_dual_mov_b32 v51, v60 :: v_dual_mov_b32 v52, v61
	s_or_b32 s35, vcc_lo, s35
	s_delay_alu instid0(SALU_CYCLE_1)
	s_and_not1_b32 exec_lo, exec_lo, s35
	s_cbranch_execnz .LBB230_55
; %bb.56:                               ;   in Loop: Header=BB230_41 Depth=3
	s_or_b32 exec_lo, exec_lo, s35
	ds_load_b64 v[51:52], v59 offset:280
	s_mov_b32 s35, 0
.LBB230_57:                             ;   Parent Loop BB230_16 Depth=1
                                        ;     Parent Loop BB230_19 Depth=2
                                        ;       Parent Loop BB230_41 Depth=3
                                        ; =>      This Inner Loop Header: Depth=4
	s_waitcnt lgkmcnt(0)
	v_add_f64 v[60:61], v[51:52], v[49:50]
	ds_cmpstore_rtn_b64 v[60:61], v59, v[60:61], v[51:52] offset:280
	s_waitcnt lgkmcnt(0)
	v_cmp_eq_u64_e32 vcc_lo, v[60:61], v[51:52]
	v_dual_mov_b32 v51, v60 :: v_dual_mov_b32 v52, v61
	s_or_b32 s35, vcc_lo, s35
	s_delay_alu instid0(SALU_CYCLE_1)
	s_and_not1_b32 exec_lo, exec_lo, s35
	s_cbranch_execnz .LBB230_57
; %bb.58:                               ;   in Loop: Header=BB230_41 Depth=3
	s_or_b32 exec_lo, exec_lo, s35
	s_delay_alu instid0(SALU_CYCLE_1)
	s_and_not1_b32 s34, s34, exec_lo
	s_branch .LBB230_40
.LBB230_59:                             ;   in Loop: Header=BB230_19 Depth=2
	s_or_b32 exec_lo, exec_lo, s31
	v_mul_f64 v[47:48], v[15:16], -v[37:38]
	v_mul_f64 v[15:16], v[35:36], v[15:16]
	s_mov_b32 s31, 0
	s_delay_alu instid0(VALU_DEP_2) | instskip(NEXT) | instid1(VALU_DEP_2)
	v_fma_f64 v[47:48], v[35:36], v[13:14], v[47:48]
	v_fma_f64 v[13:14], v[37:38], v[13:14], v[15:16]
	s_delay_alu instid0(VALU_DEP_2) | instskip(NEXT) | instid1(VALU_DEP_2)
	v_fma_f64 v[15:16], v[43:44], v[9:10], v[47:48]
	v_fma_f64 v[13:14], v[45:46], v[9:10], v[13:14]
	s_delay_alu instid0(VALU_DEP_2) | instskip(NEXT) | instid1(VALU_DEP_2)
	v_fma_f64 v[9:10], -v[45:46], v[11:12], v[15:16]
	v_fma_f64 v[11:12], v[43:44], v[11:12], v[13:14]
	v_mov_b32_e32 v15, v57
	s_branch .LBB230_61
.LBB230_60:                             ;   in Loop: Header=BB230_61 Depth=3
	s_or_b32 exec_lo, exec_lo, s33
	s_xor_b32 s33, s34, -1
	s_delay_alu instid0(SALU_CYCLE_1) | instskip(NEXT) | instid1(SALU_CYCLE_1)
	s_and_b32 s33, exec_lo, s33
	s_or_b32 s31, s33, s31
	s_delay_alu instid0(SALU_CYCLE_1)
	s_and_not1_b32 exec_lo, exec_lo, s31
	s_cbranch_execz .LBB230_79
.LBB230_61:                             ;   Parent Loop BB230_16 Depth=1
                                        ;     Parent Loop BB230_19 Depth=2
                                        ; =>    This Loop Header: Depth=3
                                        ;         Child Loop BB230_67 Depth 4
                                        ;         Child Loop BB230_69 Depth 4
                                        ;         Child Loop BB230_75 Depth 4
                                        ;         Child Loop BB230_77 Depth 4
	s_delay_alu instid0(VALU_DEP_1)
	v_lshl_add_u32 v13, v15, 2, 0
	s_mov_b32 s33, exec_lo
                                        ; implicit-def: $sgpr34
	ds_load_b32 v14, v13
	s_waitcnt lgkmcnt(0)
	v_cmpx_ne_u32_e64 v14, v56
	s_xor_b32 s33, exec_lo, s33
	s_cbranch_execz .LBB230_73
; %bb.62:                               ;   in Loop: Header=BB230_61 Depth=3
	s_mov_b32 s35, exec_lo
                                        ; implicit-def: $sgpr34
	v_cmpx_ne_u32_e64 s3, v14
	s_xor_b32 s35, exec_lo, s35
; %bb.63:                               ;   in Loop: Header=BB230_61 Depth=3
	v_add_nc_u32_e32 v13, 1, v15
	s_mov_b32 s34, -1
	s_delay_alu instid0(VALU_DEP_1)
	v_and_b32_e32 v15, 63, v13
                                        ; implicit-def: $vgpr13
; %bb.64:                               ;   in Loop: Header=BB230_61 Depth=3
	s_and_not1_saveexec_b32 s35, s35
	s_cbranch_execz .LBB230_72
; %bb.65:                               ;   in Loop: Header=BB230_61 Depth=3
	v_mov_b32_e32 v14, s3
	s_mov_b32 s37, -1
	s_mov_b32 s36, exec_lo
	ds_cmpstore_rtn_b32 v14, v13, v56, v14
	s_waitcnt lgkmcnt(0)
	v_cmpx_eq_u32_e64 s3, v14
	s_cbranch_execz .LBB230_71
; %bb.66:                               ;   in Loop: Header=BB230_61 Depth=3
	v_mul_lo_u32 v14, v15, 60
	s_mov_b32 s37, 0
	s_delay_alu instid0(VALU_DEP_1)
	v_add_nc_u32_e32 v16, v13, v14
	ds_load_b64 v[13:14], v16 offset:288
.LBB230_67:                             ;   Parent Loop BB230_16 Depth=1
                                        ;     Parent Loop BB230_19 Depth=2
                                        ;       Parent Loop BB230_61 Depth=3
                                        ; =>      This Inner Loop Header: Depth=4
	s_waitcnt lgkmcnt(0)
	v_add_f64 v[47:48], v[13:14], v[9:10]
	ds_cmpstore_rtn_b64 v[47:48], v16, v[47:48], v[13:14] offset:288
	s_waitcnt lgkmcnt(0)
	v_cmp_eq_u64_e32 vcc_lo, v[47:48], v[13:14]
	v_dual_mov_b32 v13, v47 :: v_dual_mov_b32 v14, v48
	s_or_b32 s37, vcc_lo, s37
	s_delay_alu instid0(SALU_CYCLE_1)
	s_and_not1_b32 exec_lo, exec_lo, s37
	s_cbranch_execnz .LBB230_67
; %bb.68:                               ;   in Loop: Header=BB230_61 Depth=3
	s_or_b32 exec_lo, exec_lo, s37
	ds_load_b64 v[13:14], v16 offset:296
	s_mov_b32 s37, 0
.LBB230_69:                             ;   Parent Loop BB230_16 Depth=1
                                        ;     Parent Loop BB230_19 Depth=2
                                        ;       Parent Loop BB230_61 Depth=3
                                        ; =>      This Inner Loop Header: Depth=4
	s_waitcnt lgkmcnt(0)
	v_add_f64 v[47:48], v[13:14], v[11:12]
	ds_cmpstore_rtn_b64 v[47:48], v16, v[47:48], v[13:14] offset:296
	s_waitcnt lgkmcnt(0)
	v_cmp_eq_u64_e32 vcc_lo, v[47:48], v[13:14]
	v_dual_mov_b32 v13, v47 :: v_dual_mov_b32 v14, v48
	s_or_b32 s37, vcc_lo, s37
	s_delay_alu instid0(SALU_CYCLE_1)
	s_and_not1_b32 exec_lo, exec_lo, s37
	s_cbranch_execnz .LBB230_69
; %bb.70:                               ;   in Loop: Header=BB230_61 Depth=3
	s_or_b32 exec_lo, exec_lo, s37
	s_delay_alu instid0(SALU_CYCLE_1)
	s_xor_b32 s37, exec_lo, -1
.LBB230_71:                             ;   in Loop: Header=BB230_61 Depth=3
	s_or_b32 exec_lo, exec_lo, s36
	s_delay_alu instid0(SALU_CYCLE_1) | instskip(SKIP_1) | instid1(SALU_CYCLE_1)
	s_and_not1_b32 s34, s34, exec_lo
	s_and_b32 s36, s37, exec_lo
	s_or_b32 s34, s34, s36
.LBB230_72:                             ;   in Loop: Header=BB230_61 Depth=3
	s_or_b32 exec_lo, exec_lo, s35
	s_delay_alu instid0(SALU_CYCLE_1)
	s_and_b32 s34, s34, exec_lo
                                        ; implicit-def: $vgpr13
.LBB230_73:                             ;   in Loop: Header=BB230_61 Depth=3
	s_and_not1_saveexec_b32 s33, s33
	s_cbranch_execz .LBB230_60
; %bb.74:                               ;   in Loop: Header=BB230_61 Depth=3
	v_mul_lo_u32 v14, v15, 60
	s_mov_b32 s35, 0
	s_delay_alu instid0(VALU_DEP_1)
	v_add_nc_u32_e32 v16, v13, v14
	ds_load_b64 v[13:14], v16 offset:288
.LBB230_75:                             ;   Parent Loop BB230_16 Depth=1
                                        ;     Parent Loop BB230_19 Depth=2
                                        ;       Parent Loop BB230_61 Depth=3
                                        ; =>      This Inner Loop Header: Depth=4
	s_waitcnt lgkmcnt(0)
	v_add_f64 v[47:48], v[13:14], v[9:10]
	ds_cmpstore_rtn_b64 v[47:48], v16, v[47:48], v[13:14] offset:288
	s_waitcnt lgkmcnt(0)
	v_cmp_eq_u64_e32 vcc_lo, v[47:48], v[13:14]
	v_dual_mov_b32 v13, v47 :: v_dual_mov_b32 v14, v48
	s_or_b32 s35, vcc_lo, s35
	s_delay_alu instid0(SALU_CYCLE_1)
	s_and_not1_b32 exec_lo, exec_lo, s35
	s_cbranch_execnz .LBB230_75
; %bb.76:                               ;   in Loop: Header=BB230_61 Depth=3
	s_or_b32 exec_lo, exec_lo, s35
	ds_load_b64 v[13:14], v16 offset:296
	s_mov_b32 s35, 0
.LBB230_77:                             ;   Parent Loop BB230_16 Depth=1
                                        ;     Parent Loop BB230_19 Depth=2
                                        ;       Parent Loop BB230_61 Depth=3
                                        ; =>      This Inner Loop Header: Depth=4
	s_waitcnt lgkmcnt(0)
	v_add_f64 v[47:48], v[13:14], v[11:12]
	ds_cmpstore_rtn_b64 v[47:48], v16, v[47:48], v[13:14] offset:296
	s_waitcnt lgkmcnt(0)
	v_cmp_eq_u64_e32 vcc_lo, v[47:48], v[13:14]
	v_dual_mov_b32 v13, v47 :: v_dual_mov_b32 v14, v48
	s_or_b32 s35, vcc_lo, s35
	s_delay_alu instid0(SALU_CYCLE_1)
	s_and_not1_b32 exec_lo, exec_lo, s35
	s_cbranch_execnz .LBB230_77
; %bb.78:                               ;   in Loop: Header=BB230_61 Depth=3
	s_or_b32 exec_lo, exec_lo, s35
	s_delay_alu instid0(SALU_CYCLE_1)
	s_and_not1_b32 s34, s34, exec_lo
	s_branch .LBB230_60
.LBB230_79:                             ;   in Loop: Header=BB230_19 Depth=2
	s_or_b32 exec_lo, exec_lo, s31
	v_mul_f64 v[9:10], v[7:8], -v[37:38]
	v_mul_f64 v[7:8], v[35:36], v[7:8]
	s_mov_b32 s31, 0
	s_delay_alu instid0(VALU_DEP_2) | instskip(NEXT) | instid1(VALU_DEP_2)
	v_fma_f64 v[9:10], v[35:36], v[5:6], v[9:10]
	v_fma_f64 v[5:6], v[37:38], v[5:6], v[7:8]
	s_delay_alu instid0(VALU_DEP_2) | instskip(NEXT) | instid1(VALU_DEP_2)
	v_fma_f64 v[7:8], v[43:44], v[1:2], v[9:10]
	v_fma_f64 v[5:6], v[45:46], v[1:2], v[5:6]
	s_delay_alu instid0(VALU_DEP_2) | instskip(NEXT) | instid1(VALU_DEP_2)
	v_fma_f64 v[1:2], -v[45:46], v[3:4], v[7:8]
	v_fma_f64 v[3:4], v[43:44], v[3:4], v[5:6]
	s_branch .LBB230_81
.LBB230_80:                             ;   in Loop: Header=BB230_81 Depth=3
	s_or_b32 exec_lo, exec_lo, s33
	s_xor_b32 s33, s34, -1
	s_delay_alu instid0(SALU_CYCLE_1) | instskip(NEXT) | instid1(SALU_CYCLE_1)
	s_and_b32 s33, exec_lo, s33
	s_or_b32 s31, s33, s31
	s_delay_alu instid0(SALU_CYCLE_1)
	s_and_not1_b32 exec_lo, exec_lo, s31
	s_cbranch_execz .LBB230_18
.LBB230_81:                             ;   Parent Loop BB230_16 Depth=1
                                        ;     Parent Loop BB230_19 Depth=2
                                        ; =>    This Loop Header: Depth=3
                                        ;         Child Loop BB230_87 Depth 4
                                        ;         Child Loop BB230_89 Depth 4
	;; [unrolled: 1-line block ×4, first 2 shown]
	v_lshl_add_u32 v5, v57, 2, 0
	s_mov_b32 s33, exec_lo
                                        ; implicit-def: $sgpr34
	ds_load_b32 v6, v5
	s_waitcnt lgkmcnt(0)
	v_cmpx_ne_u32_e64 v6, v56
	s_xor_b32 s33, exec_lo, s33
	s_cbranch_execz .LBB230_93
; %bb.82:                               ;   in Loop: Header=BB230_81 Depth=3
	s_mov_b32 s35, exec_lo
                                        ; implicit-def: $sgpr34
	v_cmpx_ne_u32_e64 s3, v6
	s_xor_b32 s35, exec_lo, s35
; %bb.83:                               ;   in Loop: Header=BB230_81 Depth=3
	v_add_nc_u32_e32 v5, 1, v57
	s_mov_b32 s34, -1
	s_delay_alu instid0(VALU_DEP_1)
	v_and_b32_e32 v57, 63, v5
                                        ; implicit-def: $vgpr5
; %bb.84:                               ;   in Loop: Header=BB230_81 Depth=3
	s_and_not1_saveexec_b32 s35, s35
	s_cbranch_execz .LBB230_92
; %bb.85:                               ;   in Loop: Header=BB230_81 Depth=3
	v_mov_b32_e32 v6, s3
	s_mov_b32 s37, -1
	s_mov_b32 s36, exec_lo
	ds_cmpstore_rtn_b32 v6, v5, v56, v6
	s_waitcnt lgkmcnt(0)
	v_cmpx_eq_u32_e64 s3, v6
	s_cbranch_execz .LBB230_91
; %bb.86:                               ;   in Loop: Header=BB230_81 Depth=3
	v_mul_lo_u32 v6, v57, 60
	s_mov_b32 s37, 0
	s_delay_alu instid0(VALU_DEP_1)
	v_add_nc_u32_e32 v7, v5, v6
	ds_load_b64 v[5:6], v7 offset:304
.LBB230_87:                             ;   Parent Loop BB230_16 Depth=1
                                        ;     Parent Loop BB230_19 Depth=2
                                        ;       Parent Loop BB230_81 Depth=3
                                        ; =>      This Inner Loop Header: Depth=4
	s_waitcnt lgkmcnt(0)
	v_add_f64 v[8:9], v[5:6], v[1:2]
	ds_cmpstore_rtn_b64 v[8:9], v7, v[8:9], v[5:6] offset:304
	s_waitcnt lgkmcnt(0)
	v_cmp_eq_u64_e32 vcc_lo, v[8:9], v[5:6]
	v_dual_mov_b32 v5, v8 :: v_dual_mov_b32 v6, v9
	s_or_b32 s37, vcc_lo, s37
	s_delay_alu instid0(SALU_CYCLE_1)
	s_and_not1_b32 exec_lo, exec_lo, s37
	s_cbranch_execnz .LBB230_87
; %bb.88:                               ;   in Loop: Header=BB230_81 Depth=3
	s_or_b32 exec_lo, exec_lo, s37
	ds_load_b64 v[5:6], v7 offset:312
	s_mov_b32 s37, 0
.LBB230_89:                             ;   Parent Loop BB230_16 Depth=1
                                        ;     Parent Loop BB230_19 Depth=2
                                        ;       Parent Loop BB230_81 Depth=3
                                        ; =>      This Inner Loop Header: Depth=4
	s_waitcnt lgkmcnt(0)
	v_add_f64 v[8:9], v[5:6], v[3:4]
	ds_cmpstore_rtn_b64 v[8:9], v7, v[8:9], v[5:6] offset:312
	s_waitcnt lgkmcnt(0)
	v_cmp_eq_u64_e32 vcc_lo, v[8:9], v[5:6]
	v_dual_mov_b32 v5, v8 :: v_dual_mov_b32 v6, v9
	s_or_b32 s37, vcc_lo, s37
	s_delay_alu instid0(SALU_CYCLE_1)
	s_and_not1_b32 exec_lo, exec_lo, s37
	s_cbranch_execnz .LBB230_89
; %bb.90:                               ;   in Loop: Header=BB230_81 Depth=3
	s_or_b32 exec_lo, exec_lo, s37
	s_delay_alu instid0(SALU_CYCLE_1)
	s_xor_b32 s37, exec_lo, -1
.LBB230_91:                             ;   in Loop: Header=BB230_81 Depth=3
	s_or_b32 exec_lo, exec_lo, s36
	s_delay_alu instid0(SALU_CYCLE_1) | instskip(SKIP_1) | instid1(SALU_CYCLE_1)
	s_and_not1_b32 s34, s34, exec_lo
	s_and_b32 s36, s37, exec_lo
	s_or_b32 s34, s34, s36
.LBB230_92:                             ;   in Loop: Header=BB230_81 Depth=3
	s_or_b32 exec_lo, exec_lo, s35
	s_delay_alu instid0(SALU_CYCLE_1)
	s_and_b32 s34, s34, exec_lo
                                        ; implicit-def: $vgpr5
.LBB230_93:                             ;   in Loop: Header=BB230_81 Depth=3
	s_and_not1_saveexec_b32 s33, s33
	s_cbranch_execz .LBB230_80
; %bb.94:                               ;   in Loop: Header=BB230_81 Depth=3
	v_mul_lo_u32 v6, v57, 60
	s_mov_b32 s35, 0
	s_delay_alu instid0(VALU_DEP_1)
	v_add_nc_u32_e32 v7, v5, v6
	ds_load_b64 v[5:6], v7 offset:304
.LBB230_95:                             ;   Parent Loop BB230_16 Depth=1
                                        ;     Parent Loop BB230_19 Depth=2
                                        ;       Parent Loop BB230_81 Depth=3
                                        ; =>      This Inner Loop Header: Depth=4
	s_waitcnt lgkmcnt(0)
	v_add_f64 v[8:9], v[5:6], v[1:2]
	ds_cmpstore_rtn_b64 v[8:9], v7, v[8:9], v[5:6] offset:304
	s_waitcnt lgkmcnt(0)
	v_cmp_eq_u64_e32 vcc_lo, v[8:9], v[5:6]
	v_dual_mov_b32 v5, v8 :: v_dual_mov_b32 v6, v9
	s_or_b32 s35, vcc_lo, s35
	s_delay_alu instid0(SALU_CYCLE_1)
	s_and_not1_b32 exec_lo, exec_lo, s35
	s_cbranch_execnz .LBB230_95
; %bb.96:                               ;   in Loop: Header=BB230_81 Depth=3
	s_or_b32 exec_lo, exec_lo, s35
	ds_load_b64 v[5:6], v7 offset:312
	s_mov_b32 s35, 0
.LBB230_97:                             ;   Parent Loop BB230_16 Depth=1
                                        ;     Parent Loop BB230_19 Depth=2
                                        ;       Parent Loop BB230_81 Depth=3
                                        ; =>      This Inner Loop Header: Depth=4
	s_waitcnt lgkmcnt(0)
	v_add_f64 v[8:9], v[5:6], v[3:4]
	ds_cmpstore_rtn_b64 v[8:9], v7, v[8:9], v[5:6] offset:312
	s_waitcnt lgkmcnt(0)
	v_cmp_eq_u64_e32 vcc_lo, v[8:9], v[5:6]
	v_dual_mov_b32 v5, v8 :: v_dual_mov_b32 v6, v9
	s_or_b32 s35, vcc_lo, s35
	s_delay_alu instid0(SALU_CYCLE_1)
	s_and_not1_b32 exec_lo, exec_lo, s35
	s_cbranch_execnz .LBB230_97
; %bb.98:                               ;   in Loop: Header=BB230_81 Depth=3
	s_or_b32 exec_lo, exec_lo, s35
	s_delay_alu instid0(SALU_CYCLE_1)
	s_and_not1_b32 s34, s34, exec_lo
	s_branch .LBB230_80
.LBB230_99:
	s_or_b32 exec_lo, exec_lo, s24
.LBB230_100:
	s_delay_alu instid0(SALU_CYCLE_1)
	s_and_not1_b32 vcc_lo, exec_lo, s23
	s_barrier
	buffer_gl0_inv
	s_cbranch_vccnz .LBB230_185
; %bb.101:
	s_load_b64 s[4:5], s[0:1], 0x70
	s_lshl_b64 s[6:7], s[16:17], 3
	v_sub_co_u32 v1, s8, v0, s15
	s_delay_alu instid0(VALU_DEP_1)
	v_sub_co_ci_u32_e64 v2, null, 0, 0, s8
	s_mov_b32 s11, 0
	s_mov_b32 s10, exec_lo
	s_waitcnt lgkmcnt(0)
	s_add_u32 s4, s4, s6
	s_addc_u32 s5, s5, s7
	s_load_b128 s[4:7], s[4:5], 0x0
	s_waitcnt lgkmcnt(0)
	v_add_co_u32 v13, vcc_lo, s4, v1
	v_add_co_ci_u32_e32 v14, vcc_lo, s5, v2, vcc_lo
	s_sub_u32 s8, s6, s15
	s_subb_u32 s9, s7, 0
	s_delay_alu instid0(VALU_DEP_1) | instid1(SALU_CYCLE_1)
	v_cmpx_gt_i64_e64 s[8:9], v[13:14]
	s_cbranch_execz .LBB230_184
; %bb.102:
	s_load_b128 s[4:7], s[0:1], 0x78
	s_cmp_eq_u32 s22, 0
	s_cselect_b32 s12, 1, 2
	s_cselect_b32 s13, 2, 1
	s_branch .LBB230_104
.LBB230_103:                            ;   in Loop: Header=BB230_104 Depth=1
	s_or_b32 exec_lo, exec_lo, s18
	v_add_co_u32 v13, vcc_lo, 0x100, v13
	v_add_co_ci_u32_e32 v14, vcc_lo, 0, v14, vcc_lo
	s_delay_alu instid0(VALU_DEP_1) | instskip(SKIP_1) | instid1(SALU_CYCLE_1)
	v_cmp_le_i64_e32 vcc_lo, s[8:9], v[13:14]
	s_or_b32 s11, vcc_lo, s11
	s_and_not1_b32 exec_lo, exec_lo, s11
	s_cbranch_execz .LBB230_184
.LBB230_104:                            ; =>This Loop Header: Depth=1
                                        ;     Child Loop BB230_106 Depth 2
                                        ;       Child Loop BB230_112 Depth 3
                                        ;       Child Loop BB230_114 Depth 3
                                        ;       Child Loop BB230_120 Depth 3
                                        ;       Child Loop BB230_122 Depth 3
                                        ;     Child Loop BB230_126 Depth 2
                                        ;       Child Loop BB230_132 Depth 3
                                        ;       Child Loop BB230_134 Depth 3
                                        ;       Child Loop BB230_140 Depth 3
                                        ;       Child Loop BB230_142 Depth 3
	;; [unrolled: 5-line block ×4, first 2 shown]
	v_lshlrev_b64 v[1:2], 6, v[13:14]
	v_lshlrev_b64 v[3:4], 2, v[13:14]
	s_mov_b32 s18, 0
	s_waitcnt lgkmcnt(0)
	s_delay_alu instid0(VALU_DEP_2) | instskip(NEXT) | instid1(VALU_DEP_3)
	v_add_co_u32 v1, vcc_lo, s6, v1
	v_add_co_ci_u32_e32 v2, vcc_lo, s7, v2, vcc_lo
	s_delay_alu instid0(VALU_DEP_3)
	v_add_co_u32 v5, vcc_lo, s4, v3
	v_add_co_ci_u32_e32 v6, vcc_lo, s5, v4, vcc_lo
	global_load_b128 v[21:24], v[1:2], off
	v_or_b32_e32 v8, 0, v4
	v_or_b32_e32 v7, s12, v3
	global_load_b32 v25, v[5:6], off
	v_or_b32_e32 v4, 0, v4
	v_or_b32_e32 v3, s13, v3
	v_lshlrev_b64 v[5:6], 4, v[7:8]
	s_delay_alu instid0(VALU_DEP_2) | instskip(NEXT) | instid1(VALU_DEP_2)
	v_lshlrev_b64 v[3:4], 4, v[3:4]
	v_add_co_u32 v5, vcc_lo, s6, v5
	s_delay_alu instid0(VALU_DEP_3) | instskip(NEXT) | instid1(VALU_DEP_3)
	v_add_co_ci_u32_e32 v6, vcc_lo, s7, v6, vcc_lo
	v_add_co_u32 v7, vcc_lo, s6, v3
	s_delay_alu instid0(VALU_DEP_4)
	v_add_co_ci_u32_e32 v8, vcc_lo, s7, v4, vcc_lo
	s_clause 0x2
	global_load_b128 v[1:4], v[1:2], off offset:48
	global_load_b128 v[9:12], v[5:6], off
	global_load_b128 v[5:8], v[7:8], off
	s_waitcnt vmcnt(4)
	v_mul_f64 v[15:16], v[23:24], -v[17:18]
	v_mul_f64 v[23:24], v[19:20], v[23:24]
	s_waitcnt vmcnt(3)
	v_subrev_nc_u32_e32 v25, s15, v25
	s_delay_alu instid0(VALU_DEP_3) | instskip(NEXT) | instid1(VALU_DEP_3)
	v_fma_f64 v[15:16], v[19:20], v[21:22], v[15:16]
	v_fma_f64 v[21:22], v[17:18], v[21:22], v[23:24]
	s_delay_alu instid0(VALU_DEP_3) | instskip(NEXT) | instid1(VALU_DEP_1)
	v_lshl_add_u32 v23, v25, 3, v25
	v_and_b32_e32 v26, 63, v23
	s_delay_alu instid0(VALU_DEP_1)
	v_mov_b32_e32 v27, v26
	s_branch .LBB230_106
.LBB230_105:                            ;   in Loop: Header=BB230_106 Depth=2
	s_or_b32 exec_lo, exec_lo, s19
	s_xor_b32 s19, s20, -1
	s_delay_alu instid0(SALU_CYCLE_1) | instskip(NEXT) | instid1(SALU_CYCLE_1)
	s_and_b32 s19, exec_lo, s19
	s_or_b32 s18, s19, s18
	s_delay_alu instid0(SALU_CYCLE_1)
	s_and_not1_b32 exec_lo, exec_lo, s18
	s_cbranch_execz .LBB230_124
.LBB230_106:                            ;   Parent Loop BB230_104 Depth=1
                                        ; =>  This Loop Header: Depth=2
                                        ;       Child Loop BB230_112 Depth 3
                                        ;       Child Loop BB230_114 Depth 3
	;; [unrolled: 1-line block ×4, first 2 shown]
	s_delay_alu instid0(VALU_DEP_1)
	v_lshl_add_u32 v23, v27, 2, 0
	s_mov_b32 s19, exec_lo
                                        ; implicit-def: $sgpr20
	ds_load_b32 v24, v23
	s_waitcnt lgkmcnt(0)
	v_cmpx_ne_u32_e64 v24, v25
	s_xor_b32 s19, exec_lo, s19
	s_cbranch_execz .LBB230_118
; %bb.107:                              ;   in Loop: Header=BB230_106 Depth=2
	s_mov_b32 s21, exec_lo
                                        ; implicit-def: $sgpr20
	v_cmpx_ne_u32_e64 s3, v24
	s_xor_b32 s21, exec_lo, s21
; %bb.108:                              ;   in Loop: Header=BB230_106 Depth=2
	v_add_nc_u32_e32 v23, 1, v27
	s_mov_b32 s20, -1
	s_delay_alu instid0(VALU_DEP_1)
	v_and_b32_e32 v27, 63, v23
                                        ; implicit-def: $vgpr23
; %bb.109:                              ;   in Loop: Header=BB230_106 Depth=2
	s_and_not1_saveexec_b32 s21, s21
	s_cbranch_execz .LBB230_117
; %bb.110:                              ;   in Loop: Header=BB230_106 Depth=2
	v_mov_b32_e32 v24, s3
	s_mov_b32 s24, -1
	s_mov_b32 s23, exec_lo
	ds_cmpstore_rtn_b32 v24, v23, v25, v24
	s_waitcnt lgkmcnt(0)
	v_cmpx_eq_u32_e64 s3, v24
	s_cbranch_execz .LBB230_116
; %bb.111:                              ;   in Loop: Header=BB230_106 Depth=2
	v_mul_lo_u32 v24, v27, 60
	s_mov_b32 s24, 0
	s_delay_alu instid0(VALU_DEP_1)
	v_add_nc_u32_e32 v28, v23, v24
	ds_load_b64 v[23:24], v28 offset:256
.LBB230_112:                            ;   Parent Loop BB230_104 Depth=1
                                        ;     Parent Loop BB230_106 Depth=2
                                        ; =>    This Inner Loop Header: Depth=3
	s_waitcnt lgkmcnt(0)
	v_add_f64 v[29:30], v[23:24], v[15:16]
	ds_cmpstore_rtn_b64 v[29:30], v28, v[29:30], v[23:24] offset:256
	s_waitcnt lgkmcnt(0)
	v_cmp_eq_u64_e32 vcc_lo, v[29:30], v[23:24]
	v_dual_mov_b32 v23, v29 :: v_dual_mov_b32 v24, v30
	s_or_b32 s24, vcc_lo, s24
	s_delay_alu instid0(SALU_CYCLE_1)
	s_and_not1_b32 exec_lo, exec_lo, s24
	s_cbranch_execnz .LBB230_112
; %bb.113:                              ;   in Loop: Header=BB230_106 Depth=2
	s_or_b32 exec_lo, exec_lo, s24
	ds_load_b64 v[23:24], v28 offset:264
	s_mov_b32 s24, 0
.LBB230_114:                            ;   Parent Loop BB230_104 Depth=1
                                        ;     Parent Loop BB230_106 Depth=2
                                        ; =>    This Inner Loop Header: Depth=3
	s_waitcnt lgkmcnt(0)
	v_add_f64 v[29:30], v[23:24], v[21:22]
	ds_cmpstore_rtn_b64 v[29:30], v28, v[29:30], v[23:24] offset:264
	s_waitcnt lgkmcnt(0)
	v_cmp_eq_u64_e32 vcc_lo, v[29:30], v[23:24]
	v_dual_mov_b32 v23, v29 :: v_dual_mov_b32 v24, v30
	s_or_b32 s24, vcc_lo, s24
	s_delay_alu instid0(SALU_CYCLE_1)
	s_and_not1_b32 exec_lo, exec_lo, s24
	s_cbranch_execnz .LBB230_114
; %bb.115:                              ;   in Loop: Header=BB230_106 Depth=2
	s_or_b32 exec_lo, exec_lo, s24
	s_delay_alu instid0(SALU_CYCLE_1)
	s_xor_b32 s24, exec_lo, -1
.LBB230_116:                            ;   in Loop: Header=BB230_106 Depth=2
	s_or_b32 exec_lo, exec_lo, s23
	s_delay_alu instid0(SALU_CYCLE_1) | instskip(SKIP_1) | instid1(SALU_CYCLE_1)
	s_and_not1_b32 s20, s20, exec_lo
	s_and_b32 s23, s24, exec_lo
	s_or_b32 s20, s20, s23
.LBB230_117:                            ;   in Loop: Header=BB230_106 Depth=2
	s_or_b32 exec_lo, exec_lo, s21
	s_delay_alu instid0(SALU_CYCLE_1)
	s_and_b32 s20, s20, exec_lo
                                        ; implicit-def: $vgpr23
.LBB230_118:                            ;   in Loop: Header=BB230_106 Depth=2
	s_and_not1_saveexec_b32 s19, s19
	s_cbranch_execz .LBB230_105
; %bb.119:                              ;   in Loop: Header=BB230_106 Depth=2
	v_mul_lo_u32 v24, v27, 60
	s_mov_b32 s21, 0
	s_delay_alu instid0(VALU_DEP_1)
	v_add_nc_u32_e32 v28, v23, v24
	ds_load_b64 v[23:24], v28 offset:256
.LBB230_120:                            ;   Parent Loop BB230_104 Depth=1
                                        ;     Parent Loop BB230_106 Depth=2
                                        ; =>    This Inner Loop Header: Depth=3
	s_waitcnt lgkmcnt(0)
	v_add_f64 v[29:30], v[23:24], v[15:16]
	ds_cmpstore_rtn_b64 v[29:30], v28, v[29:30], v[23:24] offset:256
	s_waitcnt lgkmcnt(0)
	v_cmp_eq_u64_e32 vcc_lo, v[29:30], v[23:24]
	v_dual_mov_b32 v23, v29 :: v_dual_mov_b32 v24, v30
	s_or_b32 s21, vcc_lo, s21
	s_delay_alu instid0(SALU_CYCLE_1)
	s_and_not1_b32 exec_lo, exec_lo, s21
	s_cbranch_execnz .LBB230_120
; %bb.121:                              ;   in Loop: Header=BB230_106 Depth=2
	s_or_b32 exec_lo, exec_lo, s21
	ds_load_b64 v[23:24], v28 offset:264
	s_mov_b32 s21, 0
.LBB230_122:                            ;   Parent Loop BB230_104 Depth=1
                                        ;     Parent Loop BB230_106 Depth=2
                                        ; =>    This Inner Loop Header: Depth=3
	s_waitcnt lgkmcnt(0)
	v_add_f64 v[29:30], v[23:24], v[21:22]
	ds_cmpstore_rtn_b64 v[29:30], v28, v[29:30], v[23:24] offset:264
	s_waitcnt lgkmcnt(0)
	v_cmp_eq_u64_e32 vcc_lo, v[29:30], v[23:24]
	v_dual_mov_b32 v23, v29 :: v_dual_mov_b32 v24, v30
	s_or_b32 s21, vcc_lo, s21
	s_delay_alu instid0(SALU_CYCLE_1)
	s_and_not1_b32 exec_lo, exec_lo, s21
	s_cbranch_execnz .LBB230_122
; %bb.123:                              ;   in Loop: Header=BB230_106 Depth=2
	s_or_b32 exec_lo, exec_lo, s21
	s_delay_alu instid0(SALU_CYCLE_1)
	s_and_not1_b32 s20, s20, exec_lo
	s_branch .LBB230_105
.LBB230_124:                            ;   in Loop: Header=BB230_104 Depth=1
	s_or_b32 exec_lo, exec_lo, s18
	s_waitcnt vmcnt(1)
	v_mul_f64 v[15:16], v[11:12], -v[17:18]
	v_mul_f64 v[21:22], v[19:20], v[11:12]
	s_mov_b32 s18, 0
	s_delay_alu instid0(VALU_DEP_2) | instskip(NEXT) | instid1(VALU_DEP_2)
	v_fma_f64 v[11:12], v[19:20], v[9:10], v[15:16]
	v_fma_f64 v[9:10], v[17:18], v[9:10], v[21:22]
	v_mov_b32_e32 v21, v26
	s_branch .LBB230_126
.LBB230_125:                            ;   in Loop: Header=BB230_126 Depth=2
	s_or_b32 exec_lo, exec_lo, s19
	s_xor_b32 s19, s20, -1
	s_delay_alu instid0(SALU_CYCLE_1) | instskip(NEXT) | instid1(SALU_CYCLE_1)
	s_and_b32 s19, exec_lo, s19
	s_or_b32 s18, s19, s18
	s_delay_alu instid0(SALU_CYCLE_1)
	s_and_not1_b32 exec_lo, exec_lo, s18
	s_cbranch_execz .LBB230_144
.LBB230_126:                            ;   Parent Loop BB230_104 Depth=1
                                        ; =>  This Loop Header: Depth=2
                                        ;       Child Loop BB230_132 Depth 3
                                        ;       Child Loop BB230_134 Depth 3
	;; [unrolled: 1-line block ×4, first 2 shown]
	s_delay_alu instid0(VALU_DEP_1)
	v_lshl_add_u32 v15, v21, 2, 0
	s_mov_b32 s19, exec_lo
                                        ; implicit-def: $sgpr20
	ds_load_b32 v16, v15
	s_waitcnt lgkmcnt(0)
	v_cmpx_ne_u32_e64 v16, v25
	s_xor_b32 s19, exec_lo, s19
	s_cbranch_execz .LBB230_138
; %bb.127:                              ;   in Loop: Header=BB230_126 Depth=2
	s_mov_b32 s21, exec_lo
                                        ; implicit-def: $sgpr20
	v_cmpx_ne_u32_e64 s3, v16
	s_xor_b32 s21, exec_lo, s21
; %bb.128:                              ;   in Loop: Header=BB230_126 Depth=2
	v_add_nc_u32_e32 v15, 1, v21
	s_mov_b32 s20, -1
	s_delay_alu instid0(VALU_DEP_1)
	v_and_b32_e32 v21, 63, v15
                                        ; implicit-def: $vgpr15
; %bb.129:                              ;   in Loop: Header=BB230_126 Depth=2
	s_and_not1_saveexec_b32 s21, s21
	s_cbranch_execz .LBB230_137
; %bb.130:                              ;   in Loop: Header=BB230_126 Depth=2
	v_mov_b32_e32 v16, s3
	s_mov_b32 s24, -1
	s_mov_b32 s23, exec_lo
	ds_cmpstore_rtn_b32 v16, v15, v25, v16
	s_waitcnt lgkmcnt(0)
	v_cmpx_eq_u32_e64 s3, v16
	s_cbranch_execz .LBB230_136
; %bb.131:                              ;   in Loop: Header=BB230_126 Depth=2
	v_mul_lo_u32 v16, v21, 60
	s_mov_b32 s24, 0
	s_delay_alu instid0(VALU_DEP_1)
	v_add_nc_u32_e32 v22, v15, v16
	ds_load_b64 v[15:16], v22 offset:272
.LBB230_132:                            ;   Parent Loop BB230_104 Depth=1
                                        ;     Parent Loop BB230_126 Depth=2
                                        ; =>    This Inner Loop Header: Depth=3
	s_waitcnt lgkmcnt(0)
	v_add_f64 v[23:24], v[15:16], v[11:12]
	ds_cmpstore_rtn_b64 v[23:24], v22, v[23:24], v[15:16] offset:272
	s_waitcnt lgkmcnt(0)
	v_cmp_eq_u64_e32 vcc_lo, v[23:24], v[15:16]
	v_dual_mov_b32 v15, v23 :: v_dual_mov_b32 v16, v24
	s_or_b32 s24, vcc_lo, s24
	s_delay_alu instid0(SALU_CYCLE_1)
	s_and_not1_b32 exec_lo, exec_lo, s24
	s_cbranch_execnz .LBB230_132
; %bb.133:                              ;   in Loop: Header=BB230_126 Depth=2
	s_or_b32 exec_lo, exec_lo, s24
	ds_load_b64 v[15:16], v22 offset:280
	s_mov_b32 s24, 0
.LBB230_134:                            ;   Parent Loop BB230_104 Depth=1
                                        ;     Parent Loop BB230_126 Depth=2
                                        ; =>    This Inner Loop Header: Depth=3
	s_waitcnt lgkmcnt(0)
	v_add_f64 v[23:24], v[15:16], v[9:10]
	ds_cmpstore_rtn_b64 v[23:24], v22, v[23:24], v[15:16] offset:280
	s_waitcnt lgkmcnt(0)
	v_cmp_eq_u64_e32 vcc_lo, v[23:24], v[15:16]
	v_dual_mov_b32 v15, v23 :: v_dual_mov_b32 v16, v24
	s_or_b32 s24, vcc_lo, s24
	s_delay_alu instid0(SALU_CYCLE_1)
	s_and_not1_b32 exec_lo, exec_lo, s24
	s_cbranch_execnz .LBB230_134
; %bb.135:                              ;   in Loop: Header=BB230_126 Depth=2
	s_or_b32 exec_lo, exec_lo, s24
	s_delay_alu instid0(SALU_CYCLE_1)
	s_xor_b32 s24, exec_lo, -1
.LBB230_136:                            ;   in Loop: Header=BB230_126 Depth=2
	s_or_b32 exec_lo, exec_lo, s23
	s_delay_alu instid0(SALU_CYCLE_1) | instskip(SKIP_1) | instid1(SALU_CYCLE_1)
	s_and_not1_b32 s20, s20, exec_lo
	s_and_b32 s23, s24, exec_lo
	s_or_b32 s20, s20, s23
.LBB230_137:                            ;   in Loop: Header=BB230_126 Depth=2
	s_or_b32 exec_lo, exec_lo, s21
	s_delay_alu instid0(SALU_CYCLE_1)
	s_and_b32 s20, s20, exec_lo
                                        ; implicit-def: $vgpr15
.LBB230_138:                            ;   in Loop: Header=BB230_126 Depth=2
	s_and_not1_saveexec_b32 s19, s19
	s_cbranch_execz .LBB230_125
; %bb.139:                              ;   in Loop: Header=BB230_126 Depth=2
	v_mul_lo_u32 v16, v21, 60
	s_mov_b32 s21, 0
	s_delay_alu instid0(VALU_DEP_1)
	v_add_nc_u32_e32 v22, v15, v16
	ds_load_b64 v[15:16], v22 offset:272
.LBB230_140:                            ;   Parent Loop BB230_104 Depth=1
                                        ;     Parent Loop BB230_126 Depth=2
                                        ; =>    This Inner Loop Header: Depth=3
	s_waitcnt lgkmcnt(0)
	v_add_f64 v[23:24], v[15:16], v[11:12]
	ds_cmpstore_rtn_b64 v[23:24], v22, v[23:24], v[15:16] offset:272
	s_waitcnt lgkmcnt(0)
	v_cmp_eq_u64_e32 vcc_lo, v[23:24], v[15:16]
	v_dual_mov_b32 v15, v23 :: v_dual_mov_b32 v16, v24
	s_or_b32 s21, vcc_lo, s21
	s_delay_alu instid0(SALU_CYCLE_1)
	s_and_not1_b32 exec_lo, exec_lo, s21
	s_cbranch_execnz .LBB230_140
; %bb.141:                              ;   in Loop: Header=BB230_126 Depth=2
	s_or_b32 exec_lo, exec_lo, s21
	ds_load_b64 v[15:16], v22 offset:280
	s_mov_b32 s21, 0
.LBB230_142:                            ;   Parent Loop BB230_104 Depth=1
                                        ;     Parent Loop BB230_126 Depth=2
                                        ; =>    This Inner Loop Header: Depth=3
	s_waitcnt lgkmcnt(0)
	v_add_f64 v[23:24], v[15:16], v[9:10]
	ds_cmpstore_rtn_b64 v[23:24], v22, v[23:24], v[15:16] offset:280
	s_waitcnt lgkmcnt(0)
	v_cmp_eq_u64_e32 vcc_lo, v[23:24], v[15:16]
	v_dual_mov_b32 v15, v23 :: v_dual_mov_b32 v16, v24
	s_or_b32 s21, vcc_lo, s21
	s_delay_alu instid0(SALU_CYCLE_1)
	s_and_not1_b32 exec_lo, exec_lo, s21
	s_cbranch_execnz .LBB230_142
; %bb.143:                              ;   in Loop: Header=BB230_126 Depth=2
	s_or_b32 exec_lo, exec_lo, s21
	s_delay_alu instid0(SALU_CYCLE_1)
	s_and_not1_b32 s20, s20, exec_lo
	s_branch .LBB230_125
.LBB230_144:                            ;   in Loop: Header=BB230_104 Depth=1
	s_or_b32 exec_lo, exec_lo, s18
	s_waitcnt vmcnt(0)
	v_mul_f64 v[9:10], v[7:8], -v[17:18]
	v_mul_f64 v[11:12], v[19:20], v[7:8]
	s_mov_b32 s18, 0
	s_delay_alu instid0(VALU_DEP_2) | instskip(NEXT) | instid1(VALU_DEP_2)
	v_fma_f64 v[7:8], v[19:20], v[5:6], v[9:10]
	v_fma_f64 v[5:6], v[17:18], v[5:6], v[11:12]
	v_mov_b32_e32 v11, v26
	s_branch .LBB230_146
.LBB230_145:                            ;   in Loop: Header=BB230_146 Depth=2
	s_or_b32 exec_lo, exec_lo, s19
	s_xor_b32 s19, s20, -1
	s_delay_alu instid0(SALU_CYCLE_1) | instskip(NEXT) | instid1(SALU_CYCLE_1)
	s_and_b32 s19, exec_lo, s19
	s_or_b32 s18, s19, s18
	s_delay_alu instid0(SALU_CYCLE_1)
	s_and_not1_b32 exec_lo, exec_lo, s18
	s_cbranch_execz .LBB230_164
.LBB230_146:                            ;   Parent Loop BB230_104 Depth=1
                                        ; =>  This Loop Header: Depth=2
                                        ;       Child Loop BB230_152 Depth 3
                                        ;       Child Loop BB230_154 Depth 3
                                        ;       Child Loop BB230_160 Depth 3
                                        ;       Child Loop BB230_162 Depth 3
	s_delay_alu instid0(VALU_DEP_1)
	v_lshl_add_u32 v9, v11, 2, 0
	s_mov_b32 s19, exec_lo
                                        ; implicit-def: $sgpr20
	ds_load_b32 v10, v9
	s_waitcnt lgkmcnt(0)
	v_cmpx_ne_u32_e64 v10, v25
	s_xor_b32 s19, exec_lo, s19
	s_cbranch_execz .LBB230_158
; %bb.147:                              ;   in Loop: Header=BB230_146 Depth=2
	s_mov_b32 s21, exec_lo
                                        ; implicit-def: $sgpr20
	v_cmpx_ne_u32_e64 s3, v10
	s_xor_b32 s21, exec_lo, s21
; %bb.148:                              ;   in Loop: Header=BB230_146 Depth=2
	v_add_nc_u32_e32 v9, 1, v11
	s_mov_b32 s20, -1
	s_delay_alu instid0(VALU_DEP_1)
	v_and_b32_e32 v11, 63, v9
                                        ; implicit-def: $vgpr9
; %bb.149:                              ;   in Loop: Header=BB230_146 Depth=2
	s_and_not1_saveexec_b32 s21, s21
	s_cbranch_execz .LBB230_157
; %bb.150:                              ;   in Loop: Header=BB230_146 Depth=2
	v_mov_b32_e32 v10, s3
	s_mov_b32 s24, -1
	s_mov_b32 s23, exec_lo
	ds_cmpstore_rtn_b32 v10, v9, v25, v10
	s_waitcnt lgkmcnt(0)
	v_cmpx_eq_u32_e64 s3, v10
	s_cbranch_execz .LBB230_156
; %bb.151:                              ;   in Loop: Header=BB230_146 Depth=2
	v_mul_lo_u32 v10, v11, 60
	s_mov_b32 s24, 0
	s_delay_alu instid0(VALU_DEP_1)
	v_add_nc_u32_e32 v12, v9, v10
	ds_load_b64 v[9:10], v12 offset:288
.LBB230_152:                            ;   Parent Loop BB230_104 Depth=1
                                        ;     Parent Loop BB230_146 Depth=2
                                        ; =>    This Inner Loop Header: Depth=3
	s_waitcnt lgkmcnt(0)
	v_add_f64 v[15:16], v[9:10], v[7:8]
	ds_cmpstore_rtn_b64 v[15:16], v12, v[15:16], v[9:10] offset:288
	s_waitcnt lgkmcnt(0)
	v_cmp_eq_u64_e32 vcc_lo, v[15:16], v[9:10]
	v_dual_mov_b32 v9, v15 :: v_dual_mov_b32 v10, v16
	s_or_b32 s24, vcc_lo, s24
	s_delay_alu instid0(SALU_CYCLE_1)
	s_and_not1_b32 exec_lo, exec_lo, s24
	s_cbranch_execnz .LBB230_152
; %bb.153:                              ;   in Loop: Header=BB230_146 Depth=2
	s_or_b32 exec_lo, exec_lo, s24
	ds_load_b64 v[9:10], v12 offset:296
	s_mov_b32 s24, 0
.LBB230_154:                            ;   Parent Loop BB230_104 Depth=1
                                        ;     Parent Loop BB230_146 Depth=2
                                        ; =>    This Inner Loop Header: Depth=3
	s_waitcnt lgkmcnt(0)
	v_add_f64 v[15:16], v[9:10], v[5:6]
	ds_cmpstore_rtn_b64 v[15:16], v12, v[15:16], v[9:10] offset:296
	s_waitcnt lgkmcnt(0)
	v_cmp_eq_u64_e32 vcc_lo, v[15:16], v[9:10]
	v_dual_mov_b32 v9, v15 :: v_dual_mov_b32 v10, v16
	s_or_b32 s24, vcc_lo, s24
	s_delay_alu instid0(SALU_CYCLE_1)
	s_and_not1_b32 exec_lo, exec_lo, s24
	s_cbranch_execnz .LBB230_154
; %bb.155:                              ;   in Loop: Header=BB230_146 Depth=2
	s_or_b32 exec_lo, exec_lo, s24
	s_delay_alu instid0(SALU_CYCLE_1)
	s_xor_b32 s24, exec_lo, -1
.LBB230_156:                            ;   in Loop: Header=BB230_146 Depth=2
	s_or_b32 exec_lo, exec_lo, s23
	s_delay_alu instid0(SALU_CYCLE_1) | instskip(SKIP_1) | instid1(SALU_CYCLE_1)
	s_and_not1_b32 s20, s20, exec_lo
	s_and_b32 s23, s24, exec_lo
	s_or_b32 s20, s20, s23
.LBB230_157:                            ;   in Loop: Header=BB230_146 Depth=2
	s_or_b32 exec_lo, exec_lo, s21
	s_delay_alu instid0(SALU_CYCLE_1)
	s_and_b32 s20, s20, exec_lo
                                        ; implicit-def: $vgpr9
.LBB230_158:                            ;   in Loop: Header=BB230_146 Depth=2
	s_and_not1_saveexec_b32 s19, s19
	s_cbranch_execz .LBB230_145
; %bb.159:                              ;   in Loop: Header=BB230_146 Depth=2
	v_mul_lo_u32 v10, v11, 60
	s_mov_b32 s21, 0
	s_delay_alu instid0(VALU_DEP_1)
	v_add_nc_u32_e32 v12, v9, v10
	ds_load_b64 v[9:10], v12 offset:288
.LBB230_160:                            ;   Parent Loop BB230_104 Depth=1
                                        ;     Parent Loop BB230_146 Depth=2
                                        ; =>    This Inner Loop Header: Depth=3
	s_waitcnt lgkmcnt(0)
	v_add_f64 v[15:16], v[9:10], v[7:8]
	ds_cmpstore_rtn_b64 v[15:16], v12, v[15:16], v[9:10] offset:288
	s_waitcnt lgkmcnt(0)
	v_cmp_eq_u64_e32 vcc_lo, v[15:16], v[9:10]
	v_dual_mov_b32 v9, v15 :: v_dual_mov_b32 v10, v16
	s_or_b32 s21, vcc_lo, s21
	s_delay_alu instid0(SALU_CYCLE_1)
	s_and_not1_b32 exec_lo, exec_lo, s21
	s_cbranch_execnz .LBB230_160
; %bb.161:                              ;   in Loop: Header=BB230_146 Depth=2
	s_or_b32 exec_lo, exec_lo, s21
	ds_load_b64 v[9:10], v12 offset:296
	s_mov_b32 s21, 0
.LBB230_162:                            ;   Parent Loop BB230_104 Depth=1
                                        ;     Parent Loop BB230_146 Depth=2
                                        ; =>    This Inner Loop Header: Depth=3
	s_waitcnt lgkmcnt(0)
	v_add_f64 v[15:16], v[9:10], v[5:6]
	ds_cmpstore_rtn_b64 v[15:16], v12, v[15:16], v[9:10] offset:296
	s_waitcnt lgkmcnt(0)
	v_cmp_eq_u64_e32 vcc_lo, v[15:16], v[9:10]
	v_dual_mov_b32 v9, v15 :: v_dual_mov_b32 v10, v16
	s_or_b32 s21, vcc_lo, s21
	s_delay_alu instid0(SALU_CYCLE_1)
	s_and_not1_b32 exec_lo, exec_lo, s21
	s_cbranch_execnz .LBB230_162
; %bb.163:                              ;   in Loop: Header=BB230_146 Depth=2
	s_or_b32 exec_lo, exec_lo, s21
	s_delay_alu instid0(SALU_CYCLE_1)
	s_and_not1_b32 s20, s20, exec_lo
	s_branch .LBB230_145
.LBB230_164:                            ;   in Loop: Header=BB230_104 Depth=1
	s_or_b32 exec_lo, exec_lo, s18
	v_mul_f64 v[5:6], v[3:4], -v[17:18]
	v_mul_f64 v[7:8], v[19:20], v[3:4]
	s_mov_b32 s18, 0
	s_delay_alu instid0(VALU_DEP_2) | instskip(NEXT) | instid1(VALU_DEP_2)
	v_fma_f64 v[3:4], v[19:20], v[1:2], v[5:6]
	v_fma_f64 v[1:2], v[17:18], v[1:2], v[7:8]
	s_branch .LBB230_166
.LBB230_165:                            ;   in Loop: Header=BB230_166 Depth=2
	s_or_b32 exec_lo, exec_lo, s19
	s_xor_b32 s19, s20, -1
	s_delay_alu instid0(SALU_CYCLE_1) | instskip(NEXT) | instid1(SALU_CYCLE_1)
	s_and_b32 s19, exec_lo, s19
	s_or_b32 s18, s19, s18
	s_delay_alu instid0(SALU_CYCLE_1)
	s_and_not1_b32 exec_lo, exec_lo, s18
	s_cbranch_execz .LBB230_103
.LBB230_166:                            ;   Parent Loop BB230_104 Depth=1
                                        ; =>  This Loop Header: Depth=2
                                        ;       Child Loop BB230_172 Depth 3
                                        ;       Child Loop BB230_174 Depth 3
                                        ;       Child Loop BB230_180 Depth 3
                                        ;       Child Loop BB230_182 Depth 3
	v_lshl_add_u32 v5, v26, 2, 0
	s_mov_b32 s19, exec_lo
                                        ; implicit-def: $sgpr20
	ds_load_b32 v6, v5
	s_waitcnt lgkmcnt(0)
	v_cmpx_ne_u32_e64 v6, v25
	s_xor_b32 s19, exec_lo, s19
	s_cbranch_execz .LBB230_178
; %bb.167:                              ;   in Loop: Header=BB230_166 Depth=2
	s_mov_b32 s21, exec_lo
                                        ; implicit-def: $sgpr20
	v_cmpx_ne_u32_e64 s3, v6
	s_xor_b32 s21, exec_lo, s21
; %bb.168:                              ;   in Loop: Header=BB230_166 Depth=2
	v_add_nc_u32_e32 v5, 1, v26
	s_mov_b32 s20, -1
	s_delay_alu instid0(VALU_DEP_1)
	v_and_b32_e32 v26, 63, v5
                                        ; implicit-def: $vgpr5
; %bb.169:                              ;   in Loop: Header=BB230_166 Depth=2
	s_and_not1_saveexec_b32 s21, s21
	s_cbranch_execz .LBB230_177
; %bb.170:                              ;   in Loop: Header=BB230_166 Depth=2
	v_mov_b32_e32 v6, s3
	s_mov_b32 s24, -1
	s_mov_b32 s23, exec_lo
	ds_cmpstore_rtn_b32 v6, v5, v25, v6
	s_waitcnt lgkmcnt(0)
	v_cmpx_eq_u32_e64 s3, v6
	s_cbranch_execz .LBB230_176
; %bb.171:                              ;   in Loop: Header=BB230_166 Depth=2
	v_mul_lo_u32 v6, v26, 60
	s_mov_b32 s24, 0
	s_delay_alu instid0(VALU_DEP_1)
	v_add_nc_u32_e32 v7, v5, v6
	ds_load_b64 v[5:6], v7 offset:304
.LBB230_172:                            ;   Parent Loop BB230_104 Depth=1
                                        ;     Parent Loop BB230_166 Depth=2
                                        ; =>    This Inner Loop Header: Depth=3
	s_waitcnt lgkmcnt(0)
	v_add_f64 v[8:9], v[5:6], v[3:4]
	ds_cmpstore_rtn_b64 v[8:9], v7, v[8:9], v[5:6] offset:304
	s_waitcnt lgkmcnt(0)
	v_cmp_eq_u64_e32 vcc_lo, v[8:9], v[5:6]
	v_dual_mov_b32 v5, v8 :: v_dual_mov_b32 v6, v9
	s_or_b32 s24, vcc_lo, s24
	s_delay_alu instid0(SALU_CYCLE_1)
	s_and_not1_b32 exec_lo, exec_lo, s24
	s_cbranch_execnz .LBB230_172
; %bb.173:                              ;   in Loop: Header=BB230_166 Depth=2
	s_or_b32 exec_lo, exec_lo, s24
	ds_load_b64 v[5:6], v7 offset:312
	s_mov_b32 s24, 0
.LBB230_174:                            ;   Parent Loop BB230_104 Depth=1
                                        ;     Parent Loop BB230_166 Depth=2
                                        ; =>    This Inner Loop Header: Depth=3
	s_waitcnt lgkmcnt(0)
	v_add_f64 v[8:9], v[5:6], v[1:2]
	ds_cmpstore_rtn_b64 v[8:9], v7, v[8:9], v[5:6] offset:312
	s_waitcnt lgkmcnt(0)
	v_cmp_eq_u64_e32 vcc_lo, v[8:9], v[5:6]
	v_dual_mov_b32 v5, v8 :: v_dual_mov_b32 v6, v9
	s_or_b32 s24, vcc_lo, s24
	s_delay_alu instid0(SALU_CYCLE_1)
	s_and_not1_b32 exec_lo, exec_lo, s24
	s_cbranch_execnz .LBB230_174
; %bb.175:                              ;   in Loop: Header=BB230_166 Depth=2
	s_or_b32 exec_lo, exec_lo, s24
	s_delay_alu instid0(SALU_CYCLE_1)
	s_xor_b32 s24, exec_lo, -1
.LBB230_176:                            ;   in Loop: Header=BB230_166 Depth=2
	s_or_b32 exec_lo, exec_lo, s23
	s_delay_alu instid0(SALU_CYCLE_1) | instskip(SKIP_1) | instid1(SALU_CYCLE_1)
	s_and_not1_b32 s20, s20, exec_lo
	s_and_b32 s23, s24, exec_lo
	s_or_b32 s20, s20, s23
.LBB230_177:                            ;   in Loop: Header=BB230_166 Depth=2
	s_or_b32 exec_lo, exec_lo, s21
	s_delay_alu instid0(SALU_CYCLE_1)
	s_and_b32 s20, s20, exec_lo
                                        ; implicit-def: $vgpr5
.LBB230_178:                            ;   in Loop: Header=BB230_166 Depth=2
	s_and_not1_saveexec_b32 s19, s19
	s_cbranch_execz .LBB230_165
; %bb.179:                              ;   in Loop: Header=BB230_166 Depth=2
	v_mul_lo_u32 v6, v26, 60
	s_mov_b32 s21, 0
	s_delay_alu instid0(VALU_DEP_1)
	v_add_nc_u32_e32 v7, v5, v6
	ds_load_b64 v[5:6], v7 offset:304
.LBB230_180:                            ;   Parent Loop BB230_104 Depth=1
                                        ;     Parent Loop BB230_166 Depth=2
                                        ; =>    This Inner Loop Header: Depth=3
	s_waitcnt lgkmcnt(0)
	v_add_f64 v[8:9], v[5:6], v[3:4]
	ds_cmpstore_rtn_b64 v[8:9], v7, v[8:9], v[5:6] offset:304
	s_waitcnt lgkmcnt(0)
	v_cmp_eq_u64_e32 vcc_lo, v[8:9], v[5:6]
	v_dual_mov_b32 v5, v8 :: v_dual_mov_b32 v6, v9
	s_or_b32 s21, vcc_lo, s21
	s_delay_alu instid0(SALU_CYCLE_1)
	s_and_not1_b32 exec_lo, exec_lo, s21
	s_cbranch_execnz .LBB230_180
; %bb.181:                              ;   in Loop: Header=BB230_166 Depth=2
	s_or_b32 exec_lo, exec_lo, s21
	ds_load_b64 v[5:6], v7 offset:312
	s_mov_b32 s21, 0
.LBB230_182:                            ;   Parent Loop BB230_104 Depth=1
                                        ;     Parent Loop BB230_166 Depth=2
                                        ; =>    This Inner Loop Header: Depth=3
	s_waitcnt lgkmcnt(0)
	v_add_f64 v[8:9], v[5:6], v[1:2]
	ds_cmpstore_rtn_b64 v[8:9], v7, v[8:9], v[5:6] offset:312
	s_waitcnt lgkmcnt(0)
	v_cmp_eq_u64_e32 vcc_lo, v[8:9], v[5:6]
	v_dual_mov_b32 v5, v8 :: v_dual_mov_b32 v6, v9
	s_or_b32 s21, vcc_lo, s21
	s_delay_alu instid0(SALU_CYCLE_1)
	s_and_not1_b32 exec_lo, exec_lo, s21
	s_cbranch_execnz .LBB230_182
; %bb.183:                              ;   in Loop: Header=BB230_166 Depth=2
	s_or_b32 exec_lo, exec_lo, s21
	s_delay_alu instid0(SALU_CYCLE_1)
	s_and_not1_b32 s20, s20, exec_lo
	s_branch .LBB230_165
.LBB230_184:
	s_or_b32 exec_lo, exec_lo, s10
.LBB230_185:
	s_barrier
	buffer_gl0_inv
	s_and_saveexec_b32 s4, s2
	s_cbranch_execz .LBB230_188
; %bb.186:
	ds_load_b32 v1, v53
	s_waitcnt lgkmcnt(0)
	v_cmp_gt_i32_e32 vcc_lo, s3, v1
	s_and_b32 exec_lo, exec_lo, vcc_lo
	s_cbranch_execz .LBB230_188
; %bb.187:
	s_load_b128 s[4:7], s[0:1], 0x88
	v_mov_b32_e32 v26, 0
	s_lshl_b64 s[2:3], s[16:17], 3
	s_load_b64 s[0:1], s[0:1], 0x98
	ds_load_2addr_b32 v[2:3], v26 offset1:1
	s_waitcnt lgkmcnt(0)
	s_add_u32 s2, s4, s2
	s_addc_u32 s3, s5, s3
	s_load_b64 s[2:3], s[2:3], 0x0
	ds_load_2addr_b32 v[4:5], v26 offset0:2 offset1:3
	ds_load_2addr_b32 v[6:7], v26 offset0:4 offset1:5
	;; [unrolled: 1-line block ×11, first 2 shown]
	v_cmp_gt_i32_e32 vcc_lo, v1, v2
	v_cndmask_b32_e64 v2, 0, 1, vcc_lo
	v_cmp_gt_i32_e32 vcc_lo, v1, v3
	v_cndmask_b32_e64 v3, 0, 1, vcc_lo
	s_waitcnt lgkmcnt(0)
	v_cmp_gt_i32_e32 vcc_lo, v1, v4
	v_cndmask_b32_e64 v4, 0, 1, vcc_lo
	s_sub_u32 s2, s2, s14
	s_subb_u32 s3, s3, 0
	v_add_co_u32 v2, s2, s2, v2
	s_delay_alu instid0(VALU_DEP_1) | instskip(SKIP_1) | instid1(VALU_DEP_2)
	v_add_co_ci_u32_e64 v27, null, s3, 0, s2
	s_cmp_eq_u32 s22, 0
	v_add_co_u32 v2, vcc_lo, v2, v3
	s_delay_alu instid0(VALU_DEP_2)
	v_add_co_ci_u32_e32 v3, vcc_lo, 0, v27, vcc_lo
	v_cmp_gt_i32_e32 vcc_lo, v1, v5
	s_cselect_b32 s2, 1, 2
	s_cselect_b32 s3, 2, 1
	v_cndmask_b32_e64 v5, 0, 1, vcc_lo
	v_add_co_u32 v2, vcc_lo, v2, v4
	v_add_co_ci_u32_e32 v3, vcc_lo, 0, v3, vcc_lo
	v_cmp_gt_i32_e32 vcc_lo, v1, v6
	v_cndmask_b32_e64 v4, 0, 1, vcc_lo
	s_delay_alu instid0(VALU_DEP_4) | instskip(NEXT) | instid1(VALU_DEP_4)
	v_add_co_u32 v2, vcc_lo, v2, v5
	v_add_co_ci_u32_e32 v3, vcc_lo, 0, v3, vcc_lo
	v_cmp_gt_i32_e32 vcc_lo, v1, v7
	v_cndmask_b32_e64 v5, 0, 1, vcc_lo
	s_delay_alu instid0(VALU_DEP_4) | instskip(NEXT) | instid1(VALU_DEP_4)
	;; [unrolled: 5-line block ×16, first 2 shown]
	v_add_co_u32 v2, vcc_lo, v2, v4
	v_add_co_ci_u32_e32 v3, vcc_lo, 0, v3, vcc_lo
	v_cmp_gt_i32_e32 vcc_lo, v1, v22
	v_add_nc_u32_e32 v22, s14, v1
	v_cndmask_b32_e64 v4, 0, 1, vcc_lo
	v_add_co_u32 v5, vcc_lo, v2, v5
	v_add_co_ci_u32_e32 v6, vcc_lo, 0, v3, vcc_lo
	v_cmp_gt_i32_e32 vcc_lo, v1, v23
	ds_load_2addr_b32 v[2:3], v26 offset0:24 offset1:25
	v_cndmask_b32_e64 v7, 0, 1, vcc_lo
	v_add_co_u32 v4, vcc_lo, v5, v4
	v_add_co_ci_u32_e32 v5, vcc_lo, 0, v6, vcc_lo
	v_cmp_gt_i32_e32 vcc_lo, v1, v24
	v_cndmask_b32_e64 v6, 0, 1, vcc_lo
	s_delay_alu instid0(VALU_DEP_4) | instskip(NEXT) | instid1(VALU_DEP_4)
	v_add_co_u32 v7, vcc_lo, v4, v7
	v_add_co_ci_u32_e32 v8, vcc_lo, 0, v5, vcc_lo
	ds_load_2addr_b32 v[4:5], v26 offset0:26 offset1:27
	v_add_co_u32 v10, vcc_lo, v7, v6
	v_add_co_ci_u32_e32 v11, vcc_lo, 0, v8, vcc_lo
	v_cmp_gt_i32_e32 vcc_lo, v1, v25
	ds_load_2addr_b32 v[6:7], v26 offset0:28 offset1:29
	ds_load_2addr_b32 v[8:9], v26 offset0:30 offset1:31
	v_cndmask_b32_e64 v12, 0, 1, vcc_lo
	s_waitcnt lgkmcnt(3)
	v_cmp_gt_i32_e32 vcc_lo, v1, v2
	v_cndmask_b32_e64 v2, 0, 1, vcc_lo
	s_delay_alu instid0(VALU_DEP_3) | instskip(SKIP_3) | instid1(VALU_DEP_4)
	v_add_co_u32 v10, vcc_lo, v10, v12
	v_add_co_ci_u32_e32 v11, vcc_lo, 0, v11, vcc_lo
	v_cmp_gt_i32_e32 vcc_lo, v1, v3
	v_cndmask_b32_e64 v3, 0, 1, vcc_lo
	v_add_co_u32 v2, vcc_lo, v10, v2
	s_delay_alu instid0(VALU_DEP_4)
	v_add_co_ci_u32_e32 v10, vcc_lo, 0, v11, vcc_lo
	s_waitcnt lgkmcnt(2)
	v_cmp_gt_i32_e32 vcc_lo, v1, v4
	v_cndmask_b32_e64 v4, 0, 1, vcc_lo
	v_add_co_u32 v2, vcc_lo, v2, v3
	v_add_co_ci_u32_e32 v3, vcc_lo, 0, v10, vcc_lo
	v_cmp_gt_i32_e32 vcc_lo, v1, v5
	v_cndmask_b32_e64 v5, 0, 1, vcc_lo
	s_delay_alu instid0(VALU_DEP_4) | instskip(NEXT) | instid1(VALU_DEP_4)
	v_add_co_u32 v2, vcc_lo, v2, v4
	v_add_co_ci_u32_e32 v3, vcc_lo, 0, v3, vcc_lo
	s_delay_alu instid0(VALU_DEP_2) | instskip(NEXT) | instid1(VALU_DEP_2)
	v_add_co_u32 v4, vcc_lo, v2, v5
	v_add_co_ci_u32_e32 v5, vcc_lo, 0, v3, vcc_lo
	s_waitcnt lgkmcnt(1)
	v_cmp_gt_i32_e32 vcc_lo, v1, v6
	ds_load_2addr_b32 v[2:3], v26 offset0:32 offset1:33
	v_cndmask_b32_e64 v6, 0, 1, vcc_lo
	v_cmp_gt_i32_e32 vcc_lo, v1, v7
	v_cndmask_b32_e64 v7, 0, 1, vcc_lo
	s_delay_alu instid0(VALU_DEP_3)
	v_add_co_u32 v4, vcc_lo, v4, v6
	v_add_co_ci_u32_e32 v5, vcc_lo, 0, v5, vcc_lo
	s_waitcnt lgkmcnt(1)
	v_cmp_gt_i32_e32 vcc_lo, v1, v8
	v_cndmask_b32_e64 v6, 0, 1, vcc_lo
	v_add_co_u32 v7, vcc_lo, v4, v7
	v_add_co_ci_u32_e32 v8, vcc_lo, 0, v5, vcc_lo
	ds_load_2addr_b32 v[4:5], v26 offset0:34 offset1:35
	v_add_co_u32 v10, vcc_lo, v7, v6
	v_add_co_ci_u32_e32 v11, vcc_lo, 0, v8, vcc_lo
	v_cmp_gt_i32_e32 vcc_lo, v1, v9
	ds_load_2addr_b32 v[6:7], v26 offset0:36 offset1:37
	ds_load_2addr_b32 v[8:9], v26 offset0:38 offset1:39
	v_cndmask_b32_e64 v12, 0, 1, vcc_lo
	s_waitcnt lgkmcnt(3)
	v_cmp_gt_i32_e32 vcc_lo, v1, v2
	v_cndmask_b32_e64 v2, 0, 1, vcc_lo
	s_delay_alu instid0(VALU_DEP_3) | instskip(SKIP_3) | instid1(VALU_DEP_4)
	v_add_co_u32 v10, vcc_lo, v10, v12
	v_add_co_ci_u32_e32 v11, vcc_lo, 0, v11, vcc_lo
	v_cmp_gt_i32_e32 vcc_lo, v1, v3
	v_cndmask_b32_e64 v3, 0, 1, vcc_lo
	v_add_co_u32 v2, vcc_lo, v10, v2
	s_delay_alu instid0(VALU_DEP_4)
	v_add_co_ci_u32_e32 v10, vcc_lo, 0, v11, vcc_lo
	s_waitcnt lgkmcnt(2)
	v_cmp_gt_i32_e32 vcc_lo, v1, v4
	v_cndmask_b32_e64 v4, 0, 1, vcc_lo
	v_add_co_u32 v2, vcc_lo, v2, v3
	v_add_co_ci_u32_e32 v3, vcc_lo, 0, v10, vcc_lo
	v_cmp_gt_i32_e32 vcc_lo, v1, v5
	v_cndmask_b32_e64 v5, 0, 1, vcc_lo
	s_delay_alu instid0(VALU_DEP_4) | instskip(NEXT) | instid1(VALU_DEP_4)
	v_add_co_u32 v2, vcc_lo, v2, v4
	v_add_co_ci_u32_e32 v3, vcc_lo, 0, v3, vcc_lo
	s_delay_alu instid0(VALU_DEP_2) | instskip(NEXT) | instid1(VALU_DEP_2)
	v_add_co_u32 v4, vcc_lo, v2, v5
	v_add_co_ci_u32_e32 v5, vcc_lo, 0, v3, vcc_lo
	s_waitcnt lgkmcnt(1)
	v_cmp_gt_i32_e32 vcc_lo, v1, v6
	ds_load_2addr_b32 v[2:3], v26 offset0:40 offset1:41
	v_cndmask_b32_e64 v6, 0, 1, vcc_lo
	v_cmp_gt_i32_e32 vcc_lo, v1, v7
	v_cndmask_b32_e64 v7, 0, 1, vcc_lo
	s_delay_alu instid0(VALU_DEP_3)
	v_add_co_u32 v4, vcc_lo, v4, v6
	v_add_co_ci_u32_e32 v5, vcc_lo, 0, v5, vcc_lo
	s_waitcnt lgkmcnt(1)
	v_cmp_gt_i32_e32 vcc_lo, v1, v8
	v_cndmask_b32_e64 v6, 0, 1, vcc_lo
	;; [unrolled: 45-line block ×4, first 2 shown]
	v_add_co_u32 v7, vcc_lo, v4, v7
	v_add_co_ci_u32_e32 v8, vcc_lo, 0, v5, vcc_lo
	ds_load_2addr_b32 v[4:5], v26 offset0:58 offset1:59
	v_add_co_u32 v10, vcc_lo, v7, v6
	v_add_co_ci_u32_e32 v11, vcc_lo, 0, v8, vcc_lo
	v_cmp_gt_i32_e32 vcc_lo, v1, v9
	ds_load_2addr_b32 v[6:7], v26 offset0:60 offset1:61
	ds_load_2addr_b32 v[8:9], v26 offset0:62 offset1:63
	v_cndmask_b32_e64 v12, 0, 1, vcc_lo
	s_waitcnt lgkmcnt(3)
	v_cmp_gt_i32_e32 vcc_lo, v1, v2
	v_cndmask_b32_e64 v2, 0, 1, vcc_lo
	s_delay_alu instid0(VALU_DEP_3) | instskip(SKIP_3) | instid1(VALU_DEP_4)
	v_add_co_u32 v10, vcc_lo, v10, v12
	v_add_co_ci_u32_e32 v11, vcc_lo, 0, v11, vcc_lo
	v_cmp_gt_i32_e32 vcc_lo, v1, v3
	v_cndmask_b32_e64 v3, 0, 1, vcc_lo
	v_add_co_u32 v2, vcc_lo, v10, v2
	s_delay_alu instid0(VALU_DEP_4)
	v_add_co_ci_u32_e32 v10, vcc_lo, 0, v11, vcc_lo
	s_waitcnt lgkmcnt(2)
	v_cmp_gt_i32_e32 vcc_lo, v1, v4
	v_cndmask_b32_e64 v4, 0, 1, vcc_lo
	v_add_co_u32 v2, vcc_lo, v2, v3
	v_add_co_ci_u32_e32 v3, vcc_lo, 0, v10, vcc_lo
	v_cmp_gt_i32_e32 vcc_lo, v1, v5
	v_cndmask_b32_e64 v5, 0, 1, vcc_lo
	s_delay_alu instid0(VALU_DEP_4) | instskip(NEXT) | instid1(VALU_DEP_4)
	v_add_co_u32 v2, vcc_lo, v2, v4
	v_add_co_ci_u32_e32 v3, vcc_lo, 0, v3, vcc_lo
	s_waitcnt lgkmcnt(1)
	v_cmp_gt_i32_e32 vcc_lo, v1, v6
	v_cndmask_b32_e64 v4, 0, 1, vcc_lo
	v_add_co_u32 v2, vcc_lo, v2, v5
	v_add_co_ci_u32_e32 v3, vcc_lo, 0, v3, vcc_lo
	v_cmp_gt_i32_e32 vcc_lo, v1, v7
	v_cndmask_b32_e64 v5, 0, 1, vcc_lo
	s_delay_alu instid0(VALU_DEP_4) | instskip(NEXT) | instid1(VALU_DEP_4)
	v_add_co_u32 v2, vcc_lo, v2, v4
	v_add_co_ci_u32_e32 v3, vcc_lo, 0, v3, vcc_lo
	s_waitcnt lgkmcnt(0)
	v_cmp_gt_i32_e32 vcc_lo, v1, v8
	v_cndmask_b32_e64 v4, 0, 1, vcc_lo
	v_add_co_u32 v2, vcc_lo, v2, v5
	v_add_co_ci_u32_e32 v3, vcc_lo, 0, v3, vcc_lo
	s_delay_alu instid0(VALU_DEP_2) | instskip(NEXT) | instid1(VALU_DEP_2)
	v_add_co_u32 v2, vcc_lo, v2, v4
	v_add_co_ci_u32_e32 v3, vcc_lo, 0, v3, vcc_lo
	v_cmp_gt_i32_e32 vcc_lo, v1, v9
	v_lshlrev_b32_e32 v4, 2, v0
	v_lshlrev_b32_e32 v0, 6, v0
	v_cndmask_b32_e64 v5, 0, 1, vcc_lo
	s_delay_alu instid0(VALU_DEP_3) | instskip(SKIP_1) | instid1(VALU_DEP_3)
	v_or_b32_e32 v6, s2, v4
	v_or_b32_e32 v4, s3, v4
	v_add_co_u32 v18, vcc_lo, v2, v5
	v_add_nc_u32_e32 v2, 0, v0
	s_delay_alu instid0(VALU_DEP_4) | instskip(NEXT) | instid1(VALU_DEP_4)
	v_lshl_add_u32 v6, v6, 4, 0
	v_lshl_add_u32 v10, v4, 4, 0
	v_add3_u32 v0, 0, 0x100, v0
	v_add_co_ci_u32_e32 v19, vcc_lo, 0, v3, vcc_lo
	ds_load_2addr_b64 v[2:5], v2 offset0:32 offset1:33
	ds_load_2addr_b64 v[6:9], v6 offset0:32 offset1:33
	;; [unrolled: 1-line block ×4, first 2 shown]
	v_lshlrev_b64 v[20:21], 2, v[18:19]
	v_lshlrev_b64 v[0:1], 6, v[18:19]
	s_delay_alu instid0(VALU_DEP_2) | instskip(NEXT) | instid1(VALU_DEP_3)
	v_add_co_u32 v18, vcc_lo, s6, v20
	v_add_co_ci_u32_e32 v19, vcc_lo, s7, v21, vcc_lo
	s_delay_alu instid0(VALU_DEP_3) | instskip(NEXT) | instid1(VALU_DEP_4)
	v_add_co_u32 v0, vcc_lo, s0, v0
	v_add_co_ci_u32_e32 v1, vcc_lo, s1, v1, vcc_lo
	global_store_b32 v[18:19], v22, off
	s_waitcnt lgkmcnt(3)
	global_store_b128 v[0:1], v[2:5], off
	s_waitcnt lgkmcnt(2)
	global_store_b128 v[0:1], v[6:9], off offset:16
	s_waitcnt lgkmcnt(1)
	global_store_b128 v[0:1], v[10:13], off offset:32
	s_waitcnt lgkmcnt(0)
	global_store_b128 v[0:1], v[14:17], off offset:48
.LBB230_188:
	s_nop 0
	s_sendmsg sendmsg(MSG_DEALLOC_VGPRS)
	s_endpgm
	.section	.rodata,"a",@progbits
	.p2align	6, 0x0
	.amdhsa_kernel _ZN9rocsparseL30bsrgemm_fill_block_per_row_2x2ILj256ELj16ELj64ELj137Eli21rocsparse_complex_numIdEEEv20rocsparse_direction_T4_S4_PKS4_S6_NS_24const_host_device_scalarIT5_EEPKT3_S6_PKS8_SC_S6_SE_S9_SC_S6_SE_SC_PS4_PS8_21rocsparse_index_base_SH_SH_SH_bbb
		.amdhsa_group_segment_fixed_size 0
		.amdhsa_private_segment_fixed_size 24
		.amdhsa_kernarg_size 180
		.amdhsa_user_sgpr_count 15
		.amdhsa_user_sgpr_dispatch_ptr 0
		.amdhsa_user_sgpr_queue_ptr 0
		.amdhsa_user_sgpr_kernarg_segment_ptr 1
		.amdhsa_user_sgpr_dispatch_id 0
		.amdhsa_user_sgpr_private_segment_size 0
		.amdhsa_wavefront_size32 1
		.amdhsa_uses_dynamic_stack 0
		.amdhsa_enable_private_segment 1
		.amdhsa_system_sgpr_workgroup_id_x 1
		.amdhsa_system_sgpr_workgroup_id_y 0
		.amdhsa_system_sgpr_workgroup_id_z 0
		.amdhsa_system_sgpr_workgroup_info 0
		.amdhsa_system_vgpr_workitem_id 0
		.amdhsa_next_free_vgpr 62
		.amdhsa_next_free_sgpr 38
		.amdhsa_reserve_vcc 1
		.amdhsa_float_round_mode_32 0
		.amdhsa_float_round_mode_16_64 0
		.amdhsa_float_denorm_mode_32 3
		.amdhsa_float_denorm_mode_16_64 3
		.amdhsa_dx10_clamp 1
		.amdhsa_ieee_mode 1
		.amdhsa_fp16_overflow 0
		.amdhsa_workgroup_processor_mode 1
		.amdhsa_memory_ordered 1
		.amdhsa_forward_progress 0
		.amdhsa_shared_vgpr_count 0
		.amdhsa_exception_fp_ieee_invalid_op 0
		.amdhsa_exception_fp_denorm_src 0
		.amdhsa_exception_fp_ieee_div_zero 0
		.amdhsa_exception_fp_ieee_overflow 0
		.amdhsa_exception_fp_ieee_underflow 0
		.amdhsa_exception_fp_ieee_inexact 0
		.amdhsa_exception_int_div_zero 0
	.end_amdhsa_kernel
	.section	.text._ZN9rocsparseL30bsrgemm_fill_block_per_row_2x2ILj256ELj16ELj64ELj137Eli21rocsparse_complex_numIdEEEv20rocsparse_direction_T4_S4_PKS4_S6_NS_24const_host_device_scalarIT5_EEPKT3_S6_PKS8_SC_S6_SE_S9_SC_S6_SE_SC_PS4_PS8_21rocsparse_index_base_SH_SH_SH_bbb,"axG",@progbits,_ZN9rocsparseL30bsrgemm_fill_block_per_row_2x2ILj256ELj16ELj64ELj137Eli21rocsparse_complex_numIdEEEv20rocsparse_direction_T4_S4_PKS4_S6_NS_24const_host_device_scalarIT5_EEPKT3_S6_PKS8_SC_S6_SE_S9_SC_S6_SE_SC_PS4_PS8_21rocsparse_index_base_SH_SH_SH_bbb,comdat
.Lfunc_end230:
	.size	_ZN9rocsparseL30bsrgemm_fill_block_per_row_2x2ILj256ELj16ELj64ELj137Eli21rocsparse_complex_numIdEEEv20rocsparse_direction_T4_S4_PKS4_S6_NS_24const_host_device_scalarIT5_EEPKT3_S6_PKS8_SC_S6_SE_S9_SC_S6_SE_SC_PS4_PS8_21rocsparse_index_base_SH_SH_SH_bbb, .Lfunc_end230-_ZN9rocsparseL30bsrgemm_fill_block_per_row_2x2ILj256ELj16ELj64ELj137Eli21rocsparse_complex_numIdEEEv20rocsparse_direction_T4_S4_PKS4_S6_NS_24const_host_device_scalarIT5_EEPKT3_S6_PKS8_SC_S6_SE_S9_SC_S6_SE_SC_PS4_PS8_21rocsparse_index_base_SH_SH_SH_bbb
                                        ; -- End function
	.section	.AMDGPU.csdata,"",@progbits
; Kernel info:
; codeLenInByte = 8848
; NumSgprs: 40
; NumVgprs: 62
; ScratchSize: 24
; MemoryBound: 0
; FloatMode: 240
; IeeeMode: 1
; LDSByteSize: 0 bytes/workgroup (compile time only)
; SGPRBlocks: 4
; VGPRBlocks: 7
; NumSGPRsForWavesPerEU: 40
; NumVGPRsForWavesPerEU: 62
; Occupancy: 16
; WaveLimiterHint : 1
; COMPUTE_PGM_RSRC2:SCRATCH_EN: 1
; COMPUTE_PGM_RSRC2:USER_SGPR: 15
; COMPUTE_PGM_RSRC2:TRAP_HANDLER: 0
; COMPUTE_PGM_RSRC2:TGID_X_EN: 1
; COMPUTE_PGM_RSRC2:TGID_Y_EN: 0
; COMPUTE_PGM_RSRC2:TGID_Z_EN: 0
; COMPUTE_PGM_RSRC2:TIDIG_COMP_CNT: 0
	.section	.text._ZN9rocsparseL30bsrgemm_fill_block_per_row_2x2ILj256ELj16ELj128ELj137Eli21rocsparse_complex_numIdEEEv20rocsparse_direction_T4_S4_PKS4_S6_NS_24const_host_device_scalarIT5_EEPKT3_S6_PKS8_SC_S6_SE_S9_SC_S6_SE_SC_PS4_PS8_21rocsparse_index_base_SH_SH_SH_bbb,"axG",@progbits,_ZN9rocsparseL30bsrgemm_fill_block_per_row_2x2ILj256ELj16ELj128ELj137Eli21rocsparse_complex_numIdEEEv20rocsparse_direction_T4_S4_PKS4_S6_NS_24const_host_device_scalarIT5_EEPKT3_S6_PKS8_SC_S6_SE_S9_SC_S6_SE_SC_PS4_PS8_21rocsparse_index_base_SH_SH_SH_bbb,comdat
	.globl	_ZN9rocsparseL30bsrgemm_fill_block_per_row_2x2ILj256ELj16ELj128ELj137Eli21rocsparse_complex_numIdEEEv20rocsparse_direction_T4_S4_PKS4_S6_NS_24const_host_device_scalarIT5_EEPKT3_S6_PKS8_SC_S6_SE_S9_SC_S6_SE_SC_PS4_PS8_21rocsparse_index_base_SH_SH_SH_bbb ; -- Begin function _ZN9rocsparseL30bsrgemm_fill_block_per_row_2x2ILj256ELj16ELj128ELj137Eli21rocsparse_complex_numIdEEEv20rocsparse_direction_T4_S4_PKS4_S6_NS_24const_host_device_scalarIT5_EEPKT3_S6_PKS8_SC_S6_SE_S9_SC_S6_SE_SC_PS4_PS8_21rocsparse_index_base_SH_SH_SH_bbb
	.p2align	8
	.type	_ZN9rocsparseL30bsrgemm_fill_block_per_row_2x2ILj256ELj16ELj128ELj137Eli21rocsparse_complex_numIdEEEv20rocsparse_direction_T4_S4_PKS4_S6_NS_24const_host_device_scalarIT5_EEPKT3_S6_PKS8_SC_S6_SE_S9_SC_S6_SE_SC_PS4_PS8_21rocsparse_index_base_SH_SH_SH_bbb,@function
_ZN9rocsparseL30bsrgemm_fill_block_per_row_2x2ILj256ELj16ELj128ELj137Eli21rocsparse_complex_numIdEEEv20rocsparse_direction_T4_S4_PKS4_S6_NS_24const_host_device_scalarIT5_EEPKT3_S6_PKS8_SC_S6_SE_S9_SC_S6_SE_SC_PS4_PS8_21rocsparse_index_base_SH_SH_SH_bbb: ; @_ZN9rocsparseL30bsrgemm_fill_block_per_row_2x2ILj256ELj16ELj128ELj137Eli21rocsparse_complex_numIdEEEv20rocsparse_direction_T4_S4_PKS4_S6_NS_24const_host_device_scalarIT5_EEPKT3_S6_PKS8_SC_S6_SE_S9_SC_S6_SE_SC_PS4_PS8_21rocsparse_index_base_SH_SH_SH_bbb
; %bb.0:
	s_clause 0x2
	s_load_b32 s12, s[0:1], 0xb0
	s_load_b128 s[8:11], s[0:1], 0x20
	s_load_b128 s[4:7], s[0:1], 0x60
	v_mov_b32_e32 v17, 0
	v_mov_b32_e32 v18, 0
	s_mov_b32 s34, s15
	s_waitcnt lgkmcnt(0)
	s_bitcmp1_b32 s12, 0
	v_mov_b32_e32 v1, s8
	s_cselect_b32 s35, -1, 0
	s_bitcmp1_b32 s12, 16
	v_dual_mov_b32 v22, v18 :: v_dual_mov_b32 v21, v17
	s_cselect_b32 s2, -1, 0
	v_mov_b32_e32 v2, s9
	s_xor_b32 s3, s2, -1
	v_dual_mov_b32 v24, v18 :: v_dual_mov_b32 v23, v17
	v_cndmask_b32_e64 v5, 0, 1, s3
	v_dual_mov_b32 v3, s4 :: v_dual_mov_b32 v4, s5
	s_bitcmp0_b32 s12, 0
	s_clause 0x1
	scratch_store_b64 off, v[1:2], off
	scratch_store_b64 off, v[3:4], off offset:8
	v_cmp_ne_u32_e32 vcc_lo, 1, v5
	s_cbranch_scc1 .LBB231_3
; %bb.1:
	s_mov_b64 s[14:15], src_private_base
	s_and_b32 s13, s2, exec_lo
	s_cselect_b32 s13, s15, s9
	s_delay_alu instid0(SALU_CYCLE_1) | instskip(SKIP_2) | instid1(VALU_DEP_2)
	v_dual_mov_b32 v1, 0 :: v_dual_mov_b32 v2, s13
	v_dual_mov_b32 v24, s11 :: v_dual_mov_b32 v23, s10
	s_and_b32 vcc_lo, exec_lo, vcc_lo
	v_cndmask_b32_e64 v1, s8, v1, s2
	flat_load_b64 v[21:22], v[1:2]
	s_cbranch_vccnz .LBB231_3
; %bb.2:
	v_dual_mov_b32 v1, s8 :: v_dual_mov_b32 v2, s9
	flat_load_b64 v[23:24], v[1:2] offset:8
.LBB231_3:
	s_bitcmp1_b32 s12, 8
	v_dual_mov_b32 v20, v18 :: v_dual_mov_b32 v19, v17
	s_cselect_b32 s42, -1, 0
	s_bfe_u32 s8, s12, 0x10008
	s_delay_alu instid0(SALU_CYCLE_1)
	s_cmp_eq_u32 s8, 0
	s_cbranch_scc1 .LBB231_6
; %bb.4:
	s_mov_b64 s[8:9], src_private_base
	s_and_b32 s8, s2, exec_lo
	s_cselect_b32 s8, s9, s5
	s_delay_alu instid0(SALU_CYCLE_1) | instskip(SKIP_2) | instid1(VALU_DEP_2)
	v_dual_mov_b32 v1, 8 :: v_dual_mov_b32 v2, s8
	v_dual_mov_b32 v18, s7 :: v_dual_mov_b32 v17, s6
	s_and_not1_b32 vcc_lo, exec_lo, s3
	v_cndmask_b32_e64 v1, s4, v1, s2
	flat_load_b64 v[19:20], v[1:2]
	s_cbranch_vccnz .LBB231_6
; %bb.5:
	v_dual_mov_b32 v1, s4 :: v_dual_mov_b32 v2, s5
	flat_load_b64 v[17:18], v[1:2] offset:8
.LBB231_6:
	s_clause 0x1
	s_load_b128 s[20:23], s[0:1], 0xa0
	s_load_b32 s33, s[0:1], 0x8
	v_cmp_gt_u32_e64 s2, 0x80, v0
	v_lshl_add_u32 v53, v0, 2, 0
	s_delay_alu instid0(VALU_DEP_2)
	s_and_saveexec_b32 s3, s2
	s_cbranch_execz .LBB231_8
; %bb.7:
	s_waitcnt lgkmcnt(0)
	v_mov_b32_e32 v1, s33
	ds_store_b32 v53, v1
.LBB231_8:
	s_or_b32 exec_lo, exec_lo, s3
	s_clause 0x4
	s_load_b128 s[24:27], s[0:1], 0x90
	s_load_b256 s[4:11], s[0:1], 0x70
	s_load_b128 s[28:31], s[0:1], 0x50
	s_load_b128 s[36:39], s[0:1], 0x10
	s_load_b256 s[12:19], s[0:1], 0x30
	s_mov_b32 s3, exec_lo
	v_cmpx_gt_u32_e32 0x200, v0
	s_cbranch_execz .LBB231_11
; %bb.9:
	s_mov_b32 s40, 0
	v_or_b32_e32 v5, 0xffffff00, v0
	s_mov_b32 s41, s40
	v_lshlrev_b32_e32 v1, 4, v0
	s_mov_b32 s44, s40
	s_mov_b32 s45, s40
	s_delay_alu instid0(SALU_CYCLE_1) | instskip(NEXT) | instid1(VALU_DEP_2)
	v_dual_mov_b32 v3, s44 :: v_dual_mov_b32 v4, s45
	v_add3_u32 v6, v1, 0, 0x200
	v_dual_mov_b32 v1, s40 :: v_dual_mov_b32 v2, s41
.LBB231_10:                             ; =>This Inner Loop Header: Depth=1
	v_add_co_u32 v5, s41, 0x100, v5
	s_delay_alu instid0(VALU_DEP_1) | instskip(SKIP_3) | instid1(SALU_CYCLE_1)
	s_xor_b32 s41, s41, -1
	ds_store_2addr_b64 v6, v[1:2], v[3:4] offset1:1
	v_add_nc_u32_e32 v6, 0x1000, v6
	s_and_b32 s41, exec_lo, s41
	s_or_b32 s40, s41, s40
	s_delay_alu instid0(SALU_CYCLE_1)
	s_and_not1_b32 exec_lo, exec_lo, s40
	s_cbranch_execnz .LBB231_10
.LBB231_11:
	s_or_b32 exec_lo, exec_lo, s3
	s_waitcnt lgkmcnt(0)
	s_cmp_lg_u64 s[38:39], 0
	s_waitcnt vmcnt(0)
	s_waitcnt_vscnt null, 0x0
	s_barrier
	buffer_gl0_inv
	s_cbranch_scc0 .LBB231_13
; %bb.12:
	s_load_b32 s3, s[36:37], 0x0
	s_mov_b32 s37, 0
	s_waitcnt lgkmcnt(0)
	s_add_i32 s36, s3, s34
	s_delay_alu instid0(SALU_CYCLE_1) | instskip(NEXT) | instid1(SALU_CYCLE_1)
	s_lshl_b64 s[36:37], s[36:37], 2
	s_add_u32 s36, s38, s36
	s_addc_u32 s37, s39, s37
	s_load_b32 s34, s[36:37], 0x0
.LBB231_13:
	s_load_b32 s3, s[0:1], 0x0
	s_and_not1_b32 vcc_lo, exec_lo, s35
	s_waitcnt lgkmcnt(0)
	s_ashr_i32 s35, s34, 31
	s_cbranch_vccnz .LBB231_101
; %bb.14:
	s_lshl_b64 s[0:1], s[34:35], 3
	v_lshrrev_b32_e32 v1, 4, v0
	s_add_u32 s0, s12, s0
	s_addc_u32 s1, s13, s1
	s_mov_b32 s13, 0
	s_load_b128 s[36:39], s[0:1], 0x0
	v_sub_co_u32 v1, s0, v1, s20
	s_delay_alu instid0(VALU_DEP_1) | instskip(SKIP_2) | instid1(VALU_DEP_2)
	v_sub_co_ci_u32_e64 v2, null, 0, 0, s0
	s_mov_b32 s12, exec_lo
	s_waitcnt lgkmcnt(0)
	v_add_co_u32 v25, vcc_lo, s36, v1
	s_delay_alu instid0(VALU_DEP_2)
	v_add_co_ci_u32_e32 v26, vcc_lo, s37, v2, vcc_lo
	s_sub_u32 s0, s38, s20
	s_subb_u32 s1, s39, 0
	s_delay_alu instid0(VALU_DEP_1) | instid1(SALU_CYCLE_1)
	v_cmpx_gt_i64_e64 s[0:1], v[25:26]
	s_cbranch_execz .LBB231_100
; %bb.15:
	v_and_b32_e32 v1, 15, v0
	s_cmp_eq_u32 s3, 0
	s_cselect_b32 s37, 1, 2
	s_cselect_b32 s38, 2, 1
	s_delay_alu instid0(VALU_DEP_1) | instskip(NEXT) | instid1(VALU_DEP_1)
	v_sub_co_u32 v54, s36, v1, s21
	v_sub_co_ci_u32_e64 v55, null, 0, 0, s36
	s_mov_b32 s36, s21
	s_branch .LBB231_17
.LBB231_16:                             ;   in Loop: Header=BB231_17 Depth=1
	s_or_b32 exec_lo, exec_lo, s39
	v_add_co_u32 v25, vcc_lo, v25, 16
	v_add_co_ci_u32_e32 v26, vcc_lo, 0, v26, vcc_lo
	s_delay_alu instid0(VALU_DEP_1) | instskip(SKIP_1) | instid1(SALU_CYCLE_1)
	v_cmp_le_i64_e32 vcc_lo, s[0:1], v[25:26]
	s_or_b32 s13, vcc_lo, s13
	s_and_not1_b32 exec_lo, exec_lo, s13
	s_cbranch_execz .LBB231_100
.LBB231_17:                             ; =>This Loop Header: Depth=1
                                        ;     Child Loop BB231_20 Depth 2
                                        ;       Child Loop BB231_22 Depth 3
                                        ;         Child Loop BB231_28 Depth 4
                                        ;         Child Loop BB231_30 Depth 4
                                        ;         Child Loop BB231_36 Depth 4
                                        ;         Child Loop BB231_38 Depth 4
                                        ;       Child Loop BB231_42 Depth 3
                                        ;         Child Loop BB231_48 Depth 4
                                        ;         Child Loop BB231_50 Depth 4
                                        ;         Child Loop BB231_56 Depth 4
                                        ;         Child Loop BB231_58 Depth 4
	;; [unrolled: 5-line block ×4, first 2 shown]
	v_lshlrev_b64 v[1:2], 2, v[25:26]
	s_mov_b32 s39, exec_lo
	s_delay_alu instid0(VALU_DEP_1) | instskip(NEXT) | instid1(VALU_DEP_2)
	v_add_co_u32 v3, vcc_lo, s14, v1
	v_add_co_ci_u32_e32 v4, vcc_lo, s15, v2, vcc_lo
	global_load_b32 v3, v[3:4], off
	s_waitcnt vmcnt(0)
	v_subrev_nc_u32_e32 v3, s20, v3
	s_delay_alu instid0(VALU_DEP_1) | instskip(NEXT) | instid1(VALU_DEP_1)
	v_ashrrev_i32_e32 v4, 31, v3
	v_lshlrev_b64 v[3:4], 3, v[3:4]
	s_delay_alu instid0(VALU_DEP_1) | instskip(NEXT) | instid1(VALU_DEP_2)
	v_add_co_u32 v3, vcc_lo, s18, v3
	v_add_co_ci_u32_e32 v4, vcc_lo, s19, v4, vcc_lo
	global_load_b128 v[3:6], v[3:4], off
	s_waitcnt vmcnt(0)
	v_sub_co_u32 v27, vcc_lo, v5, s36
	v_subrev_co_ci_u32_e32 v28, vcc_lo, 0, v6, vcc_lo
	v_add_co_u32 v29, vcc_lo, v3, v54
	v_add_co_ci_u32_e32 v30, vcc_lo, v4, v55, vcc_lo
	s_delay_alu instid0(VALU_DEP_1)
	v_cmpx_lt_i64_e64 v[29:30], v[27:28]
	s_cbranch_execz .LBB231_16
; %bb.18:                               ;   in Loop: Header=BB231_17 Depth=1
	v_or_b32_e32 v6, 0, v2
	v_or_b32_e32 v5, s37, v1
	v_lshlrev_b64 v[3:4], 6, v[25:26]
	v_or_b32_e32 v2, 0, v2
	v_or_b32_e32 v1, s38, v1
	s_mov_b32 s40, 0
	v_lshlrev_b64 v[5:6], 4, v[5:6]
	s_delay_alu instid0(VALU_DEP_4) | instskip(NEXT) | instid1(VALU_DEP_3)
	v_add_co_u32 v7, vcc_lo, s16, v3
	v_lshlrev_b64 v[9:10], 4, v[1:2]
	v_add_co_ci_u32_e32 v8, vcc_lo, s17, v4, vcc_lo
	s_delay_alu instid0(VALU_DEP_4) | instskip(SKIP_1) | instid1(VALU_DEP_4)
	v_add_co_u32 v11, vcc_lo, s16, v5
	v_add_co_ci_u32_e32 v12, vcc_lo, s17, v6, vcc_lo
	v_add_co_u32 v13, vcc_lo, s16, v9
	v_add_co_ci_u32_e32 v14, vcc_lo, s17, v10, vcc_lo
	s_clause 0x3
	global_load_b128 v[1:4], v[7:8], off
	global_load_b128 v[5:8], v[7:8], off offset:48
	global_load_b128 v[9:12], v[11:12], off
	global_load_b128 v[13:16], v[13:14], off
	s_waitcnt vmcnt(2)
	v_mul_f64 v[35:36], v[7:8], -v[23:24]
	v_mul_f64 v[31:32], v[3:4], -v[23:24]
	v_mul_f64 v[3:4], v[21:22], v[3:4]
	v_mul_f64 v[7:8], v[21:22], v[7:8]
	s_waitcnt vmcnt(1)
	v_mul_f64 v[39:40], v[11:12], -v[23:24]
	v_mul_f64 v[11:12], v[21:22], v[11:12]
	s_waitcnt vmcnt(0)
	v_mul_f64 v[43:44], v[15:16], -v[23:24]
	v_mul_f64 v[15:16], v[21:22], v[15:16]
	v_fma_f64 v[35:36], v[21:22], v[5:6], v[35:36]
	v_fma_f64 v[31:32], v[21:22], v[1:2], v[31:32]
	;; [unrolled: 1-line block ×8, first 2 shown]
	s_branch .LBB231_20
.LBB231_19:                             ;   in Loop: Header=BB231_20 Depth=2
	s_or_b32 exec_lo, exec_lo, s41
	v_add_co_u32 v29, vcc_lo, v29, 16
	v_add_co_ci_u32_e32 v30, vcc_lo, 0, v30, vcc_lo
	s_delay_alu instid0(VALU_DEP_1) | instskip(SKIP_1) | instid1(SALU_CYCLE_1)
	v_cmp_ge_i64_e32 vcc_lo, v[29:30], v[27:28]
	s_or_b32 s40, vcc_lo, s40
	s_and_not1_b32 exec_lo, exec_lo, s40
	s_cbranch_execz .LBB231_16
.LBB231_20:                             ;   Parent Loop BB231_17 Depth=1
                                        ; =>  This Loop Header: Depth=2
                                        ;       Child Loop BB231_22 Depth 3
                                        ;         Child Loop BB231_28 Depth 4
                                        ;         Child Loop BB231_30 Depth 4
                                        ;         Child Loop BB231_36 Depth 4
                                        ;         Child Loop BB231_38 Depth 4
                                        ;       Child Loop BB231_42 Depth 3
                                        ;         Child Loop BB231_48 Depth 4
                                        ;         Child Loop BB231_50 Depth 4
                                        ;         Child Loop BB231_56 Depth 4
                                        ;         Child Loop BB231_58 Depth 4
	;; [unrolled: 5-line block ×4, first 2 shown]
	v_lshlrev_b64 v[1:2], 2, v[29:30]
	s_mov_b32 s41, 0
	s_delay_alu instid0(VALU_DEP_1) | instskip(NEXT) | instid1(VALU_DEP_2)
	v_or_b32_e32 v4, 0, v2
	v_or_b32_e32 v3, s38, v1
	s_delay_alu instid0(VALU_DEP_1) | instskip(NEXT) | instid1(VALU_DEP_1)
	v_lshlrev_b64 v[3:4], 4, v[3:4]
	v_add_co_u32 v3, vcc_lo, s30, v3
	s_delay_alu instid0(VALU_DEP_2) | instskip(SKIP_2) | instid1(VALU_DEP_1)
	v_add_co_ci_u32_e32 v4, vcc_lo, s31, v4, vcc_lo
	global_load_b128 v[13:16], v[3:4], off
	v_lshlrev_b64 v[3:4], 6, v[29:30]
	v_add_co_u32 v5, vcc_lo, s30, v3
	s_delay_alu instid0(VALU_DEP_2)
	v_add_co_ci_u32_e32 v6, vcc_lo, s31, v4, vcc_lo
	v_add_co_u32 v3, vcc_lo, s28, v1
	v_add_co_ci_u32_e32 v4, vcc_lo, s29, v2, vcc_lo
	global_load_b128 v[9:12], v[5:6], off
	v_or_b32_e32 v2, 0, v2
	v_or_b32_e32 v1, s37, v1
	global_load_b32 v51, v[3:4], off
	v_lshlrev_b64 v[1:2], 4, v[1:2]
	s_delay_alu instid0(VALU_DEP_1) | instskip(NEXT) | instid1(VALU_DEP_2)
	v_add_co_u32 v1, vcc_lo, s30, v1
	v_add_co_ci_u32_e32 v2, vcc_lo, s31, v2, vcc_lo
	s_clause 0x1
	global_load_b128 v[1:4], v[1:2], off
	global_load_b128 v[5:8], v[5:6], off offset:48
	s_waitcnt vmcnt(4)
	v_mul_f64 v[47:48], v[15:16], -v[41:42]
	v_mul_f64 v[49:50], v[39:40], v[15:16]
	s_waitcnt vmcnt(2)
	v_subrev_nc_u32_e32 v56, s21, v51
	s_delay_alu instid0(VALU_DEP_1) | instskip(NEXT) | instid1(VALU_DEP_1)
	v_lshl_add_u32 v51, v56, 3, v56
	v_and_b32_e32 v57, 0x7f, v51
	s_delay_alu instid0(VALU_DEP_1) | instskip(SKIP_2) | instid1(VALU_DEP_2)
	v_mov_b32_e32 v58, v57
	v_fma_f64 v[47:48], v[39:40], v[13:14], v[47:48]
	v_fma_f64 v[49:50], v[41:42], v[13:14], v[49:50]
	;; [unrolled: 1-line block ×3, first 2 shown]
	s_delay_alu instid0(VALU_DEP_2) | instskip(NEXT) | instid1(VALU_DEP_2)
	v_fma_f64 v[49:50], v[33:34], v[9:10], v[49:50]
	v_fma_f64 v[47:48], -v[33:34], v[11:12], v[47:48]
	s_delay_alu instid0(VALU_DEP_2)
	v_fma_f64 v[49:50], v[31:32], v[11:12], v[49:50]
	s_branch .LBB231_22
.LBB231_21:                             ;   in Loop: Header=BB231_22 Depth=3
	s_or_b32 exec_lo, exec_lo, s43
	s_xor_b32 s43, s44, -1
	s_delay_alu instid0(SALU_CYCLE_1) | instskip(NEXT) | instid1(SALU_CYCLE_1)
	s_and_b32 s43, exec_lo, s43
	s_or_b32 s41, s43, s41
	s_delay_alu instid0(SALU_CYCLE_1)
	s_and_not1_b32 exec_lo, exec_lo, s41
	s_cbranch_execz .LBB231_40
.LBB231_22:                             ;   Parent Loop BB231_17 Depth=1
                                        ;     Parent Loop BB231_20 Depth=2
                                        ; =>    This Loop Header: Depth=3
                                        ;         Child Loop BB231_28 Depth 4
                                        ;         Child Loop BB231_30 Depth 4
	;; [unrolled: 1-line block ×4, first 2 shown]
	v_lshl_add_u32 v51, v58, 2, 0
	s_mov_b32 s43, exec_lo
                                        ; implicit-def: $sgpr44
	ds_load_b32 v52, v51
	s_waitcnt lgkmcnt(0)
	v_cmpx_ne_u32_e64 v52, v56
	s_xor_b32 s43, exec_lo, s43
	s_cbranch_execz .LBB231_34
; %bb.23:                               ;   in Loop: Header=BB231_22 Depth=3
	s_mov_b32 s45, exec_lo
                                        ; implicit-def: $sgpr44
	v_cmpx_ne_u32_e64 s33, v52
	s_xor_b32 s45, exec_lo, s45
; %bb.24:                               ;   in Loop: Header=BB231_22 Depth=3
	v_add_nc_u32_e32 v51, 1, v58
	s_mov_b32 s44, -1
	s_delay_alu instid0(VALU_DEP_1)
	v_and_b32_e32 v58, 0x7f, v51
                                        ; implicit-def: $vgpr51
; %bb.25:                               ;   in Loop: Header=BB231_22 Depth=3
	s_and_not1_saveexec_b32 s45, s45
	s_cbranch_execz .LBB231_33
; %bb.26:                               ;   in Loop: Header=BB231_22 Depth=3
	v_mov_b32_e32 v52, s33
	s_mov_b32 s47, -1
	s_mov_b32 s46, exec_lo
	ds_cmpstore_rtn_b32 v52, v51, v56, v52
	s_waitcnt lgkmcnt(0)
	v_cmpx_eq_u32_e64 s33, v52
	s_cbranch_execz .LBB231_32
; %bb.27:                               ;   in Loop: Header=BB231_22 Depth=3
	v_mul_lo_u32 v52, v58, 60
	s_mov_b32 s47, 0
	s_delay_alu instid0(VALU_DEP_1)
	v_add_nc_u32_e32 v59, v51, v52
	ds_load_b64 v[51:52], v59 offset:512
.LBB231_28:                             ;   Parent Loop BB231_17 Depth=1
                                        ;     Parent Loop BB231_20 Depth=2
                                        ;       Parent Loop BB231_22 Depth=3
                                        ; =>      This Inner Loop Header: Depth=4
	s_waitcnt lgkmcnt(0)
	v_add_f64 v[60:61], v[51:52], v[47:48]
	ds_cmpstore_rtn_b64 v[60:61], v59, v[60:61], v[51:52] offset:512
	s_waitcnt lgkmcnt(0)
	v_cmp_eq_u64_e32 vcc_lo, v[60:61], v[51:52]
	v_dual_mov_b32 v51, v60 :: v_dual_mov_b32 v52, v61
	s_or_b32 s47, vcc_lo, s47
	s_delay_alu instid0(SALU_CYCLE_1)
	s_and_not1_b32 exec_lo, exec_lo, s47
	s_cbranch_execnz .LBB231_28
; %bb.29:                               ;   in Loop: Header=BB231_22 Depth=3
	s_or_b32 exec_lo, exec_lo, s47
	ds_load_b64 v[51:52], v59 offset:520
	s_mov_b32 s47, 0
.LBB231_30:                             ;   Parent Loop BB231_17 Depth=1
                                        ;     Parent Loop BB231_20 Depth=2
                                        ;       Parent Loop BB231_22 Depth=3
                                        ; =>      This Inner Loop Header: Depth=4
	s_waitcnt lgkmcnt(0)
	v_add_f64 v[60:61], v[51:52], v[49:50]
	ds_cmpstore_rtn_b64 v[60:61], v59, v[60:61], v[51:52] offset:520
	s_waitcnt lgkmcnt(0)
	v_cmp_eq_u64_e32 vcc_lo, v[60:61], v[51:52]
	v_dual_mov_b32 v51, v60 :: v_dual_mov_b32 v52, v61
	s_or_b32 s47, vcc_lo, s47
	s_delay_alu instid0(SALU_CYCLE_1)
	s_and_not1_b32 exec_lo, exec_lo, s47
	s_cbranch_execnz .LBB231_30
; %bb.31:                               ;   in Loop: Header=BB231_22 Depth=3
	s_or_b32 exec_lo, exec_lo, s47
	s_delay_alu instid0(SALU_CYCLE_1)
	s_xor_b32 s47, exec_lo, -1
.LBB231_32:                             ;   in Loop: Header=BB231_22 Depth=3
	s_or_b32 exec_lo, exec_lo, s46
	s_delay_alu instid0(SALU_CYCLE_1) | instskip(SKIP_1) | instid1(SALU_CYCLE_1)
	s_and_not1_b32 s44, s44, exec_lo
	s_and_b32 s46, s47, exec_lo
	s_or_b32 s44, s44, s46
.LBB231_33:                             ;   in Loop: Header=BB231_22 Depth=3
	s_or_b32 exec_lo, exec_lo, s45
	s_delay_alu instid0(SALU_CYCLE_1)
	s_and_b32 s44, s44, exec_lo
                                        ; implicit-def: $vgpr51
.LBB231_34:                             ;   in Loop: Header=BB231_22 Depth=3
	s_and_not1_saveexec_b32 s43, s43
	s_cbranch_execz .LBB231_21
; %bb.35:                               ;   in Loop: Header=BB231_22 Depth=3
	v_mul_lo_u32 v52, v58, 60
	s_mov_b32 s45, 0
	s_delay_alu instid0(VALU_DEP_1)
	v_add_nc_u32_e32 v59, v51, v52
	ds_load_b64 v[51:52], v59 offset:512
.LBB231_36:                             ;   Parent Loop BB231_17 Depth=1
                                        ;     Parent Loop BB231_20 Depth=2
                                        ;       Parent Loop BB231_22 Depth=3
                                        ; =>      This Inner Loop Header: Depth=4
	s_waitcnt lgkmcnt(0)
	v_add_f64 v[60:61], v[51:52], v[47:48]
	ds_cmpstore_rtn_b64 v[60:61], v59, v[60:61], v[51:52] offset:512
	s_waitcnt lgkmcnt(0)
	v_cmp_eq_u64_e32 vcc_lo, v[60:61], v[51:52]
	v_dual_mov_b32 v51, v60 :: v_dual_mov_b32 v52, v61
	s_or_b32 s45, vcc_lo, s45
	s_delay_alu instid0(SALU_CYCLE_1)
	s_and_not1_b32 exec_lo, exec_lo, s45
	s_cbranch_execnz .LBB231_36
; %bb.37:                               ;   in Loop: Header=BB231_22 Depth=3
	s_or_b32 exec_lo, exec_lo, s45
	ds_load_b64 v[51:52], v59 offset:520
	s_mov_b32 s45, 0
.LBB231_38:                             ;   Parent Loop BB231_17 Depth=1
                                        ;     Parent Loop BB231_20 Depth=2
                                        ;       Parent Loop BB231_22 Depth=3
                                        ; =>      This Inner Loop Header: Depth=4
	s_waitcnt lgkmcnt(0)
	v_add_f64 v[60:61], v[51:52], v[49:50]
	ds_cmpstore_rtn_b64 v[60:61], v59, v[60:61], v[51:52] offset:520
	s_waitcnt lgkmcnt(0)
	v_cmp_eq_u64_e32 vcc_lo, v[60:61], v[51:52]
	v_dual_mov_b32 v51, v60 :: v_dual_mov_b32 v52, v61
	s_or_b32 s45, vcc_lo, s45
	s_delay_alu instid0(SALU_CYCLE_1)
	s_and_not1_b32 exec_lo, exec_lo, s45
	s_cbranch_execnz .LBB231_38
; %bb.39:                               ;   in Loop: Header=BB231_22 Depth=3
	s_or_b32 exec_lo, exec_lo, s45
	s_delay_alu instid0(SALU_CYCLE_1)
	s_and_not1_b32 s44, s44, exec_lo
	s_branch .LBB231_21
.LBB231_40:                             ;   in Loop: Header=BB231_20 Depth=2
	s_or_b32 exec_lo, exec_lo, s41
	s_waitcnt vmcnt(0)
	v_mul_f64 v[47:48], v[7:8], -v[41:42]
	v_mul_f64 v[49:50], v[39:40], v[7:8]
	v_mov_b32_e32 v58, v57
	s_mov_b32 s41, 0
	s_delay_alu instid0(VALU_DEP_3) | instskip(NEXT) | instid1(VALU_DEP_3)
	v_fma_f64 v[47:48], v[39:40], v[5:6], v[47:48]
	v_fma_f64 v[49:50], v[41:42], v[5:6], v[49:50]
	s_delay_alu instid0(VALU_DEP_2) | instskip(NEXT) | instid1(VALU_DEP_2)
	v_fma_f64 v[47:48], v[31:32], v[1:2], v[47:48]
	v_fma_f64 v[49:50], v[33:34], v[1:2], v[49:50]
	s_delay_alu instid0(VALU_DEP_2) | instskip(NEXT) | instid1(VALU_DEP_2)
	v_fma_f64 v[47:48], -v[33:34], v[3:4], v[47:48]
	v_fma_f64 v[49:50], v[31:32], v[3:4], v[49:50]
	s_branch .LBB231_42
.LBB231_41:                             ;   in Loop: Header=BB231_42 Depth=3
	s_or_b32 exec_lo, exec_lo, s43
	s_xor_b32 s43, s44, -1
	s_delay_alu instid0(SALU_CYCLE_1) | instskip(NEXT) | instid1(SALU_CYCLE_1)
	s_and_b32 s43, exec_lo, s43
	s_or_b32 s41, s43, s41
	s_delay_alu instid0(SALU_CYCLE_1)
	s_and_not1_b32 exec_lo, exec_lo, s41
	s_cbranch_execz .LBB231_60
.LBB231_42:                             ;   Parent Loop BB231_17 Depth=1
                                        ;     Parent Loop BB231_20 Depth=2
                                        ; =>    This Loop Header: Depth=3
                                        ;         Child Loop BB231_48 Depth 4
                                        ;         Child Loop BB231_50 Depth 4
	;; [unrolled: 1-line block ×4, first 2 shown]
	v_lshl_add_u32 v51, v58, 2, 0
	s_mov_b32 s43, exec_lo
                                        ; implicit-def: $sgpr44
	ds_load_b32 v52, v51
	s_waitcnt lgkmcnt(0)
	v_cmpx_ne_u32_e64 v52, v56
	s_xor_b32 s43, exec_lo, s43
	s_cbranch_execz .LBB231_54
; %bb.43:                               ;   in Loop: Header=BB231_42 Depth=3
	s_mov_b32 s45, exec_lo
                                        ; implicit-def: $sgpr44
	v_cmpx_ne_u32_e64 s33, v52
	s_xor_b32 s45, exec_lo, s45
; %bb.44:                               ;   in Loop: Header=BB231_42 Depth=3
	v_add_nc_u32_e32 v51, 1, v58
	s_mov_b32 s44, -1
	s_delay_alu instid0(VALU_DEP_1)
	v_and_b32_e32 v58, 0x7f, v51
                                        ; implicit-def: $vgpr51
; %bb.45:                               ;   in Loop: Header=BB231_42 Depth=3
	s_and_not1_saveexec_b32 s45, s45
	s_cbranch_execz .LBB231_53
; %bb.46:                               ;   in Loop: Header=BB231_42 Depth=3
	v_mov_b32_e32 v52, s33
	s_mov_b32 s47, -1
	s_mov_b32 s46, exec_lo
	ds_cmpstore_rtn_b32 v52, v51, v56, v52
	s_waitcnt lgkmcnt(0)
	v_cmpx_eq_u32_e64 s33, v52
	s_cbranch_execz .LBB231_52
; %bb.47:                               ;   in Loop: Header=BB231_42 Depth=3
	v_mul_lo_u32 v52, v58, 60
	s_mov_b32 s47, 0
	s_delay_alu instid0(VALU_DEP_1)
	v_add_nc_u32_e32 v59, v51, v52
	ds_load_b64 v[51:52], v59 offset:528
.LBB231_48:                             ;   Parent Loop BB231_17 Depth=1
                                        ;     Parent Loop BB231_20 Depth=2
                                        ;       Parent Loop BB231_42 Depth=3
                                        ; =>      This Inner Loop Header: Depth=4
	s_waitcnt lgkmcnt(0)
	v_add_f64 v[60:61], v[51:52], v[47:48]
	ds_cmpstore_rtn_b64 v[60:61], v59, v[60:61], v[51:52] offset:528
	s_waitcnt lgkmcnt(0)
	v_cmp_eq_u64_e32 vcc_lo, v[60:61], v[51:52]
	v_dual_mov_b32 v51, v60 :: v_dual_mov_b32 v52, v61
	s_or_b32 s47, vcc_lo, s47
	s_delay_alu instid0(SALU_CYCLE_1)
	s_and_not1_b32 exec_lo, exec_lo, s47
	s_cbranch_execnz .LBB231_48
; %bb.49:                               ;   in Loop: Header=BB231_42 Depth=3
	s_or_b32 exec_lo, exec_lo, s47
	ds_load_b64 v[51:52], v59 offset:536
	s_mov_b32 s47, 0
.LBB231_50:                             ;   Parent Loop BB231_17 Depth=1
                                        ;     Parent Loop BB231_20 Depth=2
                                        ;       Parent Loop BB231_42 Depth=3
                                        ; =>      This Inner Loop Header: Depth=4
	s_waitcnt lgkmcnt(0)
	v_add_f64 v[60:61], v[51:52], v[49:50]
	ds_cmpstore_rtn_b64 v[60:61], v59, v[60:61], v[51:52] offset:536
	s_waitcnt lgkmcnt(0)
	v_cmp_eq_u64_e32 vcc_lo, v[60:61], v[51:52]
	v_dual_mov_b32 v51, v60 :: v_dual_mov_b32 v52, v61
	s_or_b32 s47, vcc_lo, s47
	s_delay_alu instid0(SALU_CYCLE_1)
	s_and_not1_b32 exec_lo, exec_lo, s47
	s_cbranch_execnz .LBB231_50
; %bb.51:                               ;   in Loop: Header=BB231_42 Depth=3
	s_or_b32 exec_lo, exec_lo, s47
	s_delay_alu instid0(SALU_CYCLE_1)
	s_xor_b32 s47, exec_lo, -1
.LBB231_52:                             ;   in Loop: Header=BB231_42 Depth=3
	s_or_b32 exec_lo, exec_lo, s46
	s_delay_alu instid0(SALU_CYCLE_1) | instskip(SKIP_1) | instid1(SALU_CYCLE_1)
	s_and_not1_b32 s44, s44, exec_lo
	s_and_b32 s46, s47, exec_lo
	s_or_b32 s44, s44, s46
.LBB231_53:                             ;   in Loop: Header=BB231_42 Depth=3
	s_or_b32 exec_lo, exec_lo, s45
	s_delay_alu instid0(SALU_CYCLE_1)
	s_and_b32 s44, s44, exec_lo
                                        ; implicit-def: $vgpr51
.LBB231_54:                             ;   in Loop: Header=BB231_42 Depth=3
	s_and_not1_saveexec_b32 s43, s43
	s_cbranch_execz .LBB231_41
; %bb.55:                               ;   in Loop: Header=BB231_42 Depth=3
	v_mul_lo_u32 v52, v58, 60
	s_mov_b32 s45, 0
	s_delay_alu instid0(VALU_DEP_1)
	v_add_nc_u32_e32 v59, v51, v52
	ds_load_b64 v[51:52], v59 offset:528
.LBB231_56:                             ;   Parent Loop BB231_17 Depth=1
                                        ;     Parent Loop BB231_20 Depth=2
                                        ;       Parent Loop BB231_42 Depth=3
                                        ; =>      This Inner Loop Header: Depth=4
	s_waitcnt lgkmcnt(0)
	v_add_f64 v[60:61], v[51:52], v[47:48]
	ds_cmpstore_rtn_b64 v[60:61], v59, v[60:61], v[51:52] offset:528
	s_waitcnt lgkmcnt(0)
	v_cmp_eq_u64_e32 vcc_lo, v[60:61], v[51:52]
	v_dual_mov_b32 v51, v60 :: v_dual_mov_b32 v52, v61
	s_or_b32 s45, vcc_lo, s45
	s_delay_alu instid0(SALU_CYCLE_1)
	s_and_not1_b32 exec_lo, exec_lo, s45
	s_cbranch_execnz .LBB231_56
; %bb.57:                               ;   in Loop: Header=BB231_42 Depth=3
	s_or_b32 exec_lo, exec_lo, s45
	ds_load_b64 v[51:52], v59 offset:536
	s_mov_b32 s45, 0
.LBB231_58:                             ;   Parent Loop BB231_17 Depth=1
                                        ;     Parent Loop BB231_20 Depth=2
                                        ;       Parent Loop BB231_42 Depth=3
                                        ; =>      This Inner Loop Header: Depth=4
	s_waitcnt lgkmcnt(0)
	v_add_f64 v[60:61], v[51:52], v[49:50]
	ds_cmpstore_rtn_b64 v[60:61], v59, v[60:61], v[51:52] offset:536
	s_waitcnt lgkmcnt(0)
	v_cmp_eq_u64_e32 vcc_lo, v[60:61], v[51:52]
	v_dual_mov_b32 v51, v60 :: v_dual_mov_b32 v52, v61
	s_or_b32 s45, vcc_lo, s45
	s_delay_alu instid0(SALU_CYCLE_1)
	s_and_not1_b32 exec_lo, exec_lo, s45
	s_cbranch_execnz .LBB231_58
; %bb.59:                               ;   in Loop: Header=BB231_42 Depth=3
	s_or_b32 exec_lo, exec_lo, s45
	s_delay_alu instid0(SALU_CYCLE_1)
	s_and_not1_b32 s44, s44, exec_lo
	s_branch .LBB231_41
.LBB231_60:                             ;   in Loop: Header=BB231_20 Depth=2
	s_or_b32 exec_lo, exec_lo, s41
	v_mul_f64 v[47:48], v[15:16], -v[37:38]
	v_mul_f64 v[15:16], v[35:36], v[15:16]
	s_mov_b32 s41, 0
	s_delay_alu instid0(VALU_DEP_2) | instskip(NEXT) | instid1(VALU_DEP_2)
	v_fma_f64 v[47:48], v[35:36], v[13:14], v[47:48]
	v_fma_f64 v[13:14], v[37:38], v[13:14], v[15:16]
	s_delay_alu instid0(VALU_DEP_2) | instskip(NEXT) | instid1(VALU_DEP_2)
	v_fma_f64 v[15:16], v[43:44], v[9:10], v[47:48]
	v_fma_f64 v[13:14], v[45:46], v[9:10], v[13:14]
	s_delay_alu instid0(VALU_DEP_2) | instskip(NEXT) | instid1(VALU_DEP_2)
	v_fma_f64 v[9:10], -v[45:46], v[11:12], v[15:16]
	v_fma_f64 v[11:12], v[43:44], v[11:12], v[13:14]
	v_mov_b32_e32 v15, v57
	s_branch .LBB231_62
.LBB231_61:                             ;   in Loop: Header=BB231_62 Depth=3
	s_or_b32 exec_lo, exec_lo, s43
	s_xor_b32 s43, s44, -1
	s_delay_alu instid0(SALU_CYCLE_1) | instskip(NEXT) | instid1(SALU_CYCLE_1)
	s_and_b32 s43, exec_lo, s43
	s_or_b32 s41, s43, s41
	s_delay_alu instid0(SALU_CYCLE_1)
	s_and_not1_b32 exec_lo, exec_lo, s41
	s_cbranch_execz .LBB231_80
.LBB231_62:                             ;   Parent Loop BB231_17 Depth=1
                                        ;     Parent Loop BB231_20 Depth=2
                                        ; =>    This Loop Header: Depth=3
                                        ;         Child Loop BB231_68 Depth 4
                                        ;         Child Loop BB231_70 Depth 4
	;; [unrolled: 1-line block ×4, first 2 shown]
	s_delay_alu instid0(VALU_DEP_1)
	v_lshl_add_u32 v13, v15, 2, 0
	s_mov_b32 s43, exec_lo
                                        ; implicit-def: $sgpr44
	ds_load_b32 v14, v13
	s_waitcnt lgkmcnt(0)
	v_cmpx_ne_u32_e64 v14, v56
	s_xor_b32 s43, exec_lo, s43
	s_cbranch_execz .LBB231_74
; %bb.63:                               ;   in Loop: Header=BB231_62 Depth=3
	s_mov_b32 s45, exec_lo
                                        ; implicit-def: $sgpr44
	v_cmpx_ne_u32_e64 s33, v14
	s_xor_b32 s45, exec_lo, s45
; %bb.64:                               ;   in Loop: Header=BB231_62 Depth=3
	v_add_nc_u32_e32 v13, 1, v15
	s_mov_b32 s44, -1
	s_delay_alu instid0(VALU_DEP_1)
	v_and_b32_e32 v15, 0x7f, v13
                                        ; implicit-def: $vgpr13
; %bb.65:                               ;   in Loop: Header=BB231_62 Depth=3
	s_and_not1_saveexec_b32 s45, s45
	s_cbranch_execz .LBB231_73
; %bb.66:                               ;   in Loop: Header=BB231_62 Depth=3
	v_mov_b32_e32 v14, s33
	s_mov_b32 s47, -1
	s_mov_b32 s46, exec_lo
	ds_cmpstore_rtn_b32 v14, v13, v56, v14
	s_waitcnt lgkmcnt(0)
	v_cmpx_eq_u32_e64 s33, v14
	s_cbranch_execz .LBB231_72
; %bb.67:                               ;   in Loop: Header=BB231_62 Depth=3
	v_mul_lo_u32 v14, v15, 60
	s_mov_b32 s47, 0
	s_delay_alu instid0(VALU_DEP_1)
	v_add_nc_u32_e32 v16, v13, v14
	ds_load_b64 v[13:14], v16 offset:544
.LBB231_68:                             ;   Parent Loop BB231_17 Depth=1
                                        ;     Parent Loop BB231_20 Depth=2
                                        ;       Parent Loop BB231_62 Depth=3
                                        ; =>      This Inner Loop Header: Depth=4
	s_waitcnt lgkmcnt(0)
	v_add_f64 v[47:48], v[13:14], v[9:10]
	ds_cmpstore_rtn_b64 v[47:48], v16, v[47:48], v[13:14] offset:544
	s_waitcnt lgkmcnt(0)
	v_cmp_eq_u64_e32 vcc_lo, v[47:48], v[13:14]
	v_dual_mov_b32 v13, v47 :: v_dual_mov_b32 v14, v48
	s_or_b32 s47, vcc_lo, s47
	s_delay_alu instid0(SALU_CYCLE_1)
	s_and_not1_b32 exec_lo, exec_lo, s47
	s_cbranch_execnz .LBB231_68
; %bb.69:                               ;   in Loop: Header=BB231_62 Depth=3
	s_or_b32 exec_lo, exec_lo, s47
	ds_load_b64 v[13:14], v16 offset:552
	s_mov_b32 s47, 0
.LBB231_70:                             ;   Parent Loop BB231_17 Depth=1
                                        ;     Parent Loop BB231_20 Depth=2
                                        ;       Parent Loop BB231_62 Depth=3
                                        ; =>      This Inner Loop Header: Depth=4
	s_waitcnt lgkmcnt(0)
	v_add_f64 v[47:48], v[13:14], v[11:12]
	ds_cmpstore_rtn_b64 v[47:48], v16, v[47:48], v[13:14] offset:552
	s_waitcnt lgkmcnt(0)
	v_cmp_eq_u64_e32 vcc_lo, v[47:48], v[13:14]
	v_dual_mov_b32 v13, v47 :: v_dual_mov_b32 v14, v48
	s_or_b32 s47, vcc_lo, s47
	s_delay_alu instid0(SALU_CYCLE_1)
	s_and_not1_b32 exec_lo, exec_lo, s47
	s_cbranch_execnz .LBB231_70
; %bb.71:                               ;   in Loop: Header=BB231_62 Depth=3
	s_or_b32 exec_lo, exec_lo, s47
	s_delay_alu instid0(SALU_CYCLE_1)
	s_xor_b32 s47, exec_lo, -1
.LBB231_72:                             ;   in Loop: Header=BB231_62 Depth=3
	s_or_b32 exec_lo, exec_lo, s46
	s_delay_alu instid0(SALU_CYCLE_1) | instskip(SKIP_1) | instid1(SALU_CYCLE_1)
	s_and_not1_b32 s44, s44, exec_lo
	s_and_b32 s46, s47, exec_lo
	s_or_b32 s44, s44, s46
.LBB231_73:                             ;   in Loop: Header=BB231_62 Depth=3
	s_or_b32 exec_lo, exec_lo, s45
	s_delay_alu instid0(SALU_CYCLE_1)
	s_and_b32 s44, s44, exec_lo
                                        ; implicit-def: $vgpr13
.LBB231_74:                             ;   in Loop: Header=BB231_62 Depth=3
	s_and_not1_saveexec_b32 s43, s43
	s_cbranch_execz .LBB231_61
; %bb.75:                               ;   in Loop: Header=BB231_62 Depth=3
	v_mul_lo_u32 v14, v15, 60
	s_mov_b32 s45, 0
	s_delay_alu instid0(VALU_DEP_1)
	v_add_nc_u32_e32 v16, v13, v14
	ds_load_b64 v[13:14], v16 offset:544
.LBB231_76:                             ;   Parent Loop BB231_17 Depth=1
                                        ;     Parent Loop BB231_20 Depth=2
                                        ;       Parent Loop BB231_62 Depth=3
                                        ; =>      This Inner Loop Header: Depth=4
	s_waitcnt lgkmcnt(0)
	v_add_f64 v[47:48], v[13:14], v[9:10]
	ds_cmpstore_rtn_b64 v[47:48], v16, v[47:48], v[13:14] offset:544
	s_waitcnt lgkmcnt(0)
	v_cmp_eq_u64_e32 vcc_lo, v[47:48], v[13:14]
	v_dual_mov_b32 v13, v47 :: v_dual_mov_b32 v14, v48
	s_or_b32 s45, vcc_lo, s45
	s_delay_alu instid0(SALU_CYCLE_1)
	s_and_not1_b32 exec_lo, exec_lo, s45
	s_cbranch_execnz .LBB231_76
; %bb.77:                               ;   in Loop: Header=BB231_62 Depth=3
	s_or_b32 exec_lo, exec_lo, s45
	ds_load_b64 v[13:14], v16 offset:552
	s_mov_b32 s45, 0
.LBB231_78:                             ;   Parent Loop BB231_17 Depth=1
                                        ;     Parent Loop BB231_20 Depth=2
                                        ;       Parent Loop BB231_62 Depth=3
                                        ; =>      This Inner Loop Header: Depth=4
	s_waitcnt lgkmcnt(0)
	v_add_f64 v[47:48], v[13:14], v[11:12]
	ds_cmpstore_rtn_b64 v[47:48], v16, v[47:48], v[13:14] offset:552
	s_waitcnt lgkmcnt(0)
	v_cmp_eq_u64_e32 vcc_lo, v[47:48], v[13:14]
	v_dual_mov_b32 v13, v47 :: v_dual_mov_b32 v14, v48
	s_or_b32 s45, vcc_lo, s45
	s_delay_alu instid0(SALU_CYCLE_1)
	s_and_not1_b32 exec_lo, exec_lo, s45
	s_cbranch_execnz .LBB231_78
; %bb.79:                               ;   in Loop: Header=BB231_62 Depth=3
	s_or_b32 exec_lo, exec_lo, s45
	s_delay_alu instid0(SALU_CYCLE_1)
	s_and_not1_b32 s44, s44, exec_lo
	s_branch .LBB231_61
.LBB231_80:                             ;   in Loop: Header=BB231_20 Depth=2
	s_or_b32 exec_lo, exec_lo, s41
	v_mul_f64 v[9:10], v[7:8], -v[37:38]
	v_mul_f64 v[7:8], v[35:36], v[7:8]
	s_mov_b32 s41, 0
	s_delay_alu instid0(VALU_DEP_2) | instskip(NEXT) | instid1(VALU_DEP_2)
	v_fma_f64 v[9:10], v[35:36], v[5:6], v[9:10]
	v_fma_f64 v[5:6], v[37:38], v[5:6], v[7:8]
	s_delay_alu instid0(VALU_DEP_2) | instskip(NEXT) | instid1(VALU_DEP_2)
	v_fma_f64 v[7:8], v[43:44], v[1:2], v[9:10]
	v_fma_f64 v[5:6], v[45:46], v[1:2], v[5:6]
	s_delay_alu instid0(VALU_DEP_2) | instskip(NEXT) | instid1(VALU_DEP_2)
	v_fma_f64 v[1:2], -v[45:46], v[3:4], v[7:8]
	v_fma_f64 v[3:4], v[43:44], v[3:4], v[5:6]
	s_branch .LBB231_82
.LBB231_81:                             ;   in Loop: Header=BB231_82 Depth=3
	s_or_b32 exec_lo, exec_lo, s43
	s_xor_b32 s43, s44, -1
	s_delay_alu instid0(SALU_CYCLE_1) | instskip(NEXT) | instid1(SALU_CYCLE_1)
	s_and_b32 s43, exec_lo, s43
	s_or_b32 s41, s43, s41
	s_delay_alu instid0(SALU_CYCLE_1)
	s_and_not1_b32 exec_lo, exec_lo, s41
	s_cbranch_execz .LBB231_19
.LBB231_82:                             ;   Parent Loop BB231_17 Depth=1
                                        ;     Parent Loop BB231_20 Depth=2
                                        ; =>    This Loop Header: Depth=3
                                        ;         Child Loop BB231_88 Depth 4
                                        ;         Child Loop BB231_90 Depth 4
	;; [unrolled: 1-line block ×4, first 2 shown]
	v_lshl_add_u32 v5, v57, 2, 0
	s_mov_b32 s43, exec_lo
                                        ; implicit-def: $sgpr44
	ds_load_b32 v6, v5
	s_waitcnt lgkmcnt(0)
	v_cmpx_ne_u32_e64 v6, v56
	s_xor_b32 s43, exec_lo, s43
	s_cbranch_execz .LBB231_94
; %bb.83:                               ;   in Loop: Header=BB231_82 Depth=3
	s_mov_b32 s45, exec_lo
                                        ; implicit-def: $sgpr44
	v_cmpx_ne_u32_e64 s33, v6
	s_xor_b32 s45, exec_lo, s45
; %bb.84:                               ;   in Loop: Header=BB231_82 Depth=3
	v_add_nc_u32_e32 v5, 1, v57
	s_mov_b32 s44, -1
	s_delay_alu instid0(VALU_DEP_1)
	v_and_b32_e32 v57, 0x7f, v5
                                        ; implicit-def: $vgpr5
; %bb.85:                               ;   in Loop: Header=BB231_82 Depth=3
	s_and_not1_saveexec_b32 s45, s45
	s_cbranch_execz .LBB231_93
; %bb.86:                               ;   in Loop: Header=BB231_82 Depth=3
	v_mov_b32_e32 v6, s33
	s_mov_b32 s47, -1
	s_mov_b32 s46, exec_lo
	ds_cmpstore_rtn_b32 v6, v5, v56, v6
	s_waitcnt lgkmcnt(0)
	v_cmpx_eq_u32_e64 s33, v6
	s_cbranch_execz .LBB231_92
; %bb.87:                               ;   in Loop: Header=BB231_82 Depth=3
	v_mul_lo_u32 v6, v57, 60
	s_mov_b32 s47, 0
	s_delay_alu instid0(VALU_DEP_1)
	v_add_nc_u32_e32 v7, v5, v6
	ds_load_b64 v[5:6], v7 offset:560
.LBB231_88:                             ;   Parent Loop BB231_17 Depth=1
                                        ;     Parent Loop BB231_20 Depth=2
                                        ;       Parent Loop BB231_82 Depth=3
                                        ; =>      This Inner Loop Header: Depth=4
	s_waitcnt lgkmcnt(0)
	v_add_f64 v[8:9], v[5:6], v[1:2]
	ds_cmpstore_rtn_b64 v[8:9], v7, v[8:9], v[5:6] offset:560
	s_waitcnt lgkmcnt(0)
	v_cmp_eq_u64_e32 vcc_lo, v[8:9], v[5:6]
	v_dual_mov_b32 v5, v8 :: v_dual_mov_b32 v6, v9
	s_or_b32 s47, vcc_lo, s47
	s_delay_alu instid0(SALU_CYCLE_1)
	s_and_not1_b32 exec_lo, exec_lo, s47
	s_cbranch_execnz .LBB231_88
; %bb.89:                               ;   in Loop: Header=BB231_82 Depth=3
	s_or_b32 exec_lo, exec_lo, s47
	ds_load_b64 v[5:6], v7 offset:568
	s_mov_b32 s47, 0
.LBB231_90:                             ;   Parent Loop BB231_17 Depth=1
                                        ;     Parent Loop BB231_20 Depth=2
                                        ;       Parent Loop BB231_82 Depth=3
                                        ; =>      This Inner Loop Header: Depth=4
	s_waitcnt lgkmcnt(0)
	v_add_f64 v[8:9], v[5:6], v[3:4]
	ds_cmpstore_rtn_b64 v[8:9], v7, v[8:9], v[5:6] offset:568
	s_waitcnt lgkmcnt(0)
	v_cmp_eq_u64_e32 vcc_lo, v[8:9], v[5:6]
	v_dual_mov_b32 v5, v8 :: v_dual_mov_b32 v6, v9
	s_or_b32 s47, vcc_lo, s47
	s_delay_alu instid0(SALU_CYCLE_1)
	s_and_not1_b32 exec_lo, exec_lo, s47
	s_cbranch_execnz .LBB231_90
; %bb.91:                               ;   in Loop: Header=BB231_82 Depth=3
	s_or_b32 exec_lo, exec_lo, s47
	s_delay_alu instid0(SALU_CYCLE_1)
	s_xor_b32 s47, exec_lo, -1
.LBB231_92:                             ;   in Loop: Header=BB231_82 Depth=3
	s_or_b32 exec_lo, exec_lo, s46
	s_delay_alu instid0(SALU_CYCLE_1) | instskip(SKIP_1) | instid1(SALU_CYCLE_1)
	s_and_not1_b32 s44, s44, exec_lo
	s_and_b32 s46, s47, exec_lo
	s_or_b32 s44, s44, s46
.LBB231_93:                             ;   in Loop: Header=BB231_82 Depth=3
	s_or_b32 exec_lo, exec_lo, s45
	s_delay_alu instid0(SALU_CYCLE_1)
	s_and_b32 s44, s44, exec_lo
                                        ; implicit-def: $vgpr5
.LBB231_94:                             ;   in Loop: Header=BB231_82 Depth=3
	s_and_not1_saveexec_b32 s43, s43
	s_cbranch_execz .LBB231_81
; %bb.95:                               ;   in Loop: Header=BB231_82 Depth=3
	v_mul_lo_u32 v6, v57, 60
	s_mov_b32 s45, 0
	s_delay_alu instid0(VALU_DEP_1)
	v_add_nc_u32_e32 v7, v5, v6
	ds_load_b64 v[5:6], v7 offset:560
.LBB231_96:                             ;   Parent Loop BB231_17 Depth=1
                                        ;     Parent Loop BB231_20 Depth=2
                                        ;       Parent Loop BB231_82 Depth=3
                                        ; =>      This Inner Loop Header: Depth=4
	s_waitcnt lgkmcnt(0)
	v_add_f64 v[8:9], v[5:6], v[1:2]
	ds_cmpstore_rtn_b64 v[8:9], v7, v[8:9], v[5:6] offset:560
	s_waitcnt lgkmcnt(0)
	v_cmp_eq_u64_e32 vcc_lo, v[8:9], v[5:6]
	v_dual_mov_b32 v5, v8 :: v_dual_mov_b32 v6, v9
	s_or_b32 s45, vcc_lo, s45
	s_delay_alu instid0(SALU_CYCLE_1)
	s_and_not1_b32 exec_lo, exec_lo, s45
	s_cbranch_execnz .LBB231_96
; %bb.97:                               ;   in Loop: Header=BB231_82 Depth=3
	s_or_b32 exec_lo, exec_lo, s45
	ds_load_b64 v[5:6], v7 offset:568
	s_mov_b32 s45, 0
.LBB231_98:                             ;   Parent Loop BB231_17 Depth=1
                                        ;     Parent Loop BB231_20 Depth=2
                                        ;       Parent Loop BB231_82 Depth=3
                                        ; =>      This Inner Loop Header: Depth=4
	s_waitcnt lgkmcnt(0)
	v_add_f64 v[8:9], v[5:6], v[3:4]
	ds_cmpstore_rtn_b64 v[8:9], v7, v[8:9], v[5:6] offset:568
	s_waitcnt lgkmcnt(0)
	v_cmp_eq_u64_e32 vcc_lo, v[8:9], v[5:6]
	v_dual_mov_b32 v5, v8 :: v_dual_mov_b32 v6, v9
	s_or_b32 s45, vcc_lo, s45
	s_delay_alu instid0(SALU_CYCLE_1)
	s_and_not1_b32 exec_lo, exec_lo, s45
	s_cbranch_execnz .LBB231_98
; %bb.99:                               ;   in Loop: Header=BB231_82 Depth=3
	s_or_b32 exec_lo, exec_lo, s45
	s_delay_alu instid0(SALU_CYCLE_1)
	s_and_not1_b32 s44, s44, exec_lo
	s_branch .LBB231_81
.LBB231_100:
	s_or_b32 exec_lo, exec_lo, s12
.LBB231_101:
	s_delay_alu instid0(SALU_CYCLE_1)
	s_and_not1_b32 vcc_lo, exec_lo, s42
	s_barrier
	buffer_gl0_inv
	s_cbranch_vccnz .LBB231_186
; %bb.102:
	s_lshl_b64 s[0:1], s[34:35], 3
	s_delay_alu instid0(SALU_CYCLE_1) | instskip(SKIP_4) | instid1(VALU_DEP_1)
	s_add_u32 s0, s4, s0
	s_addc_u32 s1, s5, s1
	s_mov_b32 s5, 0
	s_load_b128 s[12:15], s[0:1], 0x0
	v_sub_co_u32 v1, s0, v0, s23
	v_sub_co_ci_u32_e64 v2, null, 0, 0, s0
	s_mov_b32 s4, exec_lo
	s_waitcnt lgkmcnt(0)
	s_delay_alu instid0(VALU_DEP_2) | instskip(NEXT) | instid1(VALU_DEP_2)
	v_add_co_u32 v13, vcc_lo, s12, v1
	v_add_co_ci_u32_e32 v14, vcc_lo, s13, v2, vcc_lo
	s_sub_u32 s0, s14, s23
	s_subb_u32 s1, s15, 0
	s_delay_alu instid0(VALU_DEP_1) | instid1(SALU_CYCLE_1)
	v_cmpx_gt_i64_e64 s[0:1], v[13:14]
	s_cbranch_execz .LBB231_185
; %bb.103:
	s_cmp_eq_u32 s3, 0
	s_cselect_b32 s12, 1, 2
	s_cselect_b32 s13, 2, 1
	s_branch .LBB231_105
.LBB231_104:                            ;   in Loop: Header=BB231_105 Depth=1
	s_or_b32 exec_lo, exec_lo, s14
	v_add_co_u32 v13, vcc_lo, 0x100, v13
	v_add_co_ci_u32_e32 v14, vcc_lo, 0, v14, vcc_lo
	s_delay_alu instid0(VALU_DEP_1) | instskip(SKIP_1) | instid1(SALU_CYCLE_1)
	v_cmp_le_i64_e32 vcc_lo, s[0:1], v[13:14]
	s_or_b32 s5, vcc_lo, s5
	s_and_not1_b32 exec_lo, exec_lo, s5
	s_cbranch_execz .LBB231_185
.LBB231_105:                            ; =>This Loop Header: Depth=1
                                        ;     Child Loop BB231_107 Depth 2
                                        ;       Child Loop BB231_113 Depth 3
                                        ;       Child Loop BB231_115 Depth 3
                                        ;       Child Loop BB231_121 Depth 3
                                        ;       Child Loop BB231_123 Depth 3
                                        ;     Child Loop BB231_127 Depth 2
                                        ;       Child Loop BB231_133 Depth 3
                                        ;       Child Loop BB231_135 Depth 3
                                        ;       Child Loop BB231_141 Depth 3
                                        ;       Child Loop BB231_143 Depth 3
	;; [unrolled: 5-line block ×4, first 2 shown]
	v_lshlrev_b64 v[1:2], 6, v[13:14]
	v_lshlrev_b64 v[3:4], 2, v[13:14]
	s_mov_b32 s14, 0
	s_delay_alu instid0(VALU_DEP_2) | instskip(NEXT) | instid1(VALU_DEP_3)
	v_add_co_u32 v1, vcc_lo, s8, v1
	v_add_co_ci_u32_e32 v2, vcc_lo, s9, v2, vcc_lo
	s_delay_alu instid0(VALU_DEP_3) | instskip(NEXT) | instid1(VALU_DEP_4)
	v_add_co_u32 v5, vcc_lo, s6, v3
	v_add_co_ci_u32_e32 v6, vcc_lo, s7, v4, vcc_lo
	global_load_b128 v[21:24], v[1:2], off
	v_or_b32_e32 v8, 0, v4
	v_or_b32_e32 v7, s12, v3
	global_load_b32 v25, v[5:6], off
	v_or_b32_e32 v4, 0, v4
	v_or_b32_e32 v3, s13, v3
	v_lshlrev_b64 v[5:6], 4, v[7:8]
	s_delay_alu instid0(VALU_DEP_2) | instskip(NEXT) | instid1(VALU_DEP_2)
	v_lshlrev_b64 v[3:4], 4, v[3:4]
	v_add_co_u32 v5, vcc_lo, s8, v5
	s_delay_alu instid0(VALU_DEP_3) | instskip(NEXT) | instid1(VALU_DEP_3)
	v_add_co_ci_u32_e32 v6, vcc_lo, s9, v6, vcc_lo
	v_add_co_u32 v7, vcc_lo, s8, v3
	s_delay_alu instid0(VALU_DEP_4)
	v_add_co_ci_u32_e32 v8, vcc_lo, s9, v4, vcc_lo
	s_clause 0x2
	global_load_b128 v[1:4], v[1:2], off offset:48
	global_load_b128 v[9:12], v[5:6], off
	global_load_b128 v[5:8], v[7:8], off
	s_waitcnt vmcnt(4)
	v_mul_f64 v[15:16], v[23:24], -v[17:18]
	v_mul_f64 v[23:24], v[19:20], v[23:24]
	s_waitcnt vmcnt(3)
	v_subrev_nc_u32_e32 v25, s23, v25
	s_delay_alu instid0(VALU_DEP_3) | instskip(NEXT) | instid1(VALU_DEP_3)
	v_fma_f64 v[15:16], v[19:20], v[21:22], v[15:16]
	v_fma_f64 v[21:22], v[17:18], v[21:22], v[23:24]
	s_delay_alu instid0(VALU_DEP_3) | instskip(NEXT) | instid1(VALU_DEP_1)
	v_lshl_add_u32 v23, v25, 3, v25
	v_and_b32_e32 v26, 0x7f, v23
	s_delay_alu instid0(VALU_DEP_1)
	v_mov_b32_e32 v27, v26
	s_branch .LBB231_107
.LBB231_106:                            ;   in Loop: Header=BB231_107 Depth=2
	s_or_b32 exec_lo, exec_lo, s15
	s_xor_b32 s15, s16, -1
	s_delay_alu instid0(SALU_CYCLE_1) | instskip(NEXT) | instid1(SALU_CYCLE_1)
	s_and_b32 s15, exec_lo, s15
	s_or_b32 s14, s15, s14
	s_delay_alu instid0(SALU_CYCLE_1)
	s_and_not1_b32 exec_lo, exec_lo, s14
	s_cbranch_execz .LBB231_125
.LBB231_107:                            ;   Parent Loop BB231_105 Depth=1
                                        ; =>  This Loop Header: Depth=2
                                        ;       Child Loop BB231_113 Depth 3
                                        ;       Child Loop BB231_115 Depth 3
                                        ;       Child Loop BB231_121 Depth 3
                                        ;       Child Loop BB231_123 Depth 3
	s_delay_alu instid0(VALU_DEP_1)
	v_lshl_add_u32 v23, v27, 2, 0
	s_mov_b32 s15, exec_lo
                                        ; implicit-def: $sgpr16
	ds_load_b32 v24, v23
	s_waitcnt lgkmcnt(0)
	v_cmpx_ne_u32_e64 v24, v25
	s_xor_b32 s15, exec_lo, s15
	s_cbranch_execz .LBB231_119
; %bb.108:                              ;   in Loop: Header=BB231_107 Depth=2
	s_mov_b32 s17, exec_lo
                                        ; implicit-def: $sgpr16
	v_cmpx_ne_u32_e64 s33, v24
	s_xor_b32 s17, exec_lo, s17
; %bb.109:                              ;   in Loop: Header=BB231_107 Depth=2
	v_add_nc_u32_e32 v23, 1, v27
	s_mov_b32 s16, -1
	s_delay_alu instid0(VALU_DEP_1)
	v_and_b32_e32 v27, 0x7f, v23
                                        ; implicit-def: $vgpr23
; %bb.110:                              ;   in Loop: Header=BB231_107 Depth=2
	s_and_not1_saveexec_b32 s17, s17
	s_cbranch_execz .LBB231_118
; %bb.111:                              ;   in Loop: Header=BB231_107 Depth=2
	v_mov_b32_e32 v24, s33
	s_mov_b32 s19, -1
	s_mov_b32 s18, exec_lo
	ds_cmpstore_rtn_b32 v24, v23, v25, v24
	s_waitcnt lgkmcnt(0)
	v_cmpx_eq_u32_e64 s33, v24
	s_cbranch_execz .LBB231_117
; %bb.112:                              ;   in Loop: Header=BB231_107 Depth=2
	v_mul_lo_u32 v24, v27, 60
	s_mov_b32 s19, 0
	s_delay_alu instid0(VALU_DEP_1)
	v_add_nc_u32_e32 v28, v23, v24
	ds_load_b64 v[23:24], v28 offset:512
.LBB231_113:                            ;   Parent Loop BB231_105 Depth=1
                                        ;     Parent Loop BB231_107 Depth=2
                                        ; =>    This Inner Loop Header: Depth=3
	s_waitcnt lgkmcnt(0)
	v_add_f64 v[29:30], v[23:24], v[15:16]
	ds_cmpstore_rtn_b64 v[29:30], v28, v[29:30], v[23:24] offset:512
	s_waitcnt lgkmcnt(0)
	v_cmp_eq_u64_e32 vcc_lo, v[29:30], v[23:24]
	v_dual_mov_b32 v23, v29 :: v_dual_mov_b32 v24, v30
	s_or_b32 s19, vcc_lo, s19
	s_delay_alu instid0(SALU_CYCLE_1)
	s_and_not1_b32 exec_lo, exec_lo, s19
	s_cbranch_execnz .LBB231_113
; %bb.114:                              ;   in Loop: Header=BB231_107 Depth=2
	s_or_b32 exec_lo, exec_lo, s19
	ds_load_b64 v[23:24], v28 offset:520
	s_mov_b32 s19, 0
.LBB231_115:                            ;   Parent Loop BB231_105 Depth=1
                                        ;     Parent Loop BB231_107 Depth=2
                                        ; =>    This Inner Loop Header: Depth=3
	s_waitcnt lgkmcnt(0)
	v_add_f64 v[29:30], v[23:24], v[21:22]
	ds_cmpstore_rtn_b64 v[29:30], v28, v[29:30], v[23:24] offset:520
	s_waitcnt lgkmcnt(0)
	v_cmp_eq_u64_e32 vcc_lo, v[29:30], v[23:24]
	v_dual_mov_b32 v23, v29 :: v_dual_mov_b32 v24, v30
	s_or_b32 s19, vcc_lo, s19
	s_delay_alu instid0(SALU_CYCLE_1)
	s_and_not1_b32 exec_lo, exec_lo, s19
	s_cbranch_execnz .LBB231_115
; %bb.116:                              ;   in Loop: Header=BB231_107 Depth=2
	s_or_b32 exec_lo, exec_lo, s19
	s_delay_alu instid0(SALU_CYCLE_1)
	s_xor_b32 s19, exec_lo, -1
.LBB231_117:                            ;   in Loop: Header=BB231_107 Depth=2
	s_or_b32 exec_lo, exec_lo, s18
	s_delay_alu instid0(SALU_CYCLE_1) | instskip(SKIP_1) | instid1(SALU_CYCLE_1)
	s_and_not1_b32 s16, s16, exec_lo
	s_and_b32 s18, s19, exec_lo
	s_or_b32 s16, s16, s18
.LBB231_118:                            ;   in Loop: Header=BB231_107 Depth=2
	s_or_b32 exec_lo, exec_lo, s17
	s_delay_alu instid0(SALU_CYCLE_1)
	s_and_b32 s16, s16, exec_lo
                                        ; implicit-def: $vgpr23
.LBB231_119:                            ;   in Loop: Header=BB231_107 Depth=2
	s_and_not1_saveexec_b32 s15, s15
	s_cbranch_execz .LBB231_106
; %bb.120:                              ;   in Loop: Header=BB231_107 Depth=2
	v_mul_lo_u32 v24, v27, 60
	s_mov_b32 s17, 0
	s_delay_alu instid0(VALU_DEP_1)
	v_add_nc_u32_e32 v28, v23, v24
	ds_load_b64 v[23:24], v28 offset:512
.LBB231_121:                            ;   Parent Loop BB231_105 Depth=1
                                        ;     Parent Loop BB231_107 Depth=2
                                        ; =>    This Inner Loop Header: Depth=3
	s_waitcnt lgkmcnt(0)
	v_add_f64 v[29:30], v[23:24], v[15:16]
	ds_cmpstore_rtn_b64 v[29:30], v28, v[29:30], v[23:24] offset:512
	s_waitcnt lgkmcnt(0)
	v_cmp_eq_u64_e32 vcc_lo, v[29:30], v[23:24]
	v_dual_mov_b32 v23, v29 :: v_dual_mov_b32 v24, v30
	s_or_b32 s17, vcc_lo, s17
	s_delay_alu instid0(SALU_CYCLE_1)
	s_and_not1_b32 exec_lo, exec_lo, s17
	s_cbranch_execnz .LBB231_121
; %bb.122:                              ;   in Loop: Header=BB231_107 Depth=2
	s_or_b32 exec_lo, exec_lo, s17
	ds_load_b64 v[23:24], v28 offset:520
	s_mov_b32 s17, 0
.LBB231_123:                            ;   Parent Loop BB231_105 Depth=1
                                        ;     Parent Loop BB231_107 Depth=2
                                        ; =>    This Inner Loop Header: Depth=3
	s_waitcnt lgkmcnt(0)
	v_add_f64 v[29:30], v[23:24], v[21:22]
	ds_cmpstore_rtn_b64 v[29:30], v28, v[29:30], v[23:24] offset:520
	s_waitcnt lgkmcnt(0)
	v_cmp_eq_u64_e32 vcc_lo, v[29:30], v[23:24]
	v_dual_mov_b32 v23, v29 :: v_dual_mov_b32 v24, v30
	s_or_b32 s17, vcc_lo, s17
	s_delay_alu instid0(SALU_CYCLE_1)
	s_and_not1_b32 exec_lo, exec_lo, s17
	s_cbranch_execnz .LBB231_123
; %bb.124:                              ;   in Loop: Header=BB231_107 Depth=2
	s_or_b32 exec_lo, exec_lo, s17
	s_delay_alu instid0(SALU_CYCLE_1)
	s_and_not1_b32 s16, s16, exec_lo
	s_branch .LBB231_106
.LBB231_125:                            ;   in Loop: Header=BB231_105 Depth=1
	s_or_b32 exec_lo, exec_lo, s14
	s_waitcnt vmcnt(1)
	v_mul_f64 v[15:16], v[11:12], -v[17:18]
	v_mul_f64 v[21:22], v[19:20], v[11:12]
	s_mov_b32 s14, 0
	s_delay_alu instid0(VALU_DEP_2) | instskip(NEXT) | instid1(VALU_DEP_2)
	v_fma_f64 v[11:12], v[19:20], v[9:10], v[15:16]
	v_fma_f64 v[9:10], v[17:18], v[9:10], v[21:22]
	v_mov_b32_e32 v21, v26
	s_branch .LBB231_127
.LBB231_126:                            ;   in Loop: Header=BB231_127 Depth=2
	s_or_b32 exec_lo, exec_lo, s15
	s_xor_b32 s15, s16, -1
	s_delay_alu instid0(SALU_CYCLE_1) | instskip(NEXT) | instid1(SALU_CYCLE_1)
	s_and_b32 s15, exec_lo, s15
	s_or_b32 s14, s15, s14
	s_delay_alu instid0(SALU_CYCLE_1)
	s_and_not1_b32 exec_lo, exec_lo, s14
	s_cbranch_execz .LBB231_145
.LBB231_127:                            ;   Parent Loop BB231_105 Depth=1
                                        ; =>  This Loop Header: Depth=2
                                        ;       Child Loop BB231_133 Depth 3
                                        ;       Child Loop BB231_135 Depth 3
	;; [unrolled: 1-line block ×4, first 2 shown]
	s_delay_alu instid0(VALU_DEP_1)
	v_lshl_add_u32 v15, v21, 2, 0
	s_mov_b32 s15, exec_lo
                                        ; implicit-def: $sgpr16
	ds_load_b32 v16, v15
	s_waitcnt lgkmcnt(0)
	v_cmpx_ne_u32_e64 v16, v25
	s_xor_b32 s15, exec_lo, s15
	s_cbranch_execz .LBB231_139
; %bb.128:                              ;   in Loop: Header=BB231_127 Depth=2
	s_mov_b32 s17, exec_lo
                                        ; implicit-def: $sgpr16
	v_cmpx_ne_u32_e64 s33, v16
	s_xor_b32 s17, exec_lo, s17
; %bb.129:                              ;   in Loop: Header=BB231_127 Depth=2
	v_add_nc_u32_e32 v15, 1, v21
	s_mov_b32 s16, -1
	s_delay_alu instid0(VALU_DEP_1)
	v_and_b32_e32 v21, 0x7f, v15
                                        ; implicit-def: $vgpr15
; %bb.130:                              ;   in Loop: Header=BB231_127 Depth=2
	s_and_not1_saveexec_b32 s17, s17
	s_cbranch_execz .LBB231_138
; %bb.131:                              ;   in Loop: Header=BB231_127 Depth=2
	v_mov_b32_e32 v16, s33
	s_mov_b32 s19, -1
	s_mov_b32 s18, exec_lo
	ds_cmpstore_rtn_b32 v16, v15, v25, v16
	s_waitcnt lgkmcnt(0)
	v_cmpx_eq_u32_e64 s33, v16
	s_cbranch_execz .LBB231_137
; %bb.132:                              ;   in Loop: Header=BB231_127 Depth=2
	v_mul_lo_u32 v16, v21, 60
	s_mov_b32 s19, 0
	s_delay_alu instid0(VALU_DEP_1)
	v_add_nc_u32_e32 v22, v15, v16
	ds_load_b64 v[15:16], v22 offset:528
.LBB231_133:                            ;   Parent Loop BB231_105 Depth=1
                                        ;     Parent Loop BB231_127 Depth=2
                                        ; =>    This Inner Loop Header: Depth=3
	s_waitcnt lgkmcnt(0)
	v_add_f64 v[23:24], v[15:16], v[11:12]
	ds_cmpstore_rtn_b64 v[23:24], v22, v[23:24], v[15:16] offset:528
	s_waitcnt lgkmcnt(0)
	v_cmp_eq_u64_e32 vcc_lo, v[23:24], v[15:16]
	v_dual_mov_b32 v15, v23 :: v_dual_mov_b32 v16, v24
	s_or_b32 s19, vcc_lo, s19
	s_delay_alu instid0(SALU_CYCLE_1)
	s_and_not1_b32 exec_lo, exec_lo, s19
	s_cbranch_execnz .LBB231_133
; %bb.134:                              ;   in Loop: Header=BB231_127 Depth=2
	s_or_b32 exec_lo, exec_lo, s19
	ds_load_b64 v[15:16], v22 offset:536
	s_mov_b32 s19, 0
.LBB231_135:                            ;   Parent Loop BB231_105 Depth=1
                                        ;     Parent Loop BB231_127 Depth=2
                                        ; =>    This Inner Loop Header: Depth=3
	s_waitcnt lgkmcnt(0)
	v_add_f64 v[23:24], v[15:16], v[9:10]
	ds_cmpstore_rtn_b64 v[23:24], v22, v[23:24], v[15:16] offset:536
	s_waitcnt lgkmcnt(0)
	v_cmp_eq_u64_e32 vcc_lo, v[23:24], v[15:16]
	v_dual_mov_b32 v15, v23 :: v_dual_mov_b32 v16, v24
	s_or_b32 s19, vcc_lo, s19
	s_delay_alu instid0(SALU_CYCLE_1)
	s_and_not1_b32 exec_lo, exec_lo, s19
	s_cbranch_execnz .LBB231_135
; %bb.136:                              ;   in Loop: Header=BB231_127 Depth=2
	s_or_b32 exec_lo, exec_lo, s19
	s_delay_alu instid0(SALU_CYCLE_1)
	s_xor_b32 s19, exec_lo, -1
.LBB231_137:                            ;   in Loop: Header=BB231_127 Depth=2
	s_or_b32 exec_lo, exec_lo, s18
	s_delay_alu instid0(SALU_CYCLE_1) | instskip(SKIP_1) | instid1(SALU_CYCLE_1)
	s_and_not1_b32 s16, s16, exec_lo
	s_and_b32 s18, s19, exec_lo
	s_or_b32 s16, s16, s18
.LBB231_138:                            ;   in Loop: Header=BB231_127 Depth=2
	s_or_b32 exec_lo, exec_lo, s17
	s_delay_alu instid0(SALU_CYCLE_1)
	s_and_b32 s16, s16, exec_lo
                                        ; implicit-def: $vgpr15
.LBB231_139:                            ;   in Loop: Header=BB231_127 Depth=2
	s_and_not1_saveexec_b32 s15, s15
	s_cbranch_execz .LBB231_126
; %bb.140:                              ;   in Loop: Header=BB231_127 Depth=2
	v_mul_lo_u32 v16, v21, 60
	s_mov_b32 s17, 0
	s_delay_alu instid0(VALU_DEP_1)
	v_add_nc_u32_e32 v22, v15, v16
	ds_load_b64 v[15:16], v22 offset:528
.LBB231_141:                            ;   Parent Loop BB231_105 Depth=1
                                        ;     Parent Loop BB231_127 Depth=2
                                        ; =>    This Inner Loop Header: Depth=3
	s_waitcnt lgkmcnt(0)
	v_add_f64 v[23:24], v[15:16], v[11:12]
	ds_cmpstore_rtn_b64 v[23:24], v22, v[23:24], v[15:16] offset:528
	s_waitcnt lgkmcnt(0)
	v_cmp_eq_u64_e32 vcc_lo, v[23:24], v[15:16]
	v_dual_mov_b32 v15, v23 :: v_dual_mov_b32 v16, v24
	s_or_b32 s17, vcc_lo, s17
	s_delay_alu instid0(SALU_CYCLE_1)
	s_and_not1_b32 exec_lo, exec_lo, s17
	s_cbranch_execnz .LBB231_141
; %bb.142:                              ;   in Loop: Header=BB231_127 Depth=2
	s_or_b32 exec_lo, exec_lo, s17
	ds_load_b64 v[15:16], v22 offset:536
	s_mov_b32 s17, 0
.LBB231_143:                            ;   Parent Loop BB231_105 Depth=1
                                        ;     Parent Loop BB231_127 Depth=2
                                        ; =>    This Inner Loop Header: Depth=3
	s_waitcnt lgkmcnt(0)
	v_add_f64 v[23:24], v[15:16], v[9:10]
	ds_cmpstore_rtn_b64 v[23:24], v22, v[23:24], v[15:16] offset:536
	s_waitcnt lgkmcnt(0)
	v_cmp_eq_u64_e32 vcc_lo, v[23:24], v[15:16]
	v_dual_mov_b32 v15, v23 :: v_dual_mov_b32 v16, v24
	s_or_b32 s17, vcc_lo, s17
	s_delay_alu instid0(SALU_CYCLE_1)
	s_and_not1_b32 exec_lo, exec_lo, s17
	s_cbranch_execnz .LBB231_143
; %bb.144:                              ;   in Loop: Header=BB231_127 Depth=2
	s_or_b32 exec_lo, exec_lo, s17
	s_delay_alu instid0(SALU_CYCLE_1)
	s_and_not1_b32 s16, s16, exec_lo
	s_branch .LBB231_126
.LBB231_145:                            ;   in Loop: Header=BB231_105 Depth=1
	s_or_b32 exec_lo, exec_lo, s14
	s_waitcnt vmcnt(0)
	v_mul_f64 v[9:10], v[7:8], -v[17:18]
	v_mul_f64 v[11:12], v[19:20], v[7:8]
	s_mov_b32 s14, 0
	s_delay_alu instid0(VALU_DEP_2) | instskip(NEXT) | instid1(VALU_DEP_2)
	v_fma_f64 v[7:8], v[19:20], v[5:6], v[9:10]
	v_fma_f64 v[5:6], v[17:18], v[5:6], v[11:12]
	v_mov_b32_e32 v11, v26
	s_branch .LBB231_147
.LBB231_146:                            ;   in Loop: Header=BB231_147 Depth=2
	s_or_b32 exec_lo, exec_lo, s15
	s_xor_b32 s15, s16, -1
	s_delay_alu instid0(SALU_CYCLE_1) | instskip(NEXT) | instid1(SALU_CYCLE_1)
	s_and_b32 s15, exec_lo, s15
	s_or_b32 s14, s15, s14
	s_delay_alu instid0(SALU_CYCLE_1)
	s_and_not1_b32 exec_lo, exec_lo, s14
	s_cbranch_execz .LBB231_165
.LBB231_147:                            ;   Parent Loop BB231_105 Depth=1
                                        ; =>  This Loop Header: Depth=2
                                        ;       Child Loop BB231_153 Depth 3
                                        ;       Child Loop BB231_155 Depth 3
                                        ;       Child Loop BB231_161 Depth 3
                                        ;       Child Loop BB231_163 Depth 3
	s_delay_alu instid0(VALU_DEP_1)
	v_lshl_add_u32 v9, v11, 2, 0
	s_mov_b32 s15, exec_lo
                                        ; implicit-def: $sgpr16
	ds_load_b32 v10, v9
	s_waitcnt lgkmcnt(0)
	v_cmpx_ne_u32_e64 v10, v25
	s_xor_b32 s15, exec_lo, s15
	s_cbranch_execz .LBB231_159
; %bb.148:                              ;   in Loop: Header=BB231_147 Depth=2
	s_mov_b32 s17, exec_lo
                                        ; implicit-def: $sgpr16
	v_cmpx_ne_u32_e64 s33, v10
	s_xor_b32 s17, exec_lo, s17
; %bb.149:                              ;   in Loop: Header=BB231_147 Depth=2
	v_add_nc_u32_e32 v9, 1, v11
	s_mov_b32 s16, -1
	s_delay_alu instid0(VALU_DEP_1)
	v_and_b32_e32 v11, 0x7f, v9
                                        ; implicit-def: $vgpr9
; %bb.150:                              ;   in Loop: Header=BB231_147 Depth=2
	s_and_not1_saveexec_b32 s17, s17
	s_cbranch_execz .LBB231_158
; %bb.151:                              ;   in Loop: Header=BB231_147 Depth=2
	v_mov_b32_e32 v10, s33
	s_mov_b32 s19, -1
	s_mov_b32 s18, exec_lo
	ds_cmpstore_rtn_b32 v10, v9, v25, v10
	s_waitcnt lgkmcnt(0)
	v_cmpx_eq_u32_e64 s33, v10
	s_cbranch_execz .LBB231_157
; %bb.152:                              ;   in Loop: Header=BB231_147 Depth=2
	v_mul_lo_u32 v10, v11, 60
	s_mov_b32 s19, 0
	s_delay_alu instid0(VALU_DEP_1)
	v_add_nc_u32_e32 v12, v9, v10
	ds_load_b64 v[9:10], v12 offset:544
.LBB231_153:                            ;   Parent Loop BB231_105 Depth=1
                                        ;     Parent Loop BB231_147 Depth=2
                                        ; =>    This Inner Loop Header: Depth=3
	s_waitcnt lgkmcnt(0)
	v_add_f64 v[15:16], v[9:10], v[7:8]
	ds_cmpstore_rtn_b64 v[15:16], v12, v[15:16], v[9:10] offset:544
	s_waitcnt lgkmcnt(0)
	v_cmp_eq_u64_e32 vcc_lo, v[15:16], v[9:10]
	v_dual_mov_b32 v9, v15 :: v_dual_mov_b32 v10, v16
	s_or_b32 s19, vcc_lo, s19
	s_delay_alu instid0(SALU_CYCLE_1)
	s_and_not1_b32 exec_lo, exec_lo, s19
	s_cbranch_execnz .LBB231_153
; %bb.154:                              ;   in Loop: Header=BB231_147 Depth=2
	s_or_b32 exec_lo, exec_lo, s19
	ds_load_b64 v[9:10], v12 offset:552
	s_mov_b32 s19, 0
.LBB231_155:                            ;   Parent Loop BB231_105 Depth=1
                                        ;     Parent Loop BB231_147 Depth=2
                                        ; =>    This Inner Loop Header: Depth=3
	s_waitcnt lgkmcnt(0)
	v_add_f64 v[15:16], v[9:10], v[5:6]
	ds_cmpstore_rtn_b64 v[15:16], v12, v[15:16], v[9:10] offset:552
	s_waitcnt lgkmcnt(0)
	v_cmp_eq_u64_e32 vcc_lo, v[15:16], v[9:10]
	v_dual_mov_b32 v9, v15 :: v_dual_mov_b32 v10, v16
	s_or_b32 s19, vcc_lo, s19
	s_delay_alu instid0(SALU_CYCLE_1)
	s_and_not1_b32 exec_lo, exec_lo, s19
	s_cbranch_execnz .LBB231_155
; %bb.156:                              ;   in Loop: Header=BB231_147 Depth=2
	s_or_b32 exec_lo, exec_lo, s19
	s_delay_alu instid0(SALU_CYCLE_1)
	s_xor_b32 s19, exec_lo, -1
.LBB231_157:                            ;   in Loop: Header=BB231_147 Depth=2
	s_or_b32 exec_lo, exec_lo, s18
	s_delay_alu instid0(SALU_CYCLE_1) | instskip(SKIP_1) | instid1(SALU_CYCLE_1)
	s_and_not1_b32 s16, s16, exec_lo
	s_and_b32 s18, s19, exec_lo
	s_or_b32 s16, s16, s18
.LBB231_158:                            ;   in Loop: Header=BB231_147 Depth=2
	s_or_b32 exec_lo, exec_lo, s17
	s_delay_alu instid0(SALU_CYCLE_1)
	s_and_b32 s16, s16, exec_lo
                                        ; implicit-def: $vgpr9
.LBB231_159:                            ;   in Loop: Header=BB231_147 Depth=2
	s_and_not1_saveexec_b32 s15, s15
	s_cbranch_execz .LBB231_146
; %bb.160:                              ;   in Loop: Header=BB231_147 Depth=2
	v_mul_lo_u32 v10, v11, 60
	s_mov_b32 s17, 0
	s_delay_alu instid0(VALU_DEP_1)
	v_add_nc_u32_e32 v12, v9, v10
	ds_load_b64 v[9:10], v12 offset:544
.LBB231_161:                            ;   Parent Loop BB231_105 Depth=1
                                        ;     Parent Loop BB231_147 Depth=2
                                        ; =>    This Inner Loop Header: Depth=3
	s_waitcnt lgkmcnt(0)
	v_add_f64 v[15:16], v[9:10], v[7:8]
	ds_cmpstore_rtn_b64 v[15:16], v12, v[15:16], v[9:10] offset:544
	s_waitcnt lgkmcnt(0)
	v_cmp_eq_u64_e32 vcc_lo, v[15:16], v[9:10]
	v_dual_mov_b32 v9, v15 :: v_dual_mov_b32 v10, v16
	s_or_b32 s17, vcc_lo, s17
	s_delay_alu instid0(SALU_CYCLE_1)
	s_and_not1_b32 exec_lo, exec_lo, s17
	s_cbranch_execnz .LBB231_161
; %bb.162:                              ;   in Loop: Header=BB231_147 Depth=2
	s_or_b32 exec_lo, exec_lo, s17
	ds_load_b64 v[9:10], v12 offset:552
	s_mov_b32 s17, 0
.LBB231_163:                            ;   Parent Loop BB231_105 Depth=1
                                        ;     Parent Loop BB231_147 Depth=2
                                        ; =>    This Inner Loop Header: Depth=3
	s_waitcnt lgkmcnt(0)
	v_add_f64 v[15:16], v[9:10], v[5:6]
	ds_cmpstore_rtn_b64 v[15:16], v12, v[15:16], v[9:10] offset:552
	s_waitcnt lgkmcnt(0)
	v_cmp_eq_u64_e32 vcc_lo, v[15:16], v[9:10]
	v_dual_mov_b32 v9, v15 :: v_dual_mov_b32 v10, v16
	s_or_b32 s17, vcc_lo, s17
	s_delay_alu instid0(SALU_CYCLE_1)
	s_and_not1_b32 exec_lo, exec_lo, s17
	s_cbranch_execnz .LBB231_163
; %bb.164:                              ;   in Loop: Header=BB231_147 Depth=2
	s_or_b32 exec_lo, exec_lo, s17
	s_delay_alu instid0(SALU_CYCLE_1)
	s_and_not1_b32 s16, s16, exec_lo
	s_branch .LBB231_146
.LBB231_165:                            ;   in Loop: Header=BB231_105 Depth=1
	s_or_b32 exec_lo, exec_lo, s14
	v_mul_f64 v[5:6], v[3:4], -v[17:18]
	v_mul_f64 v[7:8], v[19:20], v[3:4]
	s_mov_b32 s14, 0
	s_delay_alu instid0(VALU_DEP_2) | instskip(NEXT) | instid1(VALU_DEP_2)
	v_fma_f64 v[3:4], v[19:20], v[1:2], v[5:6]
	v_fma_f64 v[1:2], v[17:18], v[1:2], v[7:8]
	s_branch .LBB231_167
.LBB231_166:                            ;   in Loop: Header=BB231_167 Depth=2
	s_or_b32 exec_lo, exec_lo, s15
	s_xor_b32 s15, s16, -1
	s_delay_alu instid0(SALU_CYCLE_1) | instskip(NEXT) | instid1(SALU_CYCLE_1)
	s_and_b32 s15, exec_lo, s15
	s_or_b32 s14, s15, s14
	s_delay_alu instid0(SALU_CYCLE_1)
	s_and_not1_b32 exec_lo, exec_lo, s14
	s_cbranch_execz .LBB231_104
.LBB231_167:                            ;   Parent Loop BB231_105 Depth=1
                                        ; =>  This Loop Header: Depth=2
                                        ;       Child Loop BB231_173 Depth 3
                                        ;       Child Loop BB231_175 Depth 3
	;; [unrolled: 1-line block ×4, first 2 shown]
	v_lshl_add_u32 v5, v26, 2, 0
	s_mov_b32 s15, exec_lo
                                        ; implicit-def: $sgpr16
	ds_load_b32 v6, v5
	s_waitcnt lgkmcnt(0)
	v_cmpx_ne_u32_e64 v6, v25
	s_xor_b32 s15, exec_lo, s15
	s_cbranch_execz .LBB231_179
; %bb.168:                              ;   in Loop: Header=BB231_167 Depth=2
	s_mov_b32 s17, exec_lo
                                        ; implicit-def: $sgpr16
	v_cmpx_ne_u32_e64 s33, v6
	s_xor_b32 s17, exec_lo, s17
; %bb.169:                              ;   in Loop: Header=BB231_167 Depth=2
	v_add_nc_u32_e32 v5, 1, v26
	s_mov_b32 s16, -1
	s_delay_alu instid0(VALU_DEP_1)
	v_and_b32_e32 v26, 0x7f, v5
                                        ; implicit-def: $vgpr5
; %bb.170:                              ;   in Loop: Header=BB231_167 Depth=2
	s_and_not1_saveexec_b32 s17, s17
	s_cbranch_execz .LBB231_178
; %bb.171:                              ;   in Loop: Header=BB231_167 Depth=2
	v_mov_b32_e32 v6, s33
	s_mov_b32 s19, -1
	s_mov_b32 s18, exec_lo
	ds_cmpstore_rtn_b32 v6, v5, v25, v6
	s_waitcnt lgkmcnt(0)
	v_cmpx_eq_u32_e64 s33, v6
	s_cbranch_execz .LBB231_177
; %bb.172:                              ;   in Loop: Header=BB231_167 Depth=2
	v_mul_lo_u32 v6, v26, 60
	s_mov_b32 s19, 0
	s_delay_alu instid0(VALU_DEP_1)
	v_add_nc_u32_e32 v7, v5, v6
	ds_load_b64 v[5:6], v7 offset:560
.LBB231_173:                            ;   Parent Loop BB231_105 Depth=1
                                        ;     Parent Loop BB231_167 Depth=2
                                        ; =>    This Inner Loop Header: Depth=3
	s_waitcnt lgkmcnt(0)
	v_add_f64 v[8:9], v[5:6], v[3:4]
	ds_cmpstore_rtn_b64 v[8:9], v7, v[8:9], v[5:6] offset:560
	s_waitcnt lgkmcnt(0)
	v_cmp_eq_u64_e32 vcc_lo, v[8:9], v[5:6]
	v_dual_mov_b32 v5, v8 :: v_dual_mov_b32 v6, v9
	s_or_b32 s19, vcc_lo, s19
	s_delay_alu instid0(SALU_CYCLE_1)
	s_and_not1_b32 exec_lo, exec_lo, s19
	s_cbranch_execnz .LBB231_173
; %bb.174:                              ;   in Loop: Header=BB231_167 Depth=2
	s_or_b32 exec_lo, exec_lo, s19
	ds_load_b64 v[5:6], v7 offset:568
	s_mov_b32 s19, 0
.LBB231_175:                            ;   Parent Loop BB231_105 Depth=1
                                        ;     Parent Loop BB231_167 Depth=2
                                        ; =>    This Inner Loop Header: Depth=3
	s_waitcnt lgkmcnt(0)
	v_add_f64 v[8:9], v[5:6], v[1:2]
	ds_cmpstore_rtn_b64 v[8:9], v7, v[8:9], v[5:6] offset:568
	s_waitcnt lgkmcnt(0)
	v_cmp_eq_u64_e32 vcc_lo, v[8:9], v[5:6]
	v_dual_mov_b32 v5, v8 :: v_dual_mov_b32 v6, v9
	s_or_b32 s19, vcc_lo, s19
	s_delay_alu instid0(SALU_CYCLE_1)
	s_and_not1_b32 exec_lo, exec_lo, s19
	s_cbranch_execnz .LBB231_175
; %bb.176:                              ;   in Loop: Header=BB231_167 Depth=2
	s_or_b32 exec_lo, exec_lo, s19
	s_delay_alu instid0(SALU_CYCLE_1)
	s_xor_b32 s19, exec_lo, -1
.LBB231_177:                            ;   in Loop: Header=BB231_167 Depth=2
	s_or_b32 exec_lo, exec_lo, s18
	s_delay_alu instid0(SALU_CYCLE_1) | instskip(SKIP_1) | instid1(SALU_CYCLE_1)
	s_and_not1_b32 s16, s16, exec_lo
	s_and_b32 s18, s19, exec_lo
	s_or_b32 s16, s16, s18
.LBB231_178:                            ;   in Loop: Header=BB231_167 Depth=2
	s_or_b32 exec_lo, exec_lo, s17
	s_delay_alu instid0(SALU_CYCLE_1)
	s_and_b32 s16, s16, exec_lo
                                        ; implicit-def: $vgpr5
.LBB231_179:                            ;   in Loop: Header=BB231_167 Depth=2
	s_and_not1_saveexec_b32 s15, s15
	s_cbranch_execz .LBB231_166
; %bb.180:                              ;   in Loop: Header=BB231_167 Depth=2
	v_mul_lo_u32 v6, v26, 60
	s_mov_b32 s17, 0
	s_delay_alu instid0(VALU_DEP_1)
	v_add_nc_u32_e32 v7, v5, v6
	ds_load_b64 v[5:6], v7 offset:560
.LBB231_181:                            ;   Parent Loop BB231_105 Depth=1
                                        ;     Parent Loop BB231_167 Depth=2
                                        ; =>    This Inner Loop Header: Depth=3
	s_waitcnt lgkmcnt(0)
	v_add_f64 v[8:9], v[5:6], v[3:4]
	ds_cmpstore_rtn_b64 v[8:9], v7, v[8:9], v[5:6] offset:560
	s_waitcnt lgkmcnt(0)
	v_cmp_eq_u64_e32 vcc_lo, v[8:9], v[5:6]
	v_dual_mov_b32 v5, v8 :: v_dual_mov_b32 v6, v9
	s_or_b32 s17, vcc_lo, s17
	s_delay_alu instid0(SALU_CYCLE_1)
	s_and_not1_b32 exec_lo, exec_lo, s17
	s_cbranch_execnz .LBB231_181
; %bb.182:                              ;   in Loop: Header=BB231_167 Depth=2
	s_or_b32 exec_lo, exec_lo, s17
	ds_load_b64 v[5:6], v7 offset:568
	s_mov_b32 s17, 0
.LBB231_183:                            ;   Parent Loop BB231_105 Depth=1
                                        ;     Parent Loop BB231_167 Depth=2
                                        ; =>    This Inner Loop Header: Depth=3
	s_waitcnt lgkmcnt(0)
	v_add_f64 v[8:9], v[5:6], v[1:2]
	ds_cmpstore_rtn_b64 v[8:9], v7, v[8:9], v[5:6] offset:568
	s_waitcnt lgkmcnt(0)
	v_cmp_eq_u64_e32 vcc_lo, v[8:9], v[5:6]
	v_dual_mov_b32 v5, v8 :: v_dual_mov_b32 v6, v9
	s_or_b32 s17, vcc_lo, s17
	s_delay_alu instid0(SALU_CYCLE_1)
	s_and_not1_b32 exec_lo, exec_lo, s17
	s_cbranch_execnz .LBB231_183
; %bb.184:                              ;   in Loop: Header=BB231_167 Depth=2
	s_or_b32 exec_lo, exec_lo, s17
	s_delay_alu instid0(SALU_CYCLE_1)
	s_and_not1_b32 s16, s16, exec_lo
	s_branch .LBB231_166
.LBB231_185:
	s_or_b32 exec_lo, exec_lo, s4
.LBB231_186:
	s_barrier
	buffer_gl0_inv
	s_and_saveexec_b32 s0, s2
	s_cbranch_execz .LBB231_191
; %bb.187:
	ds_load_b32 v3, v53
	s_mov_b32 s1, 0
	s_waitcnt lgkmcnt(0)
	v_cmp_gt_i32_e32 vcc_lo, s33, v3
	s_and_b32 exec_lo, exec_lo, vcc_lo
	s_cbranch_execz .LBB231_191
; %bb.188:
	s_lshl_b64 s[4:5], s[34:35], 3
	s_delay_alu instid0(SALU_CYCLE_1)
	s_add_u32 s4, s10, s4
	s_addc_u32 s5, s11, s5
	s_load_b64 s[4:5], s[4:5], 0x0
	s_waitcnt lgkmcnt(0)
	s_sub_u32 s4, s4, s22
	s_subb_u32 s5, s5, 0
	s_delay_alu instid0(SALU_CYCLE_1)
	v_dual_mov_b32 v1, s4 :: v_dual_mov_b32 v2, s5
.LBB231_189:                            ; =>This Inner Loop Header: Depth=1
	s_add_i32 s0, s1, 0
	s_add_i32 s1, s1, 64
	v_mov_b32_e32 v18, s0
	s_cmpk_lg_i32 s1, 0x200
	ds_load_2addr_b32 v[4:5], v18 offset1:1
	ds_load_2addr_b32 v[6:7], v18 offset0:2 offset1:3
	ds_load_2addr_b32 v[8:9], v18 offset0:4 offset1:5
	;; [unrolled: 1-line block ×7, first 2 shown]
	s_waitcnt lgkmcnt(7)
	v_cmp_gt_i32_e32 vcc_lo, v3, v4
	v_cndmask_b32_e64 v4, 0, 1, vcc_lo
	v_cmp_gt_i32_e32 vcc_lo, v3, v5
	v_cndmask_b32_e64 v5, 0, 1, vcc_lo
	s_waitcnt lgkmcnt(6)
	v_cmp_gt_i32_e32 vcc_lo, v3, v6
	v_cndmask_b32_e64 v6, 0, 1, vcc_lo
	v_cmp_gt_i32_e32 vcc_lo, v3, v7
	v_cndmask_b32_e64 v7, 0, 1, vcc_lo
	s_waitcnt lgkmcnt(5)
	v_cmp_gt_i32_e32 vcc_lo, v3, v8
	v_cndmask_b32_e64 v8, 0, 1, vcc_lo
	v_cmp_gt_i32_e32 vcc_lo, v3, v9
	v_cndmask_b32_e64 v9, 0, 1, vcc_lo
	s_waitcnt lgkmcnt(4)
	v_cmp_gt_i32_e32 vcc_lo, v3, v10
	v_cndmask_b32_e64 v10, 0, 1, vcc_lo
	v_cmp_gt_i32_e32 vcc_lo, v3, v11
	v_cndmask_b32_e64 v11, 0, 1, vcc_lo
	s_waitcnt lgkmcnt(3)
	v_cmp_gt_i32_e32 vcc_lo, v3, v12
	v_cndmask_b32_e64 v12, 0, 1, vcc_lo
	v_add_co_u32 v1, vcc_lo, v1, v4
	v_add_co_ci_u32_e32 v2, vcc_lo, 0, v2, vcc_lo
	v_cmp_gt_i32_e32 vcc_lo, v3, v13
	s_delay_alu instid0(VALU_DEP_3) | instskip(NEXT) | instid1(VALU_DEP_1)
	v_add_co_u32 v1, s0, v1, v5
	v_add_co_ci_u32_e64 v2, s0, 0, v2, s0
	v_cndmask_b32_e64 v4, 0, 1, vcc_lo
	s_delay_alu instid0(VALU_DEP_3) | instskip(NEXT) | instid1(VALU_DEP_3)
	v_add_co_u32 v1, vcc_lo, v1, v6
	v_add_co_ci_u32_e32 v2, vcc_lo, 0, v2, vcc_lo
	s_waitcnt lgkmcnt(2)
	v_cmp_gt_i32_e32 vcc_lo, v3, v14
	s_delay_alu instid0(VALU_DEP_3) | instskip(NEXT) | instid1(VALU_DEP_1)
	v_add_co_u32 v1, s0, v1, v7
	v_add_co_ci_u32_e64 v2, s0, 0, v2, s0
	v_cndmask_b32_e64 v5, 0, 1, vcc_lo
	s_delay_alu instid0(VALU_DEP_3) | instskip(NEXT) | instid1(VALU_DEP_3)
	v_add_co_u32 v1, vcc_lo, v1, v8
	v_add_co_ci_u32_e32 v2, vcc_lo, 0, v2, vcc_lo
	v_cmp_gt_i32_e32 vcc_lo, v3, v15
	s_delay_alu instid0(VALU_DEP_3) | instskip(NEXT) | instid1(VALU_DEP_1)
	v_add_co_u32 v1, s0, v1, v9
	v_add_co_ci_u32_e64 v2, s0, 0, v2, s0
	v_cndmask_b32_e64 v6, 0, 1, vcc_lo
	s_delay_alu instid0(VALU_DEP_3) | instskip(NEXT) | instid1(VALU_DEP_3)
	v_add_co_u32 v1, vcc_lo, v1, v10
	v_add_co_ci_u32_e32 v2, vcc_lo, 0, v2, vcc_lo
	s_waitcnt lgkmcnt(1)
	v_cmp_gt_i32_e32 vcc_lo, v3, v16
	s_delay_alu instid0(VALU_DEP_3) | instskip(NEXT) | instid1(VALU_DEP_1)
	v_add_co_u32 v1, s0, v1, v11
	v_add_co_ci_u32_e64 v2, s0, 0, v2, s0
	v_cndmask_b32_e64 v7, 0, 1, vcc_lo
	s_delay_alu instid0(VALU_DEP_3) | instskip(NEXT) | instid1(VALU_DEP_3)
	;; [unrolled: 17-line block ×3, first 2 shown]
	v_add_co_u32 v1, vcc_lo, v1, v7
	v_add_co_ci_u32_e32 v2, vcc_lo, 0, v2, vcc_lo
	v_cmp_gt_i32_e32 vcc_lo, v3, v19
	s_delay_alu instid0(VALU_DEP_3) | instskip(NEXT) | instid1(VALU_DEP_1)
	v_add_co_u32 v1, s0, v1, v4
	v_add_co_ci_u32_e64 v2, s0, 0, v2, s0
	v_cndmask_b32_e64 v4, 0, 1, vcc_lo
	s_delay_alu instid0(VALU_DEP_3) | instskip(NEXT) | instid1(VALU_DEP_3)
	v_add_co_u32 v1, vcc_lo, v1, v5
	v_add_co_ci_u32_e32 v2, vcc_lo, 0, v2, vcc_lo
	s_delay_alu instid0(VALU_DEP_2) | instskip(NEXT) | instid1(VALU_DEP_2)
	v_add_co_u32 v1, vcc_lo, v1, v4
	v_add_co_ci_u32_e32 v2, vcc_lo, 0, v2, vcc_lo
	s_cbranch_scc1 .LBB231_189
; %bb.190:
	v_lshlrev_b32_e32 v4, 2, v0
	s_cmp_eq_u32 s3, 0
	v_lshlrev_b32_e32 v0, 6, v0
	s_cselect_b32 s0, 1, 2
	s_cselect_b32 s1, 2, 1
	v_or_b32_e32 v5, s0, v4
	v_or_b32_e32 v4, s1, v4
	v_add_nc_u32_e32 v6, 0, v0
	v_add3_u32 v0, 0, 0x200, v0
	v_lshlrev_b64 v[20:21], 2, v[1:2]
	v_lshl_add_u32 v12, v5, 4, 0
	v_lshl_add_u32 v16, v4, 4, 0
	v_add_nc_u32_e32 v22, s22, v3
	ds_load_2addr_b64 v[4:7], v6 offset0:64 offset1:65
	ds_load_2addr_b64 v[8:11], v0 offset0:6 offset1:7
	;; [unrolled: 1-line block ×4, first 2 shown]
	v_lshlrev_b64 v[0:1], 6, v[1:2]
	v_add_co_u32 v2, vcc_lo, s24, v20
	v_add_co_ci_u32_e32 v3, vcc_lo, s25, v21, vcc_lo
	s_delay_alu instid0(VALU_DEP_3) | instskip(NEXT) | instid1(VALU_DEP_4)
	v_add_co_u32 v0, vcc_lo, s26, v0
	v_add_co_ci_u32_e32 v1, vcc_lo, s27, v1, vcc_lo
	global_store_b32 v[2:3], v22, off
	s_waitcnt lgkmcnt(3)
	global_store_b128 v[0:1], v[4:7], off
	s_waitcnt lgkmcnt(1)
	global_store_b128 v[0:1], v[12:15], off offset:16
	s_waitcnt lgkmcnt(0)
	s_clause 0x1
	global_store_b128 v[0:1], v[16:19], off offset:32
	global_store_b128 v[0:1], v[8:11], off offset:48
.LBB231_191:
	s_nop 0
	s_sendmsg sendmsg(MSG_DEALLOC_VGPRS)
	s_endpgm
	.section	.rodata,"a",@progbits
	.p2align	6, 0x0
	.amdhsa_kernel _ZN9rocsparseL30bsrgemm_fill_block_per_row_2x2ILj256ELj16ELj128ELj137Eli21rocsparse_complex_numIdEEEv20rocsparse_direction_T4_S4_PKS4_S6_NS_24const_host_device_scalarIT5_EEPKT3_S6_PKS8_SC_S6_SE_S9_SC_S6_SE_SC_PS4_PS8_21rocsparse_index_base_SH_SH_SH_bbb
		.amdhsa_group_segment_fixed_size 0
		.amdhsa_private_segment_fixed_size 24
		.amdhsa_kernarg_size 180
		.amdhsa_user_sgpr_count 15
		.amdhsa_user_sgpr_dispatch_ptr 0
		.amdhsa_user_sgpr_queue_ptr 0
		.amdhsa_user_sgpr_kernarg_segment_ptr 1
		.amdhsa_user_sgpr_dispatch_id 0
		.amdhsa_user_sgpr_private_segment_size 0
		.amdhsa_wavefront_size32 1
		.amdhsa_uses_dynamic_stack 0
		.amdhsa_enable_private_segment 1
		.amdhsa_system_sgpr_workgroup_id_x 1
		.amdhsa_system_sgpr_workgroup_id_y 0
		.amdhsa_system_sgpr_workgroup_id_z 0
		.amdhsa_system_sgpr_workgroup_info 0
		.amdhsa_system_vgpr_workitem_id 0
		.amdhsa_next_free_vgpr 62
		.amdhsa_next_free_sgpr 48
		.amdhsa_reserve_vcc 1
		.amdhsa_float_round_mode_32 0
		.amdhsa_float_round_mode_16_64 0
		.amdhsa_float_denorm_mode_32 3
		.amdhsa_float_denorm_mode_16_64 3
		.amdhsa_dx10_clamp 1
		.amdhsa_ieee_mode 1
		.amdhsa_fp16_overflow 0
		.amdhsa_workgroup_processor_mode 1
		.amdhsa_memory_ordered 1
		.amdhsa_forward_progress 0
		.amdhsa_shared_vgpr_count 0
		.amdhsa_exception_fp_ieee_invalid_op 0
		.amdhsa_exception_fp_denorm_src 0
		.amdhsa_exception_fp_ieee_div_zero 0
		.amdhsa_exception_fp_ieee_overflow 0
		.amdhsa_exception_fp_ieee_underflow 0
		.amdhsa_exception_fp_ieee_inexact 0
		.amdhsa_exception_int_div_zero 0
	.end_amdhsa_kernel
	.section	.text._ZN9rocsparseL30bsrgemm_fill_block_per_row_2x2ILj256ELj16ELj128ELj137Eli21rocsparse_complex_numIdEEEv20rocsparse_direction_T4_S4_PKS4_S6_NS_24const_host_device_scalarIT5_EEPKT3_S6_PKS8_SC_S6_SE_S9_SC_S6_SE_SC_PS4_PS8_21rocsparse_index_base_SH_SH_SH_bbb,"axG",@progbits,_ZN9rocsparseL30bsrgemm_fill_block_per_row_2x2ILj256ELj16ELj128ELj137Eli21rocsparse_complex_numIdEEEv20rocsparse_direction_T4_S4_PKS4_S6_NS_24const_host_device_scalarIT5_EEPKT3_S6_PKS8_SC_S6_SE_S9_SC_S6_SE_SC_PS4_PS8_21rocsparse_index_base_SH_SH_SH_bbb,comdat
.Lfunc_end231:
	.size	_ZN9rocsparseL30bsrgemm_fill_block_per_row_2x2ILj256ELj16ELj128ELj137Eli21rocsparse_complex_numIdEEEv20rocsparse_direction_T4_S4_PKS4_S6_NS_24const_host_device_scalarIT5_EEPKT3_S6_PKS8_SC_S6_SE_S9_SC_S6_SE_SC_PS4_PS8_21rocsparse_index_base_SH_SH_SH_bbb, .Lfunc_end231-_ZN9rocsparseL30bsrgemm_fill_block_per_row_2x2ILj256ELj16ELj128ELj137Eli21rocsparse_complex_numIdEEEv20rocsparse_direction_T4_S4_PKS4_S6_NS_24const_host_device_scalarIT5_EEPKT3_S6_PKS8_SC_S6_SE_S9_SC_S6_SE_SC_PS4_PS8_21rocsparse_index_base_SH_SH_SH_bbb
                                        ; -- End function
	.section	.AMDGPU.csdata,"",@progbits
; Kernel info:
; codeLenInByte = 7452
; NumSgprs: 50
; NumVgprs: 62
; ScratchSize: 24
; MemoryBound: 0
; FloatMode: 240
; IeeeMode: 1
; LDSByteSize: 0 bytes/workgroup (compile time only)
; SGPRBlocks: 6
; VGPRBlocks: 7
; NumSGPRsForWavesPerEU: 50
; NumVGPRsForWavesPerEU: 62
; Occupancy: 16
; WaveLimiterHint : 1
; COMPUTE_PGM_RSRC2:SCRATCH_EN: 1
; COMPUTE_PGM_RSRC2:USER_SGPR: 15
; COMPUTE_PGM_RSRC2:TRAP_HANDLER: 0
; COMPUTE_PGM_RSRC2:TGID_X_EN: 1
; COMPUTE_PGM_RSRC2:TGID_Y_EN: 0
; COMPUTE_PGM_RSRC2:TGID_Z_EN: 0
; COMPUTE_PGM_RSRC2:TIDIG_COMP_CNT: 0
	.section	.text._ZN9rocsparseL30bsrgemm_fill_block_per_row_2x2ILj256ELj16ELj256ELj137Eli21rocsparse_complex_numIdEEEv20rocsparse_direction_T4_S4_PKS4_S6_NS_24const_host_device_scalarIT5_EEPKT3_S6_PKS8_SC_S6_SE_S9_SC_S6_SE_SC_PS4_PS8_21rocsparse_index_base_SH_SH_SH_bbb,"axG",@progbits,_ZN9rocsparseL30bsrgemm_fill_block_per_row_2x2ILj256ELj16ELj256ELj137Eli21rocsparse_complex_numIdEEEv20rocsparse_direction_T4_S4_PKS4_S6_NS_24const_host_device_scalarIT5_EEPKT3_S6_PKS8_SC_S6_SE_S9_SC_S6_SE_SC_PS4_PS8_21rocsparse_index_base_SH_SH_SH_bbb,comdat
	.globl	_ZN9rocsparseL30bsrgemm_fill_block_per_row_2x2ILj256ELj16ELj256ELj137Eli21rocsparse_complex_numIdEEEv20rocsparse_direction_T4_S4_PKS4_S6_NS_24const_host_device_scalarIT5_EEPKT3_S6_PKS8_SC_S6_SE_S9_SC_S6_SE_SC_PS4_PS8_21rocsparse_index_base_SH_SH_SH_bbb ; -- Begin function _ZN9rocsparseL30bsrgemm_fill_block_per_row_2x2ILj256ELj16ELj256ELj137Eli21rocsparse_complex_numIdEEEv20rocsparse_direction_T4_S4_PKS4_S6_NS_24const_host_device_scalarIT5_EEPKT3_S6_PKS8_SC_S6_SE_S9_SC_S6_SE_SC_PS4_PS8_21rocsparse_index_base_SH_SH_SH_bbb
	.p2align	8
	.type	_ZN9rocsparseL30bsrgemm_fill_block_per_row_2x2ILj256ELj16ELj256ELj137Eli21rocsparse_complex_numIdEEEv20rocsparse_direction_T4_S4_PKS4_S6_NS_24const_host_device_scalarIT5_EEPKT3_S6_PKS8_SC_S6_SE_S9_SC_S6_SE_SC_PS4_PS8_21rocsparse_index_base_SH_SH_SH_bbb,@function
_ZN9rocsparseL30bsrgemm_fill_block_per_row_2x2ILj256ELj16ELj256ELj137Eli21rocsparse_complex_numIdEEEv20rocsparse_direction_T4_S4_PKS4_S6_NS_24const_host_device_scalarIT5_EEPKT3_S6_PKS8_SC_S6_SE_S9_SC_S6_SE_SC_PS4_PS8_21rocsparse_index_base_SH_SH_SH_bbb: ; @_ZN9rocsparseL30bsrgemm_fill_block_per_row_2x2ILj256ELj16ELj256ELj137Eli21rocsparse_complex_numIdEEEv20rocsparse_direction_T4_S4_PKS4_S6_NS_24const_host_device_scalarIT5_EEPKT3_S6_PKS8_SC_S6_SE_S9_SC_S6_SE_SC_PS4_PS8_21rocsparse_index_base_SH_SH_SH_bbb
; %bb.0:
	s_clause 0x2
	s_load_b32 s12, s[0:1], 0xb0
	s_load_b128 s[8:11], s[0:1], 0x20
	s_load_b128 s[4:7], s[0:1], 0x60
	v_mov_b32_e32 v17, 0
	v_mov_b32_e32 v18, 0
	s_mov_b32 s34, s15
	s_waitcnt lgkmcnt(0)
	s_bitcmp1_b32 s12, 0
	v_mov_b32_e32 v1, s8
	s_cselect_b32 s35, -1, 0
	s_bitcmp1_b32 s12, 16
	v_dual_mov_b32 v22, v18 :: v_dual_mov_b32 v21, v17
	s_cselect_b32 s2, -1, 0
	v_mov_b32_e32 v2, s9
	s_xor_b32 s3, s2, -1
	v_dual_mov_b32 v24, v18 :: v_dual_mov_b32 v23, v17
	v_cndmask_b32_e64 v5, 0, 1, s3
	v_dual_mov_b32 v3, s4 :: v_dual_mov_b32 v4, s5
	s_bitcmp0_b32 s12, 0
	s_clause 0x1
	scratch_store_b64 off, v[1:2], off
	scratch_store_b64 off, v[3:4], off offset:8
	v_cmp_ne_u32_e32 vcc_lo, 1, v5
	s_cbranch_scc1 .LBB232_3
; %bb.1:
	s_mov_b64 s[14:15], src_private_base
	s_and_b32 s13, s2, exec_lo
	s_cselect_b32 s13, s15, s9
	s_delay_alu instid0(SALU_CYCLE_1) | instskip(SKIP_2) | instid1(VALU_DEP_2)
	v_dual_mov_b32 v1, 0 :: v_dual_mov_b32 v2, s13
	v_dual_mov_b32 v24, s11 :: v_dual_mov_b32 v23, s10
	s_and_b32 vcc_lo, exec_lo, vcc_lo
	v_cndmask_b32_e64 v1, s8, v1, s2
	flat_load_b64 v[21:22], v[1:2]
	s_cbranch_vccnz .LBB232_3
; %bb.2:
	v_dual_mov_b32 v1, s8 :: v_dual_mov_b32 v2, s9
	flat_load_b64 v[23:24], v[1:2] offset:8
.LBB232_3:
	s_load_b128 s[20:23], s[0:1], 0xa0
	s_bitcmp1_b32 s12, 8
	v_dual_mov_b32 v20, v18 :: v_dual_mov_b32 v19, v17
	s_cselect_b32 s42, -1, 0
	s_bfe_u32 s8, s12, 0x10008
	s_delay_alu instid0(SALU_CYCLE_1)
	s_cmp_eq_u32 s8, 0
	s_cbranch_scc1 .LBB232_6
; %bb.4:
	s_mov_b64 s[8:9], src_private_base
	s_and_b32 s8, s2, exec_lo
	s_cselect_b32 s8, s9, s5
	s_delay_alu instid0(SALU_CYCLE_1) | instskip(SKIP_2) | instid1(VALU_DEP_2)
	v_dual_mov_b32 v1, 8 :: v_dual_mov_b32 v2, s8
	v_dual_mov_b32 v18, s7 :: v_dual_mov_b32 v17, s6
	s_and_not1_b32 vcc_lo, exec_lo, s3
	v_cndmask_b32_e64 v1, s4, v1, s2
	flat_load_b64 v[19:20], v[1:2]
	s_cbranch_vccnz .LBB232_6
; %bb.5:
	v_dual_mov_b32 v1, s4 :: v_dual_mov_b32 v2, s5
	flat_load_b64 v[17:18], v[1:2] offset:8
.LBB232_6:
	s_clause 0x5
	s_load_b128 s[24:27], s[0:1], 0x90
	s_load_b256 s[4:11], s[0:1], 0x70
	s_load_b128 s[28:31], s[0:1], 0x50
	s_load_b256 s[12:19], s[0:1], 0x30
	s_load_b128 s[36:39], s[0:1], 0x10
	s_load_b32 s33, s[0:1], 0x8
	v_cmp_gt_u32_e64 s2, 0x100, v0
	v_lshl_add_u32 v53, v0, 2, 0
	s_delay_alu instid0(VALU_DEP_2)
	s_and_saveexec_b32 s3, s2
	s_cbranch_execz .LBB232_8
; %bb.7:
	s_waitcnt lgkmcnt(0)
	v_mov_b32_e32 v1, s33
	ds_store_b32 v53, v1
.LBB232_8:
	s_or_b32 exec_lo, exec_lo, s3
	s_mov_b32 s40, 0
	v_or_b32_e32 v5, 0xffffff00, v0
	s_mov_b32 s41, s40
	v_lshlrev_b32_e32 v1, 4, v0
	s_mov_b32 s44, s40
	s_mov_b32 s45, s40
	s_delay_alu instid0(SALU_CYCLE_1) | instskip(NEXT) | instid1(VALU_DEP_2)
	v_dual_mov_b32 v3, s44 :: v_dual_mov_b32 v4, s45
	v_add3_u32 v6, v1, 0, 0x400
	v_dual_mov_b32 v1, s40 :: v_dual_mov_b32 v2, s41
.LBB232_9:                              ; =>This Inner Loop Header: Depth=1
	v_add_nc_u32_e32 v5, 0x100, v5
	ds_store_2addr_b64 v6, v[1:2], v[3:4] offset1:1
	v_add_nc_u32_e32 v6, 0x1000, v6
	v_cmp_lt_u32_e32 vcc_lo, 0x2ff, v5
	s_or_b32 s40, vcc_lo, s40
	s_delay_alu instid0(SALU_CYCLE_1)
	s_and_not1_b32 exec_lo, exec_lo, s40
	s_cbranch_execnz .LBB232_9
; %bb.10:
	s_or_b32 exec_lo, exec_lo, s40
	s_waitcnt lgkmcnt(0)
	s_cmp_lg_u64 s[38:39], 0
	s_waitcnt vmcnt(0)
	s_waitcnt_vscnt null, 0x0
	s_barrier
	buffer_gl0_inv
	s_cbranch_scc0 .LBB232_12
; %bb.11:
	s_load_b32 s3, s[36:37], 0x0
	s_mov_b32 s37, 0
	s_waitcnt lgkmcnt(0)
	s_add_i32 s36, s3, s34
	s_delay_alu instid0(SALU_CYCLE_1) | instskip(NEXT) | instid1(SALU_CYCLE_1)
	s_lshl_b64 s[36:37], s[36:37], 2
	s_add_u32 s36, s38, s36
	s_addc_u32 s37, s39, s37
	s_load_b32 s34, s[36:37], 0x0
.LBB232_12:
	s_load_b32 s3, s[0:1], 0x0
	s_and_not1_b32 vcc_lo, exec_lo, s35
	s_waitcnt lgkmcnt(0)
	s_ashr_i32 s35, s34, 31
	s_cbranch_vccnz .LBB232_100
; %bb.13:
	s_lshl_b64 s[0:1], s[34:35], 3
	v_lshrrev_b32_e32 v1, 4, v0
	s_add_u32 s0, s12, s0
	s_addc_u32 s1, s13, s1
	s_mov_b32 s13, 0
	s_load_b128 s[36:39], s[0:1], 0x0
	v_sub_co_u32 v1, s0, v1, s20
	s_delay_alu instid0(VALU_DEP_1) | instskip(SKIP_2) | instid1(VALU_DEP_2)
	v_sub_co_ci_u32_e64 v2, null, 0, 0, s0
	s_mov_b32 s12, exec_lo
	s_waitcnt lgkmcnt(0)
	v_add_co_u32 v25, vcc_lo, s36, v1
	s_delay_alu instid0(VALU_DEP_2)
	v_add_co_ci_u32_e32 v26, vcc_lo, s37, v2, vcc_lo
	s_sub_u32 s0, s38, s20
	s_subb_u32 s1, s39, 0
	s_delay_alu instid0(VALU_DEP_1) | instid1(SALU_CYCLE_1)
	v_cmpx_gt_i64_e64 s[0:1], v[25:26]
	s_cbranch_execz .LBB232_99
; %bb.14:
	v_and_b32_e32 v1, 15, v0
	s_cmp_eq_u32 s3, 0
	s_cselect_b32 s37, 1, 2
	s_cselect_b32 s38, 2, 1
	s_delay_alu instid0(VALU_DEP_1) | instskip(NEXT) | instid1(VALU_DEP_1)
	v_sub_co_u32 v54, s36, v1, s21
	v_sub_co_ci_u32_e64 v55, null, 0, 0, s36
	s_mov_b32 s36, s21
	s_branch .LBB232_16
.LBB232_15:                             ;   in Loop: Header=BB232_16 Depth=1
	s_or_b32 exec_lo, exec_lo, s39
	v_add_co_u32 v25, vcc_lo, v25, 16
	v_add_co_ci_u32_e32 v26, vcc_lo, 0, v26, vcc_lo
	s_delay_alu instid0(VALU_DEP_1) | instskip(SKIP_1) | instid1(SALU_CYCLE_1)
	v_cmp_le_i64_e32 vcc_lo, s[0:1], v[25:26]
	s_or_b32 s13, vcc_lo, s13
	s_and_not1_b32 exec_lo, exec_lo, s13
	s_cbranch_execz .LBB232_99
.LBB232_16:                             ; =>This Loop Header: Depth=1
                                        ;     Child Loop BB232_19 Depth 2
                                        ;       Child Loop BB232_21 Depth 3
                                        ;         Child Loop BB232_27 Depth 4
                                        ;         Child Loop BB232_29 Depth 4
                                        ;         Child Loop BB232_35 Depth 4
                                        ;         Child Loop BB232_37 Depth 4
                                        ;       Child Loop BB232_41 Depth 3
                                        ;         Child Loop BB232_47 Depth 4
                                        ;         Child Loop BB232_49 Depth 4
                                        ;         Child Loop BB232_55 Depth 4
                                        ;         Child Loop BB232_57 Depth 4
	;; [unrolled: 5-line block ×4, first 2 shown]
	v_lshlrev_b64 v[1:2], 2, v[25:26]
	s_mov_b32 s39, exec_lo
	s_delay_alu instid0(VALU_DEP_1) | instskip(NEXT) | instid1(VALU_DEP_2)
	v_add_co_u32 v3, vcc_lo, s14, v1
	v_add_co_ci_u32_e32 v4, vcc_lo, s15, v2, vcc_lo
	global_load_b32 v3, v[3:4], off
	s_waitcnt vmcnt(0)
	v_subrev_nc_u32_e32 v3, s20, v3
	s_delay_alu instid0(VALU_DEP_1) | instskip(NEXT) | instid1(VALU_DEP_1)
	v_ashrrev_i32_e32 v4, 31, v3
	v_lshlrev_b64 v[3:4], 3, v[3:4]
	s_delay_alu instid0(VALU_DEP_1) | instskip(NEXT) | instid1(VALU_DEP_2)
	v_add_co_u32 v3, vcc_lo, s18, v3
	v_add_co_ci_u32_e32 v4, vcc_lo, s19, v4, vcc_lo
	global_load_b128 v[3:6], v[3:4], off
	s_waitcnt vmcnt(0)
	v_sub_co_u32 v27, vcc_lo, v5, s36
	v_subrev_co_ci_u32_e32 v28, vcc_lo, 0, v6, vcc_lo
	v_add_co_u32 v29, vcc_lo, v3, v54
	v_add_co_ci_u32_e32 v30, vcc_lo, v4, v55, vcc_lo
	s_delay_alu instid0(VALU_DEP_1)
	v_cmpx_lt_i64_e64 v[29:30], v[27:28]
	s_cbranch_execz .LBB232_15
; %bb.17:                               ;   in Loop: Header=BB232_16 Depth=1
	v_or_b32_e32 v6, 0, v2
	v_or_b32_e32 v5, s37, v1
	v_lshlrev_b64 v[3:4], 6, v[25:26]
	v_or_b32_e32 v2, 0, v2
	v_or_b32_e32 v1, s38, v1
	s_mov_b32 s40, 0
	v_lshlrev_b64 v[5:6], 4, v[5:6]
	s_delay_alu instid0(VALU_DEP_4) | instskip(NEXT) | instid1(VALU_DEP_3)
	v_add_co_u32 v7, vcc_lo, s16, v3
	v_lshlrev_b64 v[9:10], 4, v[1:2]
	v_add_co_ci_u32_e32 v8, vcc_lo, s17, v4, vcc_lo
	s_delay_alu instid0(VALU_DEP_4) | instskip(SKIP_1) | instid1(VALU_DEP_4)
	v_add_co_u32 v11, vcc_lo, s16, v5
	v_add_co_ci_u32_e32 v12, vcc_lo, s17, v6, vcc_lo
	v_add_co_u32 v13, vcc_lo, s16, v9
	v_add_co_ci_u32_e32 v14, vcc_lo, s17, v10, vcc_lo
	s_clause 0x3
	global_load_b128 v[1:4], v[7:8], off
	global_load_b128 v[5:8], v[7:8], off offset:48
	global_load_b128 v[9:12], v[11:12], off
	global_load_b128 v[13:16], v[13:14], off
	s_waitcnt vmcnt(2)
	v_mul_f64 v[35:36], v[7:8], -v[23:24]
	v_mul_f64 v[31:32], v[3:4], -v[23:24]
	v_mul_f64 v[3:4], v[21:22], v[3:4]
	v_mul_f64 v[7:8], v[21:22], v[7:8]
	s_waitcnt vmcnt(1)
	v_mul_f64 v[39:40], v[11:12], -v[23:24]
	v_mul_f64 v[11:12], v[21:22], v[11:12]
	s_waitcnt vmcnt(0)
	v_mul_f64 v[43:44], v[15:16], -v[23:24]
	v_mul_f64 v[15:16], v[21:22], v[15:16]
	v_fma_f64 v[35:36], v[21:22], v[5:6], v[35:36]
	v_fma_f64 v[31:32], v[21:22], v[1:2], v[31:32]
	;; [unrolled: 1-line block ×8, first 2 shown]
	s_branch .LBB232_19
.LBB232_18:                             ;   in Loop: Header=BB232_19 Depth=2
	s_or_b32 exec_lo, exec_lo, s41
	v_add_co_u32 v29, vcc_lo, v29, 16
	v_add_co_ci_u32_e32 v30, vcc_lo, 0, v30, vcc_lo
	s_delay_alu instid0(VALU_DEP_1) | instskip(SKIP_1) | instid1(SALU_CYCLE_1)
	v_cmp_ge_i64_e32 vcc_lo, v[29:30], v[27:28]
	s_or_b32 s40, vcc_lo, s40
	s_and_not1_b32 exec_lo, exec_lo, s40
	s_cbranch_execz .LBB232_15
.LBB232_19:                             ;   Parent Loop BB232_16 Depth=1
                                        ; =>  This Loop Header: Depth=2
                                        ;       Child Loop BB232_21 Depth 3
                                        ;         Child Loop BB232_27 Depth 4
                                        ;         Child Loop BB232_29 Depth 4
                                        ;         Child Loop BB232_35 Depth 4
                                        ;         Child Loop BB232_37 Depth 4
                                        ;       Child Loop BB232_41 Depth 3
                                        ;         Child Loop BB232_47 Depth 4
                                        ;         Child Loop BB232_49 Depth 4
                                        ;         Child Loop BB232_55 Depth 4
                                        ;         Child Loop BB232_57 Depth 4
	;; [unrolled: 5-line block ×4, first 2 shown]
	v_lshlrev_b64 v[1:2], 2, v[29:30]
	s_mov_b32 s41, 0
	s_delay_alu instid0(VALU_DEP_1) | instskip(NEXT) | instid1(VALU_DEP_2)
	v_or_b32_e32 v4, 0, v2
	v_or_b32_e32 v3, s38, v1
	s_delay_alu instid0(VALU_DEP_1) | instskip(NEXT) | instid1(VALU_DEP_1)
	v_lshlrev_b64 v[3:4], 4, v[3:4]
	v_add_co_u32 v3, vcc_lo, s30, v3
	s_delay_alu instid0(VALU_DEP_2) | instskip(SKIP_2) | instid1(VALU_DEP_1)
	v_add_co_ci_u32_e32 v4, vcc_lo, s31, v4, vcc_lo
	global_load_b128 v[13:16], v[3:4], off
	v_lshlrev_b64 v[3:4], 6, v[29:30]
	v_add_co_u32 v5, vcc_lo, s30, v3
	s_delay_alu instid0(VALU_DEP_2)
	v_add_co_ci_u32_e32 v6, vcc_lo, s31, v4, vcc_lo
	v_add_co_u32 v3, vcc_lo, s28, v1
	v_add_co_ci_u32_e32 v4, vcc_lo, s29, v2, vcc_lo
	global_load_b128 v[9:12], v[5:6], off
	v_or_b32_e32 v2, 0, v2
	v_or_b32_e32 v1, s37, v1
	global_load_b32 v51, v[3:4], off
	v_lshlrev_b64 v[1:2], 4, v[1:2]
	s_delay_alu instid0(VALU_DEP_1) | instskip(NEXT) | instid1(VALU_DEP_2)
	v_add_co_u32 v1, vcc_lo, s30, v1
	v_add_co_ci_u32_e32 v2, vcc_lo, s31, v2, vcc_lo
	s_clause 0x1
	global_load_b128 v[1:4], v[1:2], off
	global_load_b128 v[5:8], v[5:6], off offset:48
	s_waitcnt vmcnt(4)
	v_mul_f64 v[47:48], v[15:16], -v[41:42]
	v_mul_f64 v[49:50], v[39:40], v[15:16]
	s_waitcnt vmcnt(2)
	v_subrev_nc_u32_e32 v56, s21, v51
	s_delay_alu instid0(VALU_DEP_1) | instskip(NEXT) | instid1(VALU_DEP_1)
	v_mul_lo_u32 v51, 0x89, v56
	v_and_b32_e32 v57, 0xff, v51
	s_delay_alu instid0(VALU_DEP_1) | instskip(SKIP_2) | instid1(VALU_DEP_2)
	v_mov_b32_e32 v58, v57
	v_fma_f64 v[47:48], v[39:40], v[13:14], v[47:48]
	v_fma_f64 v[49:50], v[41:42], v[13:14], v[49:50]
	v_fma_f64 v[47:48], v[31:32], v[9:10], v[47:48]
	s_delay_alu instid0(VALU_DEP_2) | instskip(NEXT) | instid1(VALU_DEP_2)
	v_fma_f64 v[49:50], v[33:34], v[9:10], v[49:50]
	v_fma_f64 v[47:48], -v[33:34], v[11:12], v[47:48]
	s_delay_alu instid0(VALU_DEP_2)
	v_fma_f64 v[49:50], v[31:32], v[11:12], v[49:50]
	s_branch .LBB232_21
.LBB232_20:                             ;   in Loop: Header=BB232_21 Depth=3
	s_or_b32 exec_lo, exec_lo, s43
	s_xor_b32 s43, s44, -1
	s_delay_alu instid0(SALU_CYCLE_1) | instskip(NEXT) | instid1(SALU_CYCLE_1)
	s_and_b32 s43, exec_lo, s43
	s_or_b32 s41, s43, s41
	s_delay_alu instid0(SALU_CYCLE_1)
	s_and_not1_b32 exec_lo, exec_lo, s41
	s_cbranch_execz .LBB232_39
.LBB232_21:                             ;   Parent Loop BB232_16 Depth=1
                                        ;     Parent Loop BB232_19 Depth=2
                                        ; =>    This Loop Header: Depth=3
                                        ;         Child Loop BB232_27 Depth 4
                                        ;         Child Loop BB232_29 Depth 4
	;; [unrolled: 1-line block ×4, first 2 shown]
	v_lshl_add_u32 v51, v58, 2, 0
	s_mov_b32 s43, exec_lo
                                        ; implicit-def: $sgpr44
	ds_load_b32 v52, v51
	s_waitcnt lgkmcnt(0)
	v_cmpx_ne_u32_e64 v52, v56
	s_xor_b32 s43, exec_lo, s43
	s_cbranch_execz .LBB232_33
; %bb.22:                               ;   in Loop: Header=BB232_21 Depth=3
	s_mov_b32 s45, exec_lo
                                        ; implicit-def: $sgpr44
	v_cmpx_ne_u32_e64 s33, v52
	s_xor_b32 s45, exec_lo, s45
; %bb.23:                               ;   in Loop: Header=BB232_21 Depth=3
	v_add_nc_u32_e32 v51, 1, v58
	s_mov_b32 s44, -1
	s_delay_alu instid0(VALU_DEP_1)
	v_and_b32_e32 v58, 0xff, v51
                                        ; implicit-def: $vgpr51
; %bb.24:                               ;   in Loop: Header=BB232_21 Depth=3
	s_and_not1_saveexec_b32 s45, s45
	s_cbranch_execz .LBB232_32
; %bb.25:                               ;   in Loop: Header=BB232_21 Depth=3
	v_mov_b32_e32 v52, s33
	s_mov_b32 s47, -1
	s_mov_b32 s46, exec_lo
	ds_cmpstore_rtn_b32 v52, v51, v56, v52
	s_waitcnt lgkmcnt(0)
	v_cmpx_eq_u32_e64 s33, v52
	s_cbranch_execz .LBB232_31
; %bb.26:                               ;   in Loop: Header=BB232_21 Depth=3
	v_mul_lo_u32 v52, v58, 60
	s_mov_b32 s47, 0
	s_delay_alu instid0(VALU_DEP_1)
	v_add_nc_u32_e32 v59, v51, v52
	ds_load_b64 v[51:52], v59 offset:1024
.LBB232_27:                             ;   Parent Loop BB232_16 Depth=1
                                        ;     Parent Loop BB232_19 Depth=2
                                        ;       Parent Loop BB232_21 Depth=3
                                        ; =>      This Inner Loop Header: Depth=4
	s_waitcnt lgkmcnt(0)
	v_add_f64 v[60:61], v[51:52], v[47:48]
	ds_cmpstore_rtn_b64 v[60:61], v59, v[60:61], v[51:52] offset:1024
	s_waitcnt lgkmcnt(0)
	v_cmp_eq_u64_e32 vcc_lo, v[60:61], v[51:52]
	v_dual_mov_b32 v51, v60 :: v_dual_mov_b32 v52, v61
	s_or_b32 s47, vcc_lo, s47
	s_delay_alu instid0(SALU_CYCLE_1)
	s_and_not1_b32 exec_lo, exec_lo, s47
	s_cbranch_execnz .LBB232_27
; %bb.28:                               ;   in Loop: Header=BB232_21 Depth=3
	s_or_b32 exec_lo, exec_lo, s47
	ds_load_b64 v[51:52], v59 offset:1032
	s_mov_b32 s47, 0
.LBB232_29:                             ;   Parent Loop BB232_16 Depth=1
                                        ;     Parent Loop BB232_19 Depth=2
                                        ;       Parent Loop BB232_21 Depth=3
                                        ; =>      This Inner Loop Header: Depth=4
	s_waitcnt lgkmcnt(0)
	v_add_f64 v[60:61], v[51:52], v[49:50]
	ds_cmpstore_rtn_b64 v[60:61], v59, v[60:61], v[51:52] offset:1032
	s_waitcnt lgkmcnt(0)
	v_cmp_eq_u64_e32 vcc_lo, v[60:61], v[51:52]
	v_dual_mov_b32 v51, v60 :: v_dual_mov_b32 v52, v61
	s_or_b32 s47, vcc_lo, s47
	s_delay_alu instid0(SALU_CYCLE_1)
	s_and_not1_b32 exec_lo, exec_lo, s47
	s_cbranch_execnz .LBB232_29
; %bb.30:                               ;   in Loop: Header=BB232_21 Depth=3
	s_or_b32 exec_lo, exec_lo, s47
	s_delay_alu instid0(SALU_CYCLE_1)
	s_xor_b32 s47, exec_lo, -1
.LBB232_31:                             ;   in Loop: Header=BB232_21 Depth=3
	s_or_b32 exec_lo, exec_lo, s46
	s_delay_alu instid0(SALU_CYCLE_1) | instskip(SKIP_1) | instid1(SALU_CYCLE_1)
	s_and_not1_b32 s44, s44, exec_lo
	s_and_b32 s46, s47, exec_lo
	s_or_b32 s44, s44, s46
.LBB232_32:                             ;   in Loop: Header=BB232_21 Depth=3
	s_or_b32 exec_lo, exec_lo, s45
	s_delay_alu instid0(SALU_CYCLE_1)
	s_and_b32 s44, s44, exec_lo
                                        ; implicit-def: $vgpr51
.LBB232_33:                             ;   in Loop: Header=BB232_21 Depth=3
	s_and_not1_saveexec_b32 s43, s43
	s_cbranch_execz .LBB232_20
; %bb.34:                               ;   in Loop: Header=BB232_21 Depth=3
	v_mul_lo_u32 v52, v58, 60
	s_mov_b32 s45, 0
	s_delay_alu instid0(VALU_DEP_1)
	v_add_nc_u32_e32 v59, v51, v52
	ds_load_b64 v[51:52], v59 offset:1024
.LBB232_35:                             ;   Parent Loop BB232_16 Depth=1
                                        ;     Parent Loop BB232_19 Depth=2
                                        ;       Parent Loop BB232_21 Depth=3
                                        ; =>      This Inner Loop Header: Depth=4
	s_waitcnt lgkmcnt(0)
	v_add_f64 v[60:61], v[51:52], v[47:48]
	ds_cmpstore_rtn_b64 v[60:61], v59, v[60:61], v[51:52] offset:1024
	s_waitcnt lgkmcnt(0)
	v_cmp_eq_u64_e32 vcc_lo, v[60:61], v[51:52]
	v_dual_mov_b32 v51, v60 :: v_dual_mov_b32 v52, v61
	s_or_b32 s45, vcc_lo, s45
	s_delay_alu instid0(SALU_CYCLE_1)
	s_and_not1_b32 exec_lo, exec_lo, s45
	s_cbranch_execnz .LBB232_35
; %bb.36:                               ;   in Loop: Header=BB232_21 Depth=3
	s_or_b32 exec_lo, exec_lo, s45
	ds_load_b64 v[51:52], v59 offset:1032
	s_mov_b32 s45, 0
.LBB232_37:                             ;   Parent Loop BB232_16 Depth=1
                                        ;     Parent Loop BB232_19 Depth=2
                                        ;       Parent Loop BB232_21 Depth=3
                                        ; =>      This Inner Loop Header: Depth=4
	s_waitcnt lgkmcnt(0)
	v_add_f64 v[60:61], v[51:52], v[49:50]
	ds_cmpstore_rtn_b64 v[60:61], v59, v[60:61], v[51:52] offset:1032
	s_waitcnt lgkmcnt(0)
	v_cmp_eq_u64_e32 vcc_lo, v[60:61], v[51:52]
	v_dual_mov_b32 v51, v60 :: v_dual_mov_b32 v52, v61
	s_or_b32 s45, vcc_lo, s45
	s_delay_alu instid0(SALU_CYCLE_1)
	s_and_not1_b32 exec_lo, exec_lo, s45
	s_cbranch_execnz .LBB232_37
; %bb.38:                               ;   in Loop: Header=BB232_21 Depth=3
	s_or_b32 exec_lo, exec_lo, s45
	s_delay_alu instid0(SALU_CYCLE_1)
	s_and_not1_b32 s44, s44, exec_lo
	s_branch .LBB232_20
.LBB232_39:                             ;   in Loop: Header=BB232_19 Depth=2
	s_or_b32 exec_lo, exec_lo, s41
	s_waitcnt vmcnt(0)
	v_mul_f64 v[47:48], v[7:8], -v[41:42]
	v_mul_f64 v[49:50], v[39:40], v[7:8]
	v_mov_b32_e32 v58, v57
	s_mov_b32 s41, 0
	s_delay_alu instid0(VALU_DEP_3) | instskip(NEXT) | instid1(VALU_DEP_3)
	v_fma_f64 v[47:48], v[39:40], v[5:6], v[47:48]
	v_fma_f64 v[49:50], v[41:42], v[5:6], v[49:50]
	s_delay_alu instid0(VALU_DEP_2) | instskip(NEXT) | instid1(VALU_DEP_2)
	v_fma_f64 v[47:48], v[31:32], v[1:2], v[47:48]
	v_fma_f64 v[49:50], v[33:34], v[1:2], v[49:50]
	s_delay_alu instid0(VALU_DEP_2) | instskip(NEXT) | instid1(VALU_DEP_2)
	v_fma_f64 v[47:48], -v[33:34], v[3:4], v[47:48]
	v_fma_f64 v[49:50], v[31:32], v[3:4], v[49:50]
	s_branch .LBB232_41
.LBB232_40:                             ;   in Loop: Header=BB232_41 Depth=3
	s_or_b32 exec_lo, exec_lo, s43
	s_xor_b32 s43, s44, -1
	s_delay_alu instid0(SALU_CYCLE_1) | instskip(NEXT) | instid1(SALU_CYCLE_1)
	s_and_b32 s43, exec_lo, s43
	s_or_b32 s41, s43, s41
	s_delay_alu instid0(SALU_CYCLE_1)
	s_and_not1_b32 exec_lo, exec_lo, s41
	s_cbranch_execz .LBB232_59
.LBB232_41:                             ;   Parent Loop BB232_16 Depth=1
                                        ;     Parent Loop BB232_19 Depth=2
                                        ; =>    This Loop Header: Depth=3
                                        ;         Child Loop BB232_47 Depth 4
                                        ;         Child Loop BB232_49 Depth 4
	;; [unrolled: 1-line block ×4, first 2 shown]
	v_lshl_add_u32 v51, v58, 2, 0
	s_mov_b32 s43, exec_lo
                                        ; implicit-def: $sgpr44
	ds_load_b32 v52, v51
	s_waitcnt lgkmcnt(0)
	v_cmpx_ne_u32_e64 v52, v56
	s_xor_b32 s43, exec_lo, s43
	s_cbranch_execz .LBB232_53
; %bb.42:                               ;   in Loop: Header=BB232_41 Depth=3
	s_mov_b32 s45, exec_lo
                                        ; implicit-def: $sgpr44
	v_cmpx_ne_u32_e64 s33, v52
	s_xor_b32 s45, exec_lo, s45
; %bb.43:                               ;   in Loop: Header=BB232_41 Depth=3
	v_add_nc_u32_e32 v51, 1, v58
	s_mov_b32 s44, -1
	s_delay_alu instid0(VALU_DEP_1)
	v_and_b32_e32 v58, 0xff, v51
                                        ; implicit-def: $vgpr51
; %bb.44:                               ;   in Loop: Header=BB232_41 Depth=3
	s_and_not1_saveexec_b32 s45, s45
	s_cbranch_execz .LBB232_52
; %bb.45:                               ;   in Loop: Header=BB232_41 Depth=3
	v_mov_b32_e32 v52, s33
	s_mov_b32 s47, -1
	s_mov_b32 s46, exec_lo
	ds_cmpstore_rtn_b32 v52, v51, v56, v52
	s_waitcnt lgkmcnt(0)
	v_cmpx_eq_u32_e64 s33, v52
	s_cbranch_execz .LBB232_51
; %bb.46:                               ;   in Loop: Header=BB232_41 Depth=3
	v_mul_lo_u32 v52, v58, 60
	s_mov_b32 s47, 0
	s_delay_alu instid0(VALU_DEP_1)
	v_add_nc_u32_e32 v59, v51, v52
	ds_load_b64 v[51:52], v59 offset:1040
.LBB232_47:                             ;   Parent Loop BB232_16 Depth=1
                                        ;     Parent Loop BB232_19 Depth=2
                                        ;       Parent Loop BB232_41 Depth=3
                                        ; =>      This Inner Loop Header: Depth=4
	s_waitcnt lgkmcnt(0)
	v_add_f64 v[60:61], v[51:52], v[47:48]
	ds_cmpstore_rtn_b64 v[60:61], v59, v[60:61], v[51:52] offset:1040
	s_waitcnt lgkmcnt(0)
	v_cmp_eq_u64_e32 vcc_lo, v[60:61], v[51:52]
	v_dual_mov_b32 v51, v60 :: v_dual_mov_b32 v52, v61
	s_or_b32 s47, vcc_lo, s47
	s_delay_alu instid0(SALU_CYCLE_1)
	s_and_not1_b32 exec_lo, exec_lo, s47
	s_cbranch_execnz .LBB232_47
; %bb.48:                               ;   in Loop: Header=BB232_41 Depth=3
	s_or_b32 exec_lo, exec_lo, s47
	ds_load_b64 v[51:52], v59 offset:1048
	s_mov_b32 s47, 0
.LBB232_49:                             ;   Parent Loop BB232_16 Depth=1
                                        ;     Parent Loop BB232_19 Depth=2
                                        ;       Parent Loop BB232_41 Depth=3
                                        ; =>      This Inner Loop Header: Depth=4
	s_waitcnt lgkmcnt(0)
	v_add_f64 v[60:61], v[51:52], v[49:50]
	ds_cmpstore_rtn_b64 v[60:61], v59, v[60:61], v[51:52] offset:1048
	s_waitcnt lgkmcnt(0)
	v_cmp_eq_u64_e32 vcc_lo, v[60:61], v[51:52]
	v_dual_mov_b32 v51, v60 :: v_dual_mov_b32 v52, v61
	s_or_b32 s47, vcc_lo, s47
	s_delay_alu instid0(SALU_CYCLE_1)
	s_and_not1_b32 exec_lo, exec_lo, s47
	s_cbranch_execnz .LBB232_49
; %bb.50:                               ;   in Loop: Header=BB232_41 Depth=3
	s_or_b32 exec_lo, exec_lo, s47
	s_delay_alu instid0(SALU_CYCLE_1)
	s_xor_b32 s47, exec_lo, -1
.LBB232_51:                             ;   in Loop: Header=BB232_41 Depth=3
	s_or_b32 exec_lo, exec_lo, s46
	s_delay_alu instid0(SALU_CYCLE_1) | instskip(SKIP_1) | instid1(SALU_CYCLE_1)
	s_and_not1_b32 s44, s44, exec_lo
	s_and_b32 s46, s47, exec_lo
	s_or_b32 s44, s44, s46
.LBB232_52:                             ;   in Loop: Header=BB232_41 Depth=3
	s_or_b32 exec_lo, exec_lo, s45
	s_delay_alu instid0(SALU_CYCLE_1)
	s_and_b32 s44, s44, exec_lo
                                        ; implicit-def: $vgpr51
.LBB232_53:                             ;   in Loop: Header=BB232_41 Depth=3
	s_and_not1_saveexec_b32 s43, s43
	s_cbranch_execz .LBB232_40
; %bb.54:                               ;   in Loop: Header=BB232_41 Depth=3
	v_mul_lo_u32 v52, v58, 60
	s_mov_b32 s45, 0
	s_delay_alu instid0(VALU_DEP_1)
	v_add_nc_u32_e32 v59, v51, v52
	ds_load_b64 v[51:52], v59 offset:1040
.LBB232_55:                             ;   Parent Loop BB232_16 Depth=1
                                        ;     Parent Loop BB232_19 Depth=2
                                        ;       Parent Loop BB232_41 Depth=3
                                        ; =>      This Inner Loop Header: Depth=4
	s_waitcnt lgkmcnt(0)
	v_add_f64 v[60:61], v[51:52], v[47:48]
	ds_cmpstore_rtn_b64 v[60:61], v59, v[60:61], v[51:52] offset:1040
	s_waitcnt lgkmcnt(0)
	v_cmp_eq_u64_e32 vcc_lo, v[60:61], v[51:52]
	v_dual_mov_b32 v51, v60 :: v_dual_mov_b32 v52, v61
	s_or_b32 s45, vcc_lo, s45
	s_delay_alu instid0(SALU_CYCLE_1)
	s_and_not1_b32 exec_lo, exec_lo, s45
	s_cbranch_execnz .LBB232_55
; %bb.56:                               ;   in Loop: Header=BB232_41 Depth=3
	s_or_b32 exec_lo, exec_lo, s45
	ds_load_b64 v[51:52], v59 offset:1048
	s_mov_b32 s45, 0
.LBB232_57:                             ;   Parent Loop BB232_16 Depth=1
                                        ;     Parent Loop BB232_19 Depth=2
                                        ;       Parent Loop BB232_41 Depth=3
                                        ; =>      This Inner Loop Header: Depth=4
	s_waitcnt lgkmcnt(0)
	v_add_f64 v[60:61], v[51:52], v[49:50]
	ds_cmpstore_rtn_b64 v[60:61], v59, v[60:61], v[51:52] offset:1048
	s_waitcnt lgkmcnt(0)
	v_cmp_eq_u64_e32 vcc_lo, v[60:61], v[51:52]
	v_dual_mov_b32 v51, v60 :: v_dual_mov_b32 v52, v61
	s_or_b32 s45, vcc_lo, s45
	s_delay_alu instid0(SALU_CYCLE_1)
	s_and_not1_b32 exec_lo, exec_lo, s45
	s_cbranch_execnz .LBB232_57
; %bb.58:                               ;   in Loop: Header=BB232_41 Depth=3
	s_or_b32 exec_lo, exec_lo, s45
	s_delay_alu instid0(SALU_CYCLE_1)
	s_and_not1_b32 s44, s44, exec_lo
	s_branch .LBB232_40
.LBB232_59:                             ;   in Loop: Header=BB232_19 Depth=2
	s_or_b32 exec_lo, exec_lo, s41
	v_mul_f64 v[47:48], v[15:16], -v[37:38]
	v_mul_f64 v[15:16], v[35:36], v[15:16]
	s_mov_b32 s41, 0
	s_delay_alu instid0(VALU_DEP_2) | instskip(NEXT) | instid1(VALU_DEP_2)
	v_fma_f64 v[47:48], v[35:36], v[13:14], v[47:48]
	v_fma_f64 v[13:14], v[37:38], v[13:14], v[15:16]
	s_delay_alu instid0(VALU_DEP_2) | instskip(NEXT) | instid1(VALU_DEP_2)
	v_fma_f64 v[15:16], v[43:44], v[9:10], v[47:48]
	v_fma_f64 v[13:14], v[45:46], v[9:10], v[13:14]
	s_delay_alu instid0(VALU_DEP_2) | instskip(NEXT) | instid1(VALU_DEP_2)
	v_fma_f64 v[9:10], -v[45:46], v[11:12], v[15:16]
	v_fma_f64 v[11:12], v[43:44], v[11:12], v[13:14]
	v_mov_b32_e32 v15, v57
	s_branch .LBB232_61
.LBB232_60:                             ;   in Loop: Header=BB232_61 Depth=3
	s_or_b32 exec_lo, exec_lo, s43
	s_xor_b32 s43, s44, -1
	s_delay_alu instid0(SALU_CYCLE_1) | instskip(NEXT) | instid1(SALU_CYCLE_1)
	s_and_b32 s43, exec_lo, s43
	s_or_b32 s41, s43, s41
	s_delay_alu instid0(SALU_CYCLE_1)
	s_and_not1_b32 exec_lo, exec_lo, s41
	s_cbranch_execz .LBB232_79
.LBB232_61:                             ;   Parent Loop BB232_16 Depth=1
                                        ;     Parent Loop BB232_19 Depth=2
                                        ; =>    This Loop Header: Depth=3
                                        ;         Child Loop BB232_67 Depth 4
                                        ;         Child Loop BB232_69 Depth 4
	;; [unrolled: 1-line block ×4, first 2 shown]
	s_delay_alu instid0(VALU_DEP_1)
	v_lshl_add_u32 v13, v15, 2, 0
	s_mov_b32 s43, exec_lo
                                        ; implicit-def: $sgpr44
	ds_load_b32 v14, v13
	s_waitcnt lgkmcnt(0)
	v_cmpx_ne_u32_e64 v14, v56
	s_xor_b32 s43, exec_lo, s43
	s_cbranch_execz .LBB232_73
; %bb.62:                               ;   in Loop: Header=BB232_61 Depth=3
	s_mov_b32 s45, exec_lo
                                        ; implicit-def: $sgpr44
	v_cmpx_ne_u32_e64 s33, v14
	s_xor_b32 s45, exec_lo, s45
; %bb.63:                               ;   in Loop: Header=BB232_61 Depth=3
	v_add_nc_u32_e32 v13, 1, v15
	s_mov_b32 s44, -1
	s_delay_alu instid0(VALU_DEP_1)
	v_and_b32_e32 v15, 0xff, v13
                                        ; implicit-def: $vgpr13
; %bb.64:                               ;   in Loop: Header=BB232_61 Depth=3
	s_and_not1_saveexec_b32 s45, s45
	s_cbranch_execz .LBB232_72
; %bb.65:                               ;   in Loop: Header=BB232_61 Depth=3
	v_mov_b32_e32 v14, s33
	s_mov_b32 s47, -1
	s_mov_b32 s46, exec_lo
	ds_cmpstore_rtn_b32 v14, v13, v56, v14
	s_waitcnt lgkmcnt(0)
	v_cmpx_eq_u32_e64 s33, v14
	s_cbranch_execz .LBB232_71
; %bb.66:                               ;   in Loop: Header=BB232_61 Depth=3
	v_mul_lo_u32 v14, v15, 60
	s_mov_b32 s47, 0
	s_delay_alu instid0(VALU_DEP_1)
	v_add_nc_u32_e32 v16, v13, v14
	ds_load_b64 v[13:14], v16 offset:1056
.LBB232_67:                             ;   Parent Loop BB232_16 Depth=1
                                        ;     Parent Loop BB232_19 Depth=2
                                        ;       Parent Loop BB232_61 Depth=3
                                        ; =>      This Inner Loop Header: Depth=4
	s_waitcnt lgkmcnt(0)
	v_add_f64 v[47:48], v[13:14], v[9:10]
	ds_cmpstore_rtn_b64 v[47:48], v16, v[47:48], v[13:14] offset:1056
	s_waitcnt lgkmcnt(0)
	v_cmp_eq_u64_e32 vcc_lo, v[47:48], v[13:14]
	v_dual_mov_b32 v13, v47 :: v_dual_mov_b32 v14, v48
	s_or_b32 s47, vcc_lo, s47
	s_delay_alu instid0(SALU_CYCLE_1)
	s_and_not1_b32 exec_lo, exec_lo, s47
	s_cbranch_execnz .LBB232_67
; %bb.68:                               ;   in Loop: Header=BB232_61 Depth=3
	s_or_b32 exec_lo, exec_lo, s47
	ds_load_b64 v[13:14], v16 offset:1064
	s_mov_b32 s47, 0
.LBB232_69:                             ;   Parent Loop BB232_16 Depth=1
                                        ;     Parent Loop BB232_19 Depth=2
                                        ;       Parent Loop BB232_61 Depth=3
                                        ; =>      This Inner Loop Header: Depth=4
	s_waitcnt lgkmcnt(0)
	v_add_f64 v[47:48], v[13:14], v[11:12]
	ds_cmpstore_rtn_b64 v[47:48], v16, v[47:48], v[13:14] offset:1064
	s_waitcnt lgkmcnt(0)
	v_cmp_eq_u64_e32 vcc_lo, v[47:48], v[13:14]
	v_dual_mov_b32 v13, v47 :: v_dual_mov_b32 v14, v48
	s_or_b32 s47, vcc_lo, s47
	s_delay_alu instid0(SALU_CYCLE_1)
	s_and_not1_b32 exec_lo, exec_lo, s47
	s_cbranch_execnz .LBB232_69
; %bb.70:                               ;   in Loop: Header=BB232_61 Depth=3
	s_or_b32 exec_lo, exec_lo, s47
	s_delay_alu instid0(SALU_CYCLE_1)
	s_xor_b32 s47, exec_lo, -1
.LBB232_71:                             ;   in Loop: Header=BB232_61 Depth=3
	s_or_b32 exec_lo, exec_lo, s46
	s_delay_alu instid0(SALU_CYCLE_1) | instskip(SKIP_1) | instid1(SALU_CYCLE_1)
	s_and_not1_b32 s44, s44, exec_lo
	s_and_b32 s46, s47, exec_lo
	s_or_b32 s44, s44, s46
.LBB232_72:                             ;   in Loop: Header=BB232_61 Depth=3
	s_or_b32 exec_lo, exec_lo, s45
	s_delay_alu instid0(SALU_CYCLE_1)
	s_and_b32 s44, s44, exec_lo
                                        ; implicit-def: $vgpr13
.LBB232_73:                             ;   in Loop: Header=BB232_61 Depth=3
	s_and_not1_saveexec_b32 s43, s43
	s_cbranch_execz .LBB232_60
; %bb.74:                               ;   in Loop: Header=BB232_61 Depth=3
	v_mul_lo_u32 v14, v15, 60
	s_mov_b32 s45, 0
	s_delay_alu instid0(VALU_DEP_1)
	v_add_nc_u32_e32 v16, v13, v14
	ds_load_b64 v[13:14], v16 offset:1056
.LBB232_75:                             ;   Parent Loop BB232_16 Depth=1
                                        ;     Parent Loop BB232_19 Depth=2
                                        ;       Parent Loop BB232_61 Depth=3
                                        ; =>      This Inner Loop Header: Depth=4
	s_waitcnt lgkmcnt(0)
	v_add_f64 v[47:48], v[13:14], v[9:10]
	ds_cmpstore_rtn_b64 v[47:48], v16, v[47:48], v[13:14] offset:1056
	s_waitcnt lgkmcnt(0)
	v_cmp_eq_u64_e32 vcc_lo, v[47:48], v[13:14]
	v_dual_mov_b32 v13, v47 :: v_dual_mov_b32 v14, v48
	s_or_b32 s45, vcc_lo, s45
	s_delay_alu instid0(SALU_CYCLE_1)
	s_and_not1_b32 exec_lo, exec_lo, s45
	s_cbranch_execnz .LBB232_75
; %bb.76:                               ;   in Loop: Header=BB232_61 Depth=3
	s_or_b32 exec_lo, exec_lo, s45
	ds_load_b64 v[13:14], v16 offset:1064
	s_mov_b32 s45, 0
.LBB232_77:                             ;   Parent Loop BB232_16 Depth=1
                                        ;     Parent Loop BB232_19 Depth=2
                                        ;       Parent Loop BB232_61 Depth=3
                                        ; =>      This Inner Loop Header: Depth=4
	s_waitcnt lgkmcnt(0)
	v_add_f64 v[47:48], v[13:14], v[11:12]
	ds_cmpstore_rtn_b64 v[47:48], v16, v[47:48], v[13:14] offset:1064
	s_waitcnt lgkmcnt(0)
	v_cmp_eq_u64_e32 vcc_lo, v[47:48], v[13:14]
	v_dual_mov_b32 v13, v47 :: v_dual_mov_b32 v14, v48
	s_or_b32 s45, vcc_lo, s45
	s_delay_alu instid0(SALU_CYCLE_1)
	s_and_not1_b32 exec_lo, exec_lo, s45
	s_cbranch_execnz .LBB232_77
; %bb.78:                               ;   in Loop: Header=BB232_61 Depth=3
	s_or_b32 exec_lo, exec_lo, s45
	s_delay_alu instid0(SALU_CYCLE_1)
	s_and_not1_b32 s44, s44, exec_lo
	s_branch .LBB232_60
.LBB232_79:                             ;   in Loop: Header=BB232_19 Depth=2
	s_or_b32 exec_lo, exec_lo, s41
	v_mul_f64 v[9:10], v[7:8], -v[37:38]
	v_mul_f64 v[7:8], v[35:36], v[7:8]
	s_mov_b32 s41, 0
	s_delay_alu instid0(VALU_DEP_2) | instskip(NEXT) | instid1(VALU_DEP_2)
	v_fma_f64 v[9:10], v[35:36], v[5:6], v[9:10]
	v_fma_f64 v[5:6], v[37:38], v[5:6], v[7:8]
	s_delay_alu instid0(VALU_DEP_2) | instskip(NEXT) | instid1(VALU_DEP_2)
	v_fma_f64 v[7:8], v[43:44], v[1:2], v[9:10]
	v_fma_f64 v[5:6], v[45:46], v[1:2], v[5:6]
	s_delay_alu instid0(VALU_DEP_2) | instskip(NEXT) | instid1(VALU_DEP_2)
	v_fma_f64 v[1:2], -v[45:46], v[3:4], v[7:8]
	v_fma_f64 v[3:4], v[43:44], v[3:4], v[5:6]
	s_branch .LBB232_81
.LBB232_80:                             ;   in Loop: Header=BB232_81 Depth=3
	s_or_b32 exec_lo, exec_lo, s43
	s_xor_b32 s43, s44, -1
	s_delay_alu instid0(SALU_CYCLE_1) | instskip(NEXT) | instid1(SALU_CYCLE_1)
	s_and_b32 s43, exec_lo, s43
	s_or_b32 s41, s43, s41
	s_delay_alu instid0(SALU_CYCLE_1)
	s_and_not1_b32 exec_lo, exec_lo, s41
	s_cbranch_execz .LBB232_18
.LBB232_81:                             ;   Parent Loop BB232_16 Depth=1
                                        ;     Parent Loop BB232_19 Depth=2
                                        ; =>    This Loop Header: Depth=3
                                        ;         Child Loop BB232_87 Depth 4
                                        ;         Child Loop BB232_89 Depth 4
	;; [unrolled: 1-line block ×4, first 2 shown]
	v_lshl_add_u32 v5, v57, 2, 0
	s_mov_b32 s43, exec_lo
                                        ; implicit-def: $sgpr44
	ds_load_b32 v6, v5
	s_waitcnt lgkmcnt(0)
	v_cmpx_ne_u32_e64 v6, v56
	s_xor_b32 s43, exec_lo, s43
	s_cbranch_execz .LBB232_93
; %bb.82:                               ;   in Loop: Header=BB232_81 Depth=3
	s_mov_b32 s45, exec_lo
                                        ; implicit-def: $sgpr44
	v_cmpx_ne_u32_e64 s33, v6
	s_xor_b32 s45, exec_lo, s45
; %bb.83:                               ;   in Loop: Header=BB232_81 Depth=3
	v_add_nc_u32_e32 v5, 1, v57
	s_mov_b32 s44, -1
	s_delay_alu instid0(VALU_DEP_1)
	v_and_b32_e32 v57, 0xff, v5
                                        ; implicit-def: $vgpr5
; %bb.84:                               ;   in Loop: Header=BB232_81 Depth=3
	s_and_not1_saveexec_b32 s45, s45
	s_cbranch_execz .LBB232_92
; %bb.85:                               ;   in Loop: Header=BB232_81 Depth=3
	v_mov_b32_e32 v6, s33
	s_mov_b32 s47, -1
	s_mov_b32 s46, exec_lo
	ds_cmpstore_rtn_b32 v6, v5, v56, v6
	s_waitcnt lgkmcnt(0)
	v_cmpx_eq_u32_e64 s33, v6
	s_cbranch_execz .LBB232_91
; %bb.86:                               ;   in Loop: Header=BB232_81 Depth=3
	v_mul_lo_u32 v6, v57, 60
	s_mov_b32 s47, 0
	s_delay_alu instid0(VALU_DEP_1)
	v_add_nc_u32_e32 v7, v5, v6
	ds_load_b64 v[5:6], v7 offset:1072
.LBB232_87:                             ;   Parent Loop BB232_16 Depth=1
                                        ;     Parent Loop BB232_19 Depth=2
                                        ;       Parent Loop BB232_81 Depth=3
                                        ; =>      This Inner Loop Header: Depth=4
	s_waitcnt lgkmcnt(0)
	v_add_f64 v[8:9], v[5:6], v[1:2]
	ds_cmpstore_rtn_b64 v[8:9], v7, v[8:9], v[5:6] offset:1072
	s_waitcnt lgkmcnt(0)
	v_cmp_eq_u64_e32 vcc_lo, v[8:9], v[5:6]
	v_dual_mov_b32 v5, v8 :: v_dual_mov_b32 v6, v9
	s_or_b32 s47, vcc_lo, s47
	s_delay_alu instid0(SALU_CYCLE_1)
	s_and_not1_b32 exec_lo, exec_lo, s47
	s_cbranch_execnz .LBB232_87
; %bb.88:                               ;   in Loop: Header=BB232_81 Depth=3
	s_or_b32 exec_lo, exec_lo, s47
	ds_load_b64 v[5:6], v7 offset:1080
	s_mov_b32 s47, 0
.LBB232_89:                             ;   Parent Loop BB232_16 Depth=1
                                        ;     Parent Loop BB232_19 Depth=2
                                        ;       Parent Loop BB232_81 Depth=3
                                        ; =>      This Inner Loop Header: Depth=4
	s_waitcnt lgkmcnt(0)
	v_add_f64 v[8:9], v[5:6], v[3:4]
	ds_cmpstore_rtn_b64 v[8:9], v7, v[8:9], v[5:6] offset:1080
	s_waitcnt lgkmcnt(0)
	v_cmp_eq_u64_e32 vcc_lo, v[8:9], v[5:6]
	v_dual_mov_b32 v5, v8 :: v_dual_mov_b32 v6, v9
	s_or_b32 s47, vcc_lo, s47
	s_delay_alu instid0(SALU_CYCLE_1)
	s_and_not1_b32 exec_lo, exec_lo, s47
	s_cbranch_execnz .LBB232_89
; %bb.90:                               ;   in Loop: Header=BB232_81 Depth=3
	s_or_b32 exec_lo, exec_lo, s47
	s_delay_alu instid0(SALU_CYCLE_1)
	s_xor_b32 s47, exec_lo, -1
.LBB232_91:                             ;   in Loop: Header=BB232_81 Depth=3
	s_or_b32 exec_lo, exec_lo, s46
	s_delay_alu instid0(SALU_CYCLE_1) | instskip(SKIP_1) | instid1(SALU_CYCLE_1)
	s_and_not1_b32 s44, s44, exec_lo
	s_and_b32 s46, s47, exec_lo
	s_or_b32 s44, s44, s46
.LBB232_92:                             ;   in Loop: Header=BB232_81 Depth=3
	s_or_b32 exec_lo, exec_lo, s45
	s_delay_alu instid0(SALU_CYCLE_1)
	s_and_b32 s44, s44, exec_lo
                                        ; implicit-def: $vgpr5
.LBB232_93:                             ;   in Loop: Header=BB232_81 Depth=3
	s_and_not1_saveexec_b32 s43, s43
	s_cbranch_execz .LBB232_80
; %bb.94:                               ;   in Loop: Header=BB232_81 Depth=3
	v_mul_lo_u32 v6, v57, 60
	s_mov_b32 s45, 0
	s_delay_alu instid0(VALU_DEP_1)
	v_add_nc_u32_e32 v7, v5, v6
	ds_load_b64 v[5:6], v7 offset:1072
.LBB232_95:                             ;   Parent Loop BB232_16 Depth=1
                                        ;     Parent Loop BB232_19 Depth=2
                                        ;       Parent Loop BB232_81 Depth=3
                                        ; =>      This Inner Loop Header: Depth=4
	s_waitcnt lgkmcnt(0)
	v_add_f64 v[8:9], v[5:6], v[1:2]
	ds_cmpstore_rtn_b64 v[8:9], v7, v[8:9], v[5:6] offset:1072
	s_waitcnt lgkmcnt(0)
	v_cmp_eq_u64_e32 vcc_lo, v[8:9], v[5:6]
	v_dual_mov_b32 v5, v8 :: v_dual_mov_b32 v6, v9
	s_or_b32 s45, vcc_lo, s45
	s_delay_alu instid0(SALU_CYCLE_1)
	s_and_not1_b32 exec_lo, exec_lo, s45
	s_cbranch_execnz .LBB232_95
; %bb.96:                               ;   in Loop: Header=BB232_81 Depth=3
	s_or_b32 exec_lo, exec_lo, s45
	ds_load_b64 v[5:6], v7 offset:1080
	s_mov_b32 s45, 0
.LBB232_97:                             ;   Parent Loop BB232_16 Depth=1
                                        ;     Parent Loop BB232_19 Depth=2
                                        ;       Parent Loop BB232_81 Depth=3
                                        ; =>      This Inner Loop Header: Depth=4
	s_waitcnt lgkmcnt(0)
	v_add_f64 v[8:9], v[5:6], v[3:4]
	ds_cmpstore_rtn_b64 v[8:9], v7, v[8:9], v[5:6] offset:1080
	s_waitcnt lgkmcnt(0)
	v_cmp_eq_u64_e32 vcc_lo, v[8:9], v[5:6]
	v_dual_mov_b32 v5, v8 :: v_dual_mov_b32 v6, v9
	s_or_b32 s45, vcc_lo, s45
	s_delay_alu instid0(SALU_CYCLE_1)
	s_and_not1_b32 exec_lo, exec_lo, s45
	s_cbranch_execnz .LBB232_97
; %bb.98:                               ;   in Loop: Header=BB232_81 Depth=3
	s_or_b32 exec_lo, exec_lo, s45
	s_delay_alu instid0(SALU_CYCLE_1)
	s_and_not1_b32 s44, s44, exec_lo
	s_branch .LBB232_80
.LBB232_99:
	s_or_b32 exec_lo, exec_lo, s12
.LBB232_100:
	s_delay_alu instid0(SALU_CYCLE_1)
	s_and_not1_b32 vcc_lo, exec_lo, s42
	s_barrier
	buffer_gl0_inv
	s_cbranch_vccnz .LBB232_185
; %bb.101:
	s_lshl_b64 s[0:1], s[34:35], 3
	s_delay_alu instid0(SALU_CYCLE_1) | instskip(SKIP_4) | instid1(VALU_DEP_1)
	s_add_u32 s0, s4, s0
	s_addc_u32 s1, s5, s1
	s_mov_b32 s5, 0
	s_load_b128 s[12:15], s[0:1], 0x0
	v_sub_co_u32 v1, s0, v0, s23
	v_sub_co_ci_u32_e64 v2, null, 0, 0, s0
	s_mov_b32 s4, exec_lo
	s_waitcnt lgkmcnt(0)
	s_delay_alu instid0(VALU_DEP_2) | instskip(NEXT) | instid1(VALU_DEP_2)
	v_add_co_u32 v13, vcc_lo, s12, v1
	v_add_co_ci_u32_e32 v14, vcc_lo, s13, v2, vcc_lo
	s_sub_u32 s0, s14, s23
	s_subb_u32 s1, s15, 0
	s_delay_alu instid0(VALU_DEP_1) | instid1(SALU_CYCLE_1)
	v_cmpx_gt_i64_e64 s[0:1], v[13:14]
	s_cbranch_execz .LBB232_184
; %bb.102:
	s_cmp_eq_u32 s3, 0
	s_cselect_b32 s12, 1, 2
	s_cselect_b32 s13, 2, 1
	s_branch .LBB232_104
.LBB232_103:                            ;   in Loop: Header=BB232_104 Depth=1
	s_or_b32 exec_lo, exec_lo, s14
	v_add_co_u32 v13, vcc_lo, 0x100, v13
	v_add_co_ci_u32_e32 v14, vcc_lo, 0, v14, vcc_lo
	s_delay_alu instid0(VALU_DEP_1) | instskip(SKIP_1) | instid1(SALU_CYCLE_1)
	v_cmp_le_i64_e32 vcc_lo, s[0:1], v[13:14]
	s_or_b32 s5, vcc_lo, s5
	s_and_not1_b32 exec_lo, exec_lo, s5
	s_cbranch_execz .LBB232_184
.LBB232_104:                            ; =>This Loop Header: Depth=1
                                        ;     Child Loop BB232_106 Depth 2
                                        ;       Child Loop BB232_112 Depth 3
                                        ;       Child Loop BB232_114 Depth 3
                                        ;       Child Loop BB232_120 Depth 3
                                        ;       Child Loop BB232_122 Depth 3
                                        ;     Child Loop BB232_126 Depth 2
                                        ;       Child Loop BB232_132 Depth 3
                                        ;       Child Loop BB232_134 Depth 3
                                        ;       Child Loop BB232_140 Depth 3
                                        ;       Child Loop BB232_142 Depth 3
	;; [unrolled: 5-line block ×4, first 2 shown]
	v_lshlrev_b64 v[1:2], 6, v[13:14]
	v_lshlrev_b64 v[3:4], 2, v[13:14]
	s_mov_b32 s14, 0
	s_delay_alu instid0(VALU_DEP_2) | instskip(NEXT) | instid1(VALU_DEP_3)
	v_add_co_u32 v1, vcc_lo, s8, v1
	v_add_co_ci_u32_e32 v2, vcc_lo, s9, v2, vcc_lo
	s_delay_alu instid0(VALU_DEP_3) | instskip(NEXT) | instid1(VALU_DEP_4)
	v_add_co_u32 v5, vcc_lo, s6, v3
	v_add_co_ci_u32_e32 v6, vcc_lo, s7, v4, vcc_lo
	global_load_b128 v[21:24], v[1:2], off
	v_or_b32_e32 v7, 0, v4
	v_or_b32_e32 v4, 0, v4
	global_load_b32 v25, v[5:6], off
	v_or_b32_e32 v6, s12, v3
	v_or_b32_e32 v3, s13, v3
	s_delay_alu instid0(VALU_DEP_2) | instskip(NEXT) | instid1(VALU_DEP_2)
	v_lshlrev_b64 v[5:6], 4, v[6:7]
	v_lshlrev_b64 v[3:4], 4, v[3:4]
	s_delay_alu instid0(VALU_DEP_2) | instskip(NEXT) | instid1(VALU_DEP_3)
	v_add_co_u32 v5, vcc_lo, s8, v5
	v_add_co_ci_u32_e32 v6, vcc_lo, s9, v6, vcc_lo
	s_delay_alu instid0(VALU_DEP_3) | instskip(NEXT) | instid1(VALU_DEP_4)
	v_add_co_u32 v7, vcc_lo, s8, v3
	v_add_co_ci_u32_e32 v8, vcc_lo, s9, v4, vcc_lo
	s_clause 0x2
	global_load_b128 v[1:4], v[1:2], off offset:48
	global_load_b128 v[9:12], v[5:6], off
	global_load_b128 v[5:8], v[7:8], off
	s_waitcnt vmcnt(4)
	v_mul_f64 v[15:16], v[23:24], -v[17:18]
	v_mul_f64 v[23:24], v[19:20], v[23:24]
	s_waitcnt vmcnt(3)
	v_subrev_nc_u32_e32 v25, s23, v25
	s_delay_alu instid0(VALU_DEP_3) | instskip(NEXT) | instid1(VALU_DEP_3)
	v_fma_f64 v[15:16], v[19:20], v[21:22], v[15:16]
	v_fma_f64 v[21:22], v[17:18], v[21:22], v[23:24]
	s_delay_alu instid0(VALU_DEP_3) | instskip(NEXT) | instid1(VALU_DEP_1)
	v_mul_lo_u32 v23, 0x89, v25
	v_and_b32_e32 v26, 0xff, v23
	s_delay_alu instid0(VALU_DEP_1)
	v_mov_b32_e32 v27, v26
	s_branch .LBB232_106
.LBB232_105:                            ;   in Loop: Header=BB232_106 Depth=2
	s_or_b32 exec_lo, exec_lo, s15
	s_xor_b32 s15, s16, -1
	s_delay_alu instid0(SALU_CYCLE_1) | instskip(NEXT) | instid1(SALU_CYCLE_1)
	s_and_b32 s15, exec_lo, s15
	s_or_b32 s14, s15, s14
	s_delay_alu instid0(SALU_CYCLE_1)
	s_and_not1_b32 exec_lo, exec_lo, s14
	s_cbranch_execz .LBB232_124
.LBB232_106:                            ;   Parent Loop BB232_104 Depth=1
                                        ; =>  This Loop Header: Depth=2
                                        ;       Child Loop BB232_112 Depth 3
                                        ;       Child Loop BB232_114 Depth 3
	;; [unrolled: 1-line block ×4, first 2 shown]
	s_delay_alu instid0(VALU_DEP_1)
	v_lshl_add_u32 v23, v27, 2, 0
	s_mov_b32 s15, exec_lo
                                        ; implicit-def: $sgpr16
	ds_load_b32 v24, v23
	s_waitcnt lgkmcnt(0)
	v_cmpx_ne_u32_e64 v24, v25
	s_xor_b32 s15, exec_lo, s15
	s_cbranch_execz .LBB232_118
; %bb.107:                              ;   in Loop: Header=BB232_106 Depth=2
	s_mov_b32 s17, exec_lo
                                        ; implicit-def: $sgpr16
	v_cmpx_ne_u32_e64 s33, v24
	s_xor_b32 s17, exec_lo, s17
; %bb.108:                              ;   in Loop: Header=BB232_106 Depth=2
	v_add_nc_u32_e32 v23, 1, v27
	s_mov_b32 s16, -1
	s_delay_alu instid0(VALU_DEP_1)
	v_and_b32_e32 v27, 0xff, v23
                                        ; implicit-def: $vgpr23
; %bb.109:                              ;   in Loop: Header=BB232_106 Depth=2
	s_and_not1_saveexec_b32 s17, s17
	s_cbranch_execz .LBB232_117
; %bb.110:                              ;   in Loop: Header=BB232_106 Depth=2
	v_mov_b32_e32 v24, s33
	s_mov_b32 s19, -1
	s_mov_b32 s18, exec_lo
	ds_cmpstore_rtn_b32 v24, v23, v25, v24
	s_waitcnt lgkmcnt(0)
	v_cmpx_eq_u32_e64 s33, v24
	s_cbranch_execz .LBB232_116
; %bb.111:                              ;   in Loop: Header=BB232_106 Depth=2
	v_mul_lo_u32 v24, v27, 60
	s_mov_b32 s19, 0
	s_delay_alu instid0(VALU_DEP_1)
	v_add_nc_u32_e32 v28, v23, v24
	ds_load_b64 v[23:24], v28 offset:1024
.LBB232_112:                            ;   Parent Loop BB232_104 Depth=1
                                        ;     Parent Loop BB232_106 Depth=2
                                        ; =>    This Inner Loop Header: Depth=3
	s_waitcnt lgkmcnt(0)
	v_add_f64 v[29:30], v[23:24], v[15:16]
	ds_cmpstore_rtn_b64 v[29:30], v28, v[29:30], v[23:24] offset:1024
	s_waitcnt lgkmcnt(0)
	v_cmp_eq_u64_e32 vcc_lo, v[29:30], v[23:24]
	v_dual_mov_b32 v23, v29 :: v_dual_mov_b32 v24, v30
	s_or_b32 s19, vcc_lo, s19
	s_delay_alu instid0(SALU_CYCLE_1)
	s_and_not1_b32 exec_lo, exec_lo, s19
	s_cbranch_execnz .LBB232_112
; %bb.113:                              ;   in Loop: Header=BB232_106 Depth=2
	s_or_b32 exec_lo, exec_lo, s19
	ds_load_b64 v[23:24], v28 offset:1032
	s_mov_b32 s19, 0
.LBB232_114:                            ;   Parent Loop BB232_104 Depth=1
                                        ;     Parent Loop BB232_106 Depth=2
                                        ; =>    This Inner Loop Header: Depth=3
	s_waitcnt lgkmcnt(0)
	v_add_f64 v[29:30], v[23:24], v[21:22]
	ds_cmpstore_rtn_b64 v[29:30], v28, v[29:30], v[23:24] offset:1032
	s_waitcnt lgkmcnt(0)
	v_cmp_eq_u64_e32 vcc_lo, v[29:30], v[23:24]
	v_dual_mov_b32 v23, v29 :: v_dual_mov_b32 v24, v30
	s_or_b32 s19, vcc_lo, s19
	s_delay_alu instid0(SALU_CYCLE_1)
	s_and_not1_b32 exec_lo, exec_lo, s19
	s_cbranch_execnz .LBB232_114
; %bb.115:                              ;   in Loop: Header=BB232_106 Depth=2
	s_or_b32 exec_lo, exec_lo, s19
	s_delay_alu instid0(SALU_CYCLE_1)
	s_xor_b32 s19, exec_lo, -1
.LBB232_116:                            ;   in Loop: Header=BB232_106 Depth=2
	s_or_b32 exec_lo, exec_lo, s18
	s_delay_alu instid0(SALU_CYCLE_1) | instskip(SKIP_1) | instid1(SALU_CYCLE_1)
	s_and_not1_b32 s16, s16, exec_lo
	s_and_b32 s18, s19, exec_lo
	s_or_b32 s16, s16, s18
.LBB232_117:                            ;   in Loop: Header=BB232_106 Depth=2
	s_or_b32 exec_lo, exec_lo, s17
	s_delay_alu instid0(SALU_CYCLE_1)
	s_and_b32 s16, s16, exec_lo
                                        ; implicit-def: $vgpr23
.LBB232_118:                            ;   in Loop: Header=BB232_106 Depth=2
	s_and_not1_saveexec_b32 s15, s15
	s_cbranch_execz .LBB232_105
; %bb.119:                              ;   in Loop: Header=BB232_106 Depth=2
	v_mul_lo_u32 v24, v27, 60
	s_mov_b32 s17, 0
	s_delay_alu instid0(VALU_DEP_1)
	v_add_nc_u32_e32 v28, v23, v24
	ds_load_b64 v[23:24], v28 offset:1024
.LBB232_120:                            ;   Parent Loop BB232_104 Depth=1
                                        ;     Parent Loop BB232_106 Depth=2
                                        ; =>    This Inner Loop Header: Depth=3
	s_waitcnt lgkmcnt(0)
	v_add_f64 v[29:30], v[23:24], v[15:16]
	ds_cmpstore_rtn_b64 v[29:30], v28, v[29:30], v[23:24] offset:1024
	s_waitcnt lgkmcnt(0)
	v_cmp_eq_u64_e32 vcc_lo, v[29:30], v[23:24]
	v_dual_mov_b32 v23, v29 :: v_dual_mov_b32 v24, v30
	s_or_b32 s17, vcc_lo, s17
	s_delay_alu instid0(SALU_CYCLE_1)
	s_and_not1_b32 exec_lo, exec_lo, s17
	s_cbranch_execnz .LBB232_120
; %bb.121:                              ;   in Loop: Header=BB232_106 Depth=2
	s_or_b32 exec_lo, exec_lo, s17
	ds_load_b64 v[23:24], v28 offset:1032
	s_mov_b32 s17, 0
.LBB232_122:                            ;   Parent Loop BB232_104 Depth=1
                                        ;     Parent Loop BB232_106 Depth=2
                                        ; =>    This Inner Loop Header: Depth=3
	s_waitcnt lgkmcnt(0)
	v_add_f64 v[29:30], v[23:24], v[21:22]
	ds_cmpstore_rtn_b64 v[29:30], v28, v[29:30], v[23:24] offset:1032
	s_waitcnt lgkmcnt(0)
	v_cmp_eq_u64_e32 vcc_lo, v[29:30], v[23:24]
	v_dual_mov_b32 v23, v29 :: v_dual_mov_b32 v24, v30
	s_or_b32 s17, vcc_lo, s17
	s_delay_alu instid0(SALU_CYCLE_1)
	s_and_not1_b32 exec_lo, exec_lo, s17
	s_cbranch_execnz .LBB232_122
; %bb.123:                              ;   in Loop: Header=BB232_106 Depth=2
	s_or_b32 exec_lo, exec_lo, s17
	s_delay_alu instid0(SALU_CYCLE_1)
	s_and_not1_b32 s16, s16, exec_lo
	s_branch .LBB232_105
.LBB232_124:                            ;   in Loop: Header=BB232_104 Depth=1
	s_or_b32 exec_lo, exec_lo, s14
	s_waitcnt vmcnt(1)
	v_mul_f64 v[15:16], v[11:12], -v[17:18]
	v_mul_f64 v[21:22], v[19:20], v[11:12]
	s_mov_b32 s14, 0
	s_delay_alu instid0(VALU_DEP_2) | instskip(NEXT) | instid1(VALU_DEP_2)
	v_fma_f64 v[11:12], v[19:20], v[9:10], v[15:16]
	v_fma_f64 v[9:10], v[17:18], v[9:10], v[21:22]
	v_mov_b32_e32 v21, v26
	s_branch .LBB232_126
.LBB232_125:                            ;   in Loop: Header=BB232_126 Depth=2
	s_or_b32 exec_lo, exec_lo, s15
	s_xor_b32 s15, s16, -1
	s_delay_alu instid0(SALU_CYCLE_1) | instskip(NEXT) | instid1(SALU_CYCLE_1)
	s_and_b32 s15, exec_lo, s15
	s_or_b32 s14, s15, s14
	s_delay_alu instid0(SALU_CYCLE_1)
	s_and_not1_b32 exec_lo, exec_lo, s14
	s_cbranch_execz .LBB232_144
.LBB232_126:                            ;   Parent Loop BB232_104 Depth=1
                                        ; =>  This Loop Header: Depth=2
                                        ;       Child Loop BB232_132 Depth 3
                                        ;       Child Loop BB232_134 Depth 3
	;; [unrolled: 1-line block ×4, first 2 shown]
	s_delay_alu instid0(VALU_DEP_1)
	v_lshl_add_u32 v15, v21, 2, 0
	s_mov_b32 s15, exec_lo
                                        ; implicit-def: $sgpr16
	ds_load_b32 v16, v15
	s_waitcnt lgkmcnt(0)
	v_cmpx_ne_u32_e64 v16, v25
	s_xor_b32 s15, exec_lo, s15
	s_cbranch_execz .LBB232_138
; %bb.127:                              ;   in Loop: Header=BB232_126 Depth=2
	s_mov_b32 s17, exec_lo
                                        ; implicit-def: $sgpr16
	v_cmpx_ne_u32_e64 s33, v16
	s_xor_b32 s17, exec_lo, s17
; %bb.128:                              ;   in Loop: Header=BB232_126 Depth=2
	v_add_nc_u32_e32 v15, 1, v21
	s_mov_b32 s16, -1
	s_delay_alu instid0(VALU_DEP_1)
	v_and_b32_e32 v21, 0xff, v15
                                        ; implicit-def: $vgpr15
; %bb.129:                              ;   in Loop: Header=BB232_126 Depth=2
	s_and_not1_saveexec_b32 s17, s17
	s_cbranch_execz .LBB232_137
; %bb.130:                              ;   in Loop: Header=BB232_126 Depth=2
	v_mov_b32_e32 v16, s33
	s_mov_b32 s19, -1
	s_mov_b32 s18, exec_lo
	ds_cmpstore_rtn_b32 v16, v15, v25, v16
	s_waitcnt lgkmcnt(0)
	v_cmpx_eq_u32_e64 s33, v16
	s_cbranch_execz .LBB232_136
; %bb.131:                              ;   in Loop: Header=BB232_126 Depth=2
	v_mul_lo_u32 v16, v21, 60
	s_mov_b32 s19, 0
	s_delay_alu instid0(VALU_DEP_1)
	v_add_nc_u32_e32 v22, v15, v16
	ds_load_b64 v[15:16], v22 offset:1040
.LBB232_132:                            ;   Parent Loop BB232_104 Depth=1
                                        ;     Parent Loop BB232_126 Depth=2
                                        ; =>    This Inner Loop Header: Depth=3
	s_waitcnt lgkmcnt(0)
	v_add_f64 v[23:24], v[15:16], v[11:12]
	ds_cmpstore_rtn_b64 v[23:24], v22, v[23:24], v[15:16] offset:1040
	s_waitcnt lgkmcnt(0)
	v_cmp_eq_u64_e32 vcc_lo, v[23:24], v[15:16]
	v_dual_mov_b32 v15, v23 :: v_dual_mov_b32 v16, v24
	s_or_b32 s19, vcc_lo, s19
	s_delay_alu instid0(SALU_CYCLE_1)
	s_and_not1_b32 exec_lo, exec_lo, s19
	s_cbranch_execnz .LBB232_132
; %bb.133:                              ;   in Loop: Header=BB232_126 Depth=2
	s_or_b32 exec_lo, exec_lo, s19
	ds_load_b64 v[15:16], v22 offset:1048
	s_mov_b32 s19, 0
.LBB232_134:                            ;   Parent Loop BB232_104 Depth=1
                                        ;     Parent Loop BB232_126 Depth=2
                                        ; =>    This Inner Loop Header: Depth=3
	s_waitcnt lgkmcnt(0)
	v_add_f64 v[23:24], v[15:16], v[9:10]
	ds_cmpstore_rtn_b64 v[23:24], v22, v[23:24], v[15:16] offset:1048
	s_waitcnt lgkmcnt(0)
	v_cmp_eq_u64_e32 vcc_lo, v[23:24], v[15:16]
	v_dual_mov_b32 v15, v23 :: v_dual_mov_b32 v16, v24
	s_or_b32 s19, vcc_lo, s19
	s_delay_alu instid0(SALU_CYCLE_1)
	s_and_not1_b32 exec_lo, exec_lo, s19
	s_cbranch_execnz .LBB232_134
; %bb.135:                              ;   in Loop: Header=BB232_126 Depth=2
	s_or_b32 exec_lo, exec_lo, s19
	s_delay_alu instid0(SALU_CYCLE_1)
	s_xor_b32 s19, exec_lo, -1
.LBB232_136:                            ;   in Loop: Header=BB232_126 Depth=2
	s_or_b32 exec_lo, exec_lo, s18
	s_delay_alu instid0(SALU_CYCLE_1) | instskip(SKIP_1) | instid1(SALU_CYCLE_1)
	s_and_not1_b32 s16, s16, exec_lo
	s_and_b32 s18, s19, exec_lo
	s_or_b32 s16, s16, s18
.LBB232_137:                            ;   in Loop: Header=BB232_126 Depth=2
	s_or_b32 exec_lo, exec_lo, s17
	s_delay_alu instid0(SALU_CYCLE_1)
	s_and_b32 s16, s16, exec_lo
                                        ; implicit-def: $vgpr15
.LBB232_138:                            ;   in Loop: Header=BB232_126 Depth=2
	s_and_not1_saveexec_b32 s15, s15
	s_cbranch_execz .LBB232_125
; %bb.139:                              ;   in Loop: Header=BB232_126 Depth=2
	v_mul_lo_u32 v16, v21, 60
	s_mov_b32 s17, 0
	s_delay_alu instid0(VALU_DEP_1)
	v_add_nc_u32_e32 v22, v15, v16
	ds_load_b64 v[15:16], v22 offset:1040
.LBB232_140:                            ;   Parent Loop BB232_104 Depth=1
                                        ;     Parent Loop BB232_126 Depth=2
                                        ; =>    This Inner Loop Header: Depth=3
	s_waitcnt lgkmcnt(0)
	v_add_f64 v[23:24], v[15:16], v[11:12]
	ds_cmpstore_rtn_b64 v[23:24], v22, v[23:24], v[15:16] offset:1040
	s_waitcnt lgkmcnt(0)
	v_cmp_eq_u64_e32 vcc_lo, v[23:24], v[15:16]
	v_dual_mov_b32 v15, v23 :: v_dual_mov_b32 v16, v24
	s_or_b32 s17, vcc_lo, s17
	s_delay_alu instid0(SALU_CYCLE_1)
	s_and_not1_b32 exec_lo, exec_lo, s17
	s_cbranch_execnz .LBB232_140
; %bb.141:                              ;   in Loop: Header=BB232_126 Depth=2
	s_or_b32 exec_lo, exec_lo, s17
	ds_load_b64 v[15:16], v22 offset:1048
	s_mov_b32 s17, 0
.LBB232_142:                            ;   Parent Loop BB232_104 Depth=1
                                        ;     Parent Loop BB232_126 Depth=2
                                        ; =>    This Inner Loop Header: Depth=3
	s_waitcnt lgkmcnt(0)
	v_add_f64 v[23:24], v[15:16], v[9:10]
	ds_cmpstore_rtn_b64 v[23:24], v22, v[23:24], v[15:16] offset:1048
	s_waitcnt lgkmcnt(0)
	v_cmp_eq_u64_e32 vcc_lo, v[23:24], v[15:16]
	v_dual_mov_b32 v15, v23 :: v_dual_mov_b32 v16, v24
	s_or_b32 s17, vcc_lo, s17
	s_delay_alu instid0(SALU_CYCLE_1)
	s_and_not1_b32 exec_lo, exec_lo, s17
	s_cbranch_execnz .LBB232_142
; %bb.143:                              ;   in Loop: Header=BB232_126 Depth=2
	s_or_b32 exec_lo, exec_lo, s17
	s_delay_alu instid0(SALU_CYCLE_1)
	s_and_not1_b32 s16, s16, exec_lo
	s_branch .LBB232_125
.LBB232_144:                            ;   in Loop: Header=BB232_104 Depth=1
	s_or_b32 exec_lo, exec_lo, s14
	s_waitcnt vmcnt(0)
	v_mul_f64 v[9:10], v[7:8], -v[17:18]
	v_mul_f64 v[11:12], v[19:20], v[7:8]
	s_mov_b32 s14, 0
	s_delay_alu instid0(VALU_DEP_2) | instskip(NEXT) | instid1(VALU_DEP_2)
	v_fma_f64 v[7:8], v[19:20], v[5:6], v[9:10]
	v_fma_f64 v[5:6], v[17:18], v[5:6], v[11:12]
	v_mov_b32_e32 v11, v26
	s_branch .LBB232_146
.LBB232_145:                            ;   in Loop: Header=BB232_146 Depth=2
	s_or_b32 exec_lo, exec_lo, s15
	s_xor_b32 s15, s16, -1
	s_delay_alu instid0(SALU_CYCLE_1) | instskip(NEXT) | instid1(SALU_CYCLE_1)
	s_and_b32 s15, exec_lo, s15
	s_or_b32 s14, s15, s14
	s_delay_alu instid0(SALU_CYCLE_1)
	s_and_not1_b32 exec_lo, exec_lo, s14
	s_cbranch_execz .LBB232_164
.LBB232_146:                            ;   Parent Loop BB232_104 Depth=1
                                        ; =>  This Loop Header: Depth=2
                                        ;       Child Loop BB232_152 Depth 3
                                        ;       Child Loop BB232_154 Depth 3
	;; [unrolled: 1-line block ×4, first 2 shown]
	s_delay_alu instid0(VALU_DEP_1)
	v_lshl_add_u32 v9, v11, 2, 0
	s_mov_b32 s15, exec_lo
                                        ; implicit-def: $sgpr16
	ds_load_b32 v10, v9
	s_waitcnt lgkmcnt(0)
	v_cmpx_ne_u32_e64 v10, v25
	s_xor_b32 s15, exec_lo, s15
	s_cbranch_execz .LBB232_158
; %bb.147:                              ;   in Loop: Header=BB232_146 Depth=2
	s_mov_b32 s17, exec_lo
                                        ; implicit-def: $sgpr16
	v_cmpx_ne_u32_e64 s33, v10
	s_xor_b32 s17, exec_lo, s17
; %bb.148:                              ;   in Loop: Header=BB232_146 Depth=2
	v_add_nc_u32_e32 v9, 1, v11
	s_mov_b32 s16, -1
	s_delay_alu instid0(VALU_DEP_1)
	v_and_b32_e32 v11, 0xff, v9
                                        ; implicit-def: $vgpr9
; %bb.149:                              ;   in Loop: Header=BB232_146 Depth=2
	s_and_not1_saveexec_b32 s17, s17
	s_cbranch_execz .LBB232_157
; %bb.150:                              ;   in Loop: Header=BB232_146 Depth=2
	v_mov_b32_e32 v10, s33
	s_mov_b32 s19, -1
	s_mov_b32 s18, exec_lo
	ds_cmpstore_rtn_b32 v10, v9, v25, v10
	s_waitcnt lgkmcnt(0)
	v_cmpx_eq_u32_e64 s33, v10
	s_cbranch_execz .LBB232_156
; %bb.151:                              ;   in Loop: Header=BB232_146 Depth=2
	v_mul_lo_u32 v10, v11, 60
	s_mov_b32 s19, 0
	s_delay_alu instid0(VALU_DEP_1)
	v_add_nc_u32_e32 v12, v9, v10
	ds_load_b64 v[9:10], v12 offset:1056
.LBB232_152:                            ;   Parent Loop BB232_104 Depth=1
                                        ;     Parent Loop BB232_146 Depth=2
                                        ; =>    This Inner Loop Header: Depth=3
	s_waitcnt lgkmcnt(0)
	v_add_f64 v[15:16], v[9:10], v[7:8]
	ds_cmpstore_rtn_b64 v[15:16], v12, v[15:16], v[9:10] offset:1056
	s_waitcnt lgkmcnt(0)
	v_cmp_eq_u64_e32 vcc_lo, v[15:16], v[9:10]
	v_dual_mov_b32 v9, v15 :: v_dual_mov_b32 v10, v16
	s_or_b32 s19, vcc_lo, s19
	s_delay_alu instid0(SALU_CYCLE_1)
	s_and_not1_b32 exec_lo, exec_lo, s19
	s_cbranch_execnz .LBB232_152
; %bb.153:                              ;   in Loop: Header=BB232_146 Depth=2
	s_or_b32 exec_lo, exec_lo, s19
	ds_load_b64 v[9:10], v12 offset:1064
	s_mov_b32 s19, 0
.LBB232_154:                            ;   Parent Loop BB232_104 Depth=1
                                        ;     Parent Loop BB232_146 Depth=2
                                        ; =>    This Inner Loop Header: Depth=3
	s_waitcnt lgkmcnt(0)
	v_add_f64 v[15:16], v[9:10], v[5:6]
	ds_cmpstore_rtn_b64 v[15:16], v12, v[15:16], v[9:10] offset:1064
	s_waitcnt lgkmcnt(0)
	v_cmp_eq_u64_e32 vcc_lo, v[15:16], v[9:10]
	v_dual_mov_b32 v9, v15 :: v_dual_mov_b32 v10, v16
	s_or_b32 s19, vcc_lo, s19
	s_delay_alu instid0(SALU_CYCLE_1)
	s_and_not1_b32 exec_lo, exec_lo, s19
	s_cbranch_execnz .LBB232_154
; %bb.155:                              ;   in Loop: Header=BB232_146 Depth=2
	s_or_b32 exec_lo, exec_lo, s19
	s_delay_alu instid0(SALU_CYCLE_1)
	s_xor_b32 s19, exec_lo, -1
.LBB232_156:                            ;   in Loop: Header=BB232_146 Depth=2
	s_or_b32 exec_lo, exec_lo, s18
	s_delay_alu instid0(SALU_CYCLE_1) | instskip(SKIP_1) | instid1(SALU_CYCLE_1)
	s_and_not1_b32 s16, s16, exec_lo
	s_and_b32 s18, s19, exec_lo
	s_or_b32 s16, s16, s18
.LBB232_157:                            ;   in Loop: Header=BB232_146 Depth=2
	s_or_b32 exec_lo, exec_lo, s17
	s_delay_alu instid0(SALU_CYCLE_1)
	s_and_b32 s16, s16, exec_lo
                                        ; implicit-def: $vgpr9
.LBB232_158:                            ;   in Loop: Header=BB232_146 Depth=2
	s_and_not1_saveexec_b32 s15, s15
	s_cbranch_execz .LBB232_145
; %bb.159:                              ;   in Loop: Header=BB232_146 Depth=2
	v_mul_lo_u32 v10, v11, 60
	s_mov_b32 s17, 0
	s_delay_alu instid0(VALU_DEP_1)
	v_add_nc_u32_e32 v12, v9, v10
	ds_load_b64 v[9:10], v12 offset:1056
.LBB232_160:                            ;   Parent Loop BB232_104 Depth=1
                                        ;     Parent Loop BB232_146 Depth=2
                                        ; =>    This Inner Loop Header: Depth=3
	s_waitcnt lgkmcnt(0)
	v_add_f64 v[15:16], v[9:10], v[7:8]
	ds_cmpstore_rtn_b64 v[15:16], v12, v[15:16], v[9:10] offset:1056
	s_waitcnt lgkmcnt(0)
	v_cmp_eq_u64_e32 vcc_lo, v[15:16], v[9:10]
	v_dual_mov_b32 v9, v15 :: v_dual_mov_b32 v10, v16
	s_or_b32 s17, vcc_lo, s17
	s_delay_alu instid0(SALU_CYCLE_1)
	s_and_not1_b32 exec_lo, exec_lo, s17
	s_cbranch_execnz .LBB232_160
; %bb.161:                              ;   in Loop: Header=BB232_146 Depth=2
	s_or_b32 exec_lo, exec_lo, s17
	ds_load_b64 v[9:10], v12 offset:1064
	s_mov_b32 s17, 0
.LBB232_162:                            ;   Parent Loop BB232_104 Depth=1
                                        ;     Parent Loop BB232_146 Depth=2
                                        ; =>    This Inner Loop Header: Depth=3
	s_waitcnt lgkmcnt(0)
	v_add_f64 v[15:16], v[9:10], v[5:6]
	ds_cmpstore_rtn_b64 v[15:16], v12, v[15:16], v[9:10] offset:1064
	s_waitcnt lgkmcnt(0)
	v_cmp_eq_u64_e32 vcc_lo, v[15:16], v[9:10]
	v_dual_mov_b32 v9, v15 :: v_dual_mov_b32 v10, v16
	s_or_b32 s17, vcc_lo, s17
	s_delay_alu instid0(SALU_CYCLE_1)
	s_and_not1_b32 exec_lo, exec_lo, s17
	s_cbranch_execnz .LBB232_162
; %bb.163:                              ;   in Loop: Header=BB232_146 Depth=2
	s_or_b32 exec_lo, exec_lo, s17
	s_delay_alu instid0(SALU_CYCLE_1)
	s_and_not1_b32 s16, s16, exec_lo
	s_branch .LBB232_145
.LBB232_164:                            ;   in Loop: Header=BB232_104 Depth=1
	s_or_b32 exec_lo, exec_lo, s14
	v_mul_f64 v[5:6], v[3:4], -v[17:18]
	v_mul_f64 v[7:8], v[19:20], v[3:4]
	s_mov_b32 s14, 0
	s_delay_alu instid0(VALU_DEP_2) | instskip(NEXT) | instid1(VALU_DEP_2)
	v_fma_f64 v[3:4], v[19:20], v[1:2], v[5:6]
	v_fma_f64 v[1:2], v[17:18], v[1:2], v[7:8]
	s_branch .LBB232_166
.LBB232_165:                            ;   in Loop: Header=BB232_166 Depth=2
	s_or_b32 exec_lo, exec_lo, s15
	s_xor_b32 s15, s16, -1
	s_delay_alu instid0(SALU_CYCLE_1) | instskip(NEXT) | instid1(SALU_CYCLE_1)
	s_and_b32 s15, exec_lo, s15
	s_or_b32 s14, s15, s14
	s_delay_alu instid0(SALU_CYCLE_1)
	s_and_not1_b32 exec_lo, exec_lo, s14
	s_cbranch_execz .LBB232_103
.LBB232_166:                            ;   Parent Loop BB232_104 Depth=1
                                        ; =>  This Loop Header: Depth=2
                                        ;       Child Loop BB232_172 Depth 3
                                        ;       Child Loop BB232_174 Depth 3
	;; [unrolled: 1-line block ×4, first 2 shown]
	v_lshl_add_u32 v5, v26, 2, 0
	s_mov_b32 s15, exec_lo
                                        ; implicit-def: $sgpr16
	ds_load_b32 v6, v5
	s_waitcnt lgkmcnt(0)
	v_cmpx_ne_u32_e64 v6, v25
	s_xor_b32 s15, exec_lo, s15
	s_cbranch_execz .LBB232_178
; %bb.167:                              ;   in Loop: Header=BB232_166 Depth=2
	s_mov_b32 s17, exec_lo
                                        ; implicit-def: $sgpr16
	v_cmpx_ne_u32_e64 s33, v6
	s_xor_b32 s17, exec_lo, s17
; %bb.168:                              ;   in Loop: Header=BB232_166 Depth=2
	v_add_nc_u32_e32 v5, 1, v26
	s_mov_b32 s16, -1
	s_delay_alu instid0(VALU_DEP_1)
	v_and_b32_e32 v26, 0xff, v5
                                        ; implicit-def: $vgpr5
; %bb.169:                              ;   in Loop: Header=BB232_166 Depth=2
	s_and_not1_saveexec_b32 s17, s17
	s_cbranch_execz .LBB232_177
; %bb.170:                              ;   in Loop: Header=BB232_166 Depth=2
	v_mov_b32_e32 v6, s33
	s_mov_b32 s19, -1
	s_mov_b32 s18, exec_lo
	ds_cmpstore_rtn_b32 v6, v5, v25, v6
	s_waitcnt lgkmcnt(0)
	v_cmpx_eq_u32_e64 s33, v6
	s_cbranch_execz .LBB232_176
; %bb.171:                              ;   in Loop: Header=BB232_166 Depth=2
	v_mul_lo_u32 v6, v26, 60
	s_mov_b32 s19, 0
	s_delay_alu instid0(VALU_DEP_1)
	v_add_nc_u32_e32 v7, v5, v6
	ds_load_b64 v[5:6], v7 offset:1072
.LBB232_172:                            ;   Parent Loop BB232_104 Depth=1
                                        ;     Parent Loop BB232_166 Depth=2
                                        ; =>    This Inner Loop Header: Depth=3
	s_waitcnt lgkmcnt(0)
	v_add_f64 v[8:9], v[5:6], v[3:4]
	ds_cmpstore_rtn_b64 v[8:9], v7, v[8:9], v[5:6] offset:1072
	s_waitcnt lgkmcnt(0)
	v_cmp_eq_u64_e32 vcc_lo, v[8:9], v[5:6]
	v_dual_mov_b32 v5, v8 :: v_dual_mov_b32 v6, v9
	s_or_b32 s19, vcc_lo, s19
	s_delay_alu instid0(SALU_CYCLE_1)
	s_and_not1_b32 exec_lo, exec_lo, s19
	s_cbranch_execnz .LBB232_172
; %bb.173:                              ;   in Loop: Header=BB232_166 Depth=2
	s_or_b32 exec_lo, exec_lo, s19
	ds_load_b64 v[5:6], v7 offset:1080
	s_mov_b32 s19, 0
.LBB232_174:                            ;   Parent Loop BB232_104 Depth=1
                                        ;     Parent Loop BB232_166 Depth=2
                                        ; =>    This Inner Loop Header: Depth=3
	s_waitcnt lgkmcnt(0)
	v_add_f64 v[8:9], v[5:6], v[1:2]
	ds_cmpstore_rtn_b64 v[8:9], v7, v[8:9], v[5:6] offset:1080
	s_waitcnt lgkmcnt(0)
	v_cmp_eq_u64_e32 vcc_lo, v[8:9], v[5:6]
	v_dual_mov_b32 v5, v8 :: v_dual_mov_b32 v6, v9
	s_or_b32 s19, vcc_lo, s19
	s_delay_alu instid0(SALU_CYCLE_1)
	s_and_not1_b32 exec_lo, exec_lo, s19
	s_cbranch_execnz .LBB232_174
; %bb.175:                              ;   in Loop: Header=BB232_166 Depth=2
	s_or_b32 exec_lo, exec_lo, s19
	s_delay_alu instid0(SALU_CYCLE_1)
	s_xor_b32 s19, exec_lo, -1
.LBB232_176:                            ;   in Loop: Header=BB232_166 Depth=2
	s_or_b32 exec_lo, exec_lo, s18
	s_delay_alu instid0(SALU_CYCLE_1) | instskip(SKIP_1) | instid1(SALU_CYCLE_1)
	s_and_not1_b32 s16, s16, exec_lo
	s_and_b32 s18, s19, exec_lo
	s_or_b32 s16, s16, s18
.LBB232_177:                            ;   in Loop: Header=BB232_166 Depth=2
	s_or_b32 exec_lo, exec_lo, s17
	s_delay_alu instid0(SALU_CYCLE_1)
	s_and_b32 s16, s16, exec_lo
                                        ; implicit-def: $vgpr5
.LBB232_178:                            ;   in Loop: Header=BB232_166 Depth=2
	s_and_not1_saveexec_b32 s15, s15
	s_cbranch_execz .LBB232_165
; %bb.179:                              ;   in Loop: Header=BB232_166 Depth=2
	v_mul_lo_u32 v6, v26, 60
	s_mov_b32 s17, 0
	s_delay_alu instid0(VALU_DEP_1)
	v_add_nc_u32_e32 v7, v5, v6
	ds_load_b64 v[5:6], v7 offset:1072
.LBB232_180:                            ;   Parent Loop BB232_104 Depth=1
                                        ;     Parent Loop BB232_166 Depth=2
                                        ; =>    This Inner Loop Header: Depth=3
	s_waitcnt lgkmcnt(0)
	v_add_f64 v[8:9], v[5:6], v[3:4]
	ds_cmpstore_rtn_b64 v[8:9], v7, v[8:9], v[5:6] offset:1072
	s_waitcnt lgkmcnt(0)
	v_cmp_eq_u64_e32 vcc_lo, v[8:9], v[5:6]
	v_dual_mov_b32 v5, v8 :: v_dual_mov_b32 v6, v9
	s_or_b32 s17, vcc_lo, s17
	s_delay_alu instid0(SALU_CYCLE_1)
	s_and_not1_b32 exec_lo, exec_lo, s17
	s_cbranch_execnz .LBB232_180
; %bb.181:                              ;   in Loop: Header=BB232_166 Depth=2
	s_or_b32 exec_lo, exec_lo, s17
	ds_load_b64 v[5:6], v7 offset:1080
	s_mov_b32 s17, 0
.LBB232_182:                            ;   Parent Loop BB232_104 Depth=1
                                        ;     Parent Loop BB232_166 Depth=2
                                        ; =>    This Inner Loop Header: Depth=3
	s_waitcnt lgkmcnt(0)
	v_add_f64 v[8:9], v[5:6], v[1:2]
	ds_cmpstore_rtn_b64 v[8:9], v7, v[8:9], v[5:6] offset:1080
	s_waitcnt lgkmcnt(0)
	v_cmp_eq_u64_e32 vcc_lo, v[8:9], v[5:6]
	v_dual_mov_b32 v5, v8 :: v_dual_mov_b32 v6, v9
	s_or_b32 s17, vcc_lo, s17
	s_delay_alu instid0(SALU_CYCLE_1)
	s_and_not1_b32 exec_lo, exec_lo, s17
	s_cbranch_execnz .LBB232_182
; %bb.183:                              ;   in Loop: Header=BB232_166 Depth=2
	s_or_b32 exec_lo, exec_lo, s17
	s_delay_alu instid0(SALU_CYCLE_1)
	s_and_not1_b32 s16, s16, exec_lo
	s_branch .LBB232_165
.LBB232_184:
	s_or_b32 exec_lo, exec_lo, s4
.LBB232_185:
	s_barrier
	buffer_gl0_inv
	s_and_saveexec_b32 s0, s2
	s_cbranch_execz .LBB232_190
; %bb.186:
	ds_load_b32 v3, v53
	s_mov_b32 s1, 0
	s_waitcnt lgkmcnt(0)
	v_cmp_gt_i32_e32 vcc_lo, s33, v3
	s_and_b32 exec_lo, exec_lo, vcc_lo
	s_cbranch_execz .LBB232_190
; %bb.187:
	s_lshl_b64 s[4:5], s[34:35], 3
	s_delay_alu instid0(SALU_CYCLE_1)
	s_add_u32 s4, s10, s4
	s_addc_u32 s5, s11, s5
	s_load_b64 s[4:5], s[4:5], 0x0
	s_waitcnt lgkmcnt(0)
	s_sub_u32 s4, s4, s22
	s_subb_u32 s5, s5, 0
	s_delay_alu instid0(SALU_CYCLE_1)
	v_dual_mov_b32 v1, s4 :: v_dual_mov_b32 v2, s5
.LBB232_188:                            ; =>This Inner Loop Header: Depth=1
	s_add_i32 s0, s1, 0
	s_add_i32 s1, s1, 64
	v_mov_b32_e32 v18, s0
	s_cmpk_lg_i32 s1, 0x400
	ds_load_2addr_b32 v[4:5], v18 offset1:1
	ds_load_2addr_b32 v[6:7], v18 offset0:2 offset1:3
	ds_load_2addr_b32 v[8:9], v18 offset0:4 offset1:5
	;; [unrolled: 1-line block ×7, first 2 shown]
	s_waitcnt lgkmcnt(7)
	v_cmp_gt_i32_e32 vcc_lo, v3, v4
	v_cndmask_b32_e64 v4, 0, 1, vcc_lo
	v_cmp_gt_i32_e32 vcc_lo, v3, v5
	v_cndmask_b32_e64 v5, 0, 1, vcc_lo
	s_waitcnt lgkmcnt(6)
	v_cmp_gt_i32_e32 vcc_lo, v3, v6
	v_cndmask_b32_e64 v6, 0, 1, vcc_lo
	v_cmp_gt_i32_e32 vcc_lo, v3, v7
	v_cndmask_b32_e64 v7, 0, 1, vcc_lo
	;; [unrolled: 5-line block ×4, first 2 shown]
	s_waitcnt lgkmcnt(3)
	v_cmp_gt_i32_e32 vcc_lo, v3, v12
	v_cndmask_b32_e64 v12, 0, 1, vcc_lo
	v_add_co_u32 v1, vcc_lo, v1, v4
	v_add_co_ci_u32_e32 v2, vcc_lo, 0, v2, vcc_lo
	v_cmp_gt_i32_e32 vcc_lo, v3, v13
	s_delay_alu instid0(VALU_DEP_3) | instskip(NEXT) | instid1(VALU_DEP_1)
	v_add_co_u32 v1, s0, v1, v5
	v_add_co_ci_u32_e64 v2, s0, 0, v2, s0
	v_cndmask_b32_e64 v4, 0, 1, vcc_lo
	s_delay_alu instid0(VALU_DEP_3) | instskip(NEXT) | instid1(VALU_DEP_3)
	v_add_co_u32 v1, vcc_lo, v1, v6
	v_add_co_ci_u32_e32 v2, vcc_lo, 0, v2, vcc_lo
	s_waitcnt lgkmcnt(2)
	v_cmp_gt_i32_e32 vcc_lo, v3, v14
	s_delay_alu instid0(VALU_DEP_3) | instskip(NEXT) | instid1(VALU_DEP_1)
	v_add_co_u32 v1, s0, v1, v7
	v_add_co_ci_u32_e64 v2, s0, 0, v2, s0
	v_cndmask_b32_e64 v5, 0, 1, vcc_lo
	s_delay_alu instid0(VALU_DEP_3) | instskip(NEXT) | instid1(VALU_DEP_3)
	v_add_co_u32 v1, vcc_lo, v1, v8
	v_add_co_ci_u32_e32 v2, vcc_lo, 0, v2, vcc_lo
	v_cmp_gt_i32_e32 vcc_lo, v3, v15
	s_delay_alu instid0(VALU_DEP_3) | instskip(NEXT) | instid1(VALU_DEP_1)
	v_add_co_u32 v1, s0, v1, v9
	v_add_co_ci_u32_e64 v2, s0, 0, v2, s0
	v_cndmask_b32_e64 v6, 0, 1, vcc_lo
	s_delay_alu instid0(VALU_DEP_3) | instskip(NEXT) | instid1(VALU_DEP_3)
	v_add_co_u32 v1, vcc_lo, v1, v10
	v_add_co_ci_u32_e32 v2, vcc_lo, 0, v2, vcc_lo
	s_waitcnt lgkmcnt(1)
	v_cmp_gt_i32_e32 vcc_lo, v3, v16
	s_delay_alu instid0(VALU_DEP_3) | instskip(NEXT) | instid1(VALU_DEP_1)
	v_add_co_u32 v1, s0, v1, v11
	v_add_co_ci_u32_e64 v2, s0, 0, v2, s0
	v_cndmask_b32_e64 v7, 0, 1, vcc_lo
	s_delay_alu instid0(VALU_DEP_3) | instskip(NEXT) | instid1(VALU_DEP_3)
	;; [unrolled: 17-line block ×3, first 2 shown]
	v_add_co_u32 v1, vcc_lo, v1, v7
	v_add_co_ci_u32_e32 v2, vcc_lo, 0, v2, vcc_lo
	v_cmp_gt_i32_e32 vcc_lo, v3, v19
	s_delay_alu instid0(VALU_DEP_3) | instskip(NEXT) | instid1(VALU_DEP_1)
	v_add_co_u32 v1, s0, v1, v4
	v_add_co_ci_u32_e64 v2, s0, 0, v2, s0
	v_cndmask_b32_e64 v4, 0, 1, vcc_lo
	s_delay_alu instid0(VALU_DEP_3) | instskip(NEXT) | instid1(VALU_DEP_3)
	v_add_co_u32 v1, vcc_lo, v1, v5
	v_add_co_ci_u32_e32 v2, vcc_lo, 0, v2, vcc_lo
	s_delay_alu instid0(VALU_DEP_2) | instskip(NEXT) | instid1(VALU_DEP_2)
	v_add_co_u32 v1, vcc_lo, v1, v4
	v_add_co_ci_u32_e32 v2, vcc_lo, 0, v2, vcc_lo
	s_cbranch_scc1 .LBB232_188
; %bb.189:
	v_lshlrev_b32_e32 v4, 2, v0
	s_cmp_eq_u32 s3, 0
	v_lshlrev_b32_e32 v0, 6, v0
	s_cselect_b32 s0, 1, 2
	s_cselect_b32 s1, 2, 1
	v_or_b32_e32 v5, s0, v4
	v_or_b32_e32 v4, s1, v4
	v_add_nc_u32_e32 v6, 0, v0
	v_add3_u32 v0, 0, 0x400, v0
	v_lshlrev_b64 v[20:21], 2, v[1:2]
	v_lshl_add_u32 v12, v5, 4, 0
	v_lshl_add_u32 v16, v4, 4, 0
	v_add_nc_u32_e32 v22, s22, v3
	ds_load_2addr_b64 v[4:7], v6 offset0:128 offset1:129
	ds_load_2addr_b64 v[8:11], v0 offset0:6 offset1:7
	;; [unrolled: 1-line block ×4, first 2 shown]
	v_lshlrev_b64 v[0:1], 6, v[1:2]
	v_add_co_u32 v2, vcc_lo, s24, v20
	v_add_co_ci_u32_e32 v3, vcc_lo, s25, v21, vcc_lo
	s_delay_alu instid0(VALU_DEP_3) | instskip(NEXT) | instid1(VALU_DEP_4)
	v_add_co_u32 v0, vcc_lo, s26, v0
	v_add_co_ci_u32_e32 v1, vcc_lo, s27, v1, vcc_lo
	global_store_b32 v[2:3], v22, off
	s_waitcnt lgkmcnt(3)
	global_store_b128 v[0:1], v[4:7], off
	s_waitcnt lgkmcnt(1)
	global_store_b128 v[0:1], v[12:15], off offset:16
	s_waitcnt lgkmcnt(0)
	s_clause 0x1
	global_store_b128 v[0:1], v[16:19], off offset:32
	global_store_b128 v[0:1], v[8:11], off offset:48
.LBB232_190:
	s_nop 0
	s_sendmsg sendmsg(MSG_DEALLOC_VGPRS)
	s_endpgm
	.section	.rodata,"a",@progbits
	.p2align	6, 0x0
	.amdhsa_kernel _ZN9rocsparseL30bsrgemm_fill_block_per_row_2x2ILj256ELj16ELj256ELj137Eli21rocsparse_complex_numIdEEEv20rocsparse_direction_T4_S4_PKS4_S6_NS_24const_host_device_scalarIT5_EEPKT3_S6_PKS8_SC_S6_SE_S9_SC_S6_SE_SC_PS4_PS8_21rocsparse_index_base_SH_SH_SH_bbb
		.amdhsa_group_segment_fixed_size 0
		.amdhsa_private_segment_fixed_size 24
		.amdhsa_kernarg_size 180
		.amdhsa_user_sgpr_count 15
		.amdhsa_user_sgpr_dispatch_ptr 0
		.amdhsa_user_sgpr_queue_ptr 0
		.amdhsa_user_sgpr_kernarg_segment_ptr 1
		.amdhsa_user_sgpr_dispatch_id 0
		.amdhsa_user_sgpr_private_segment_size 0
		.amdhsa_wavefront_size32 1
		.amdhsa_uses_dynamic_stack 0
		.amdhsa_enable_private_segment 1
		.amdhsa_system_sgpr_workgroup_id_x 1
		.amdhsa_system_sgpr_workgroup_id_y 0
		.amdhsa_system_sgpr_workgroup_id_z 0
		.amdhsa_system_sgpr_workgroup_info 0
		.amdhsa_system_vgpr_workitem_id 0
		.amdhsa_next_free_vgpr 62
		.amdhsa_next_free_sgpr 48
		.amdhsa_reserve_vcc 1
		.amdhsa_float_round_mode_32 0
		.amdhsa_float_round_mode_16_64 0
		.amdhsa_float_denorm_mode_32 3
		.amdhsa_float_denorm_mode_16_64 3
		.amdhsa_dx10_clamp 1
		.amdhsa_ieee_mode 1
		.amdhsa_fp16_overflow 0
		.amdhsa_workgroup_processor_mode 1
		.amdhsa_memory_ordered 1
		.amdhsa_forward_progress 0
		.amdhsa_shared_vgpr_count 0
		.amdhsa_exception_fp_ieee_invalid_op 0
		.amdhsa_exception_fp_denorm_src 0
		.amdhsa_exception_fp_ieee_div_zero 0
		.amdhsa_exception_fp_ieee_overflow 0
		.amdhsa_exception_fp_ieee_underflow 0
		.amdhsa_exception_fp_ieee_inexact 0
		.amdhsa_exception_int_div_zero 0
	.end_amdhsa_kernel
	.section	.text._ZN9rocsparseL30bsrgemm_fill_block_per_row_2x2ILj256ELj16ELj256ELj137Eli21rocsparse_complex_numIdEEEv20rocsparse_direction_T4_S4_PKS4_S6_NS_24const_host_device_scalarIT5_EEPKT3_S6_PKS8_SC_S6_SE_S9_SC_S6_SE_SC_PS4_PS8_21rocsparse_index_base_SH_SH_SH_bbb,"axG",@progbits,_ZN9rocsparseL30bsrgemm_fill_block_per_row_2x2ILj256ELj16ELj256ELj137Eli21rocsparse_complex_numIdEEEv20rocsparse_direction_T4_S4_PKS4_S6_NS_24const_host_device_scalarIT5_EEPKT3_S6_PKS8_SC_S6_SE_S9_SC_S6_SE_SC_PS4_PS8_21rocsparse_index_base_SH_SH_SH_bbb,comdat
.Lfunc_end232:
	.size	_ZN9rocsparseL30bsrgemm_fill_block_per_row_2x2ILj256ELj16ELj256ELj137Eli21rocsparse_complex_numIdEEEv20rocsparse_direction_T4_S4_PKS4_S6_NS_24const_host_device_scalarIT5_EEPKT3_S6_PKS8_SC_S6_SE_S9_SC_S6_SE_SC_PS4_PS8_21rocsparse_index_base_SH_SH_SH_bbb, .Lfunc_end232-_ZN9rocsparseL30bsrgemm_fill_block_per_row_2x2ILj256ELj16ELj256ELj137Eli21rocsparse_complex_numIdEEEv20rocsparse_direction_T4_S4_PKS4_S6_NS_24const_host_device_scalarIT5_EEPKT3_S6_PKS8_SC_S6_SE_S9_SC_S6_SE_SC_PS4_PS8_21rocsparse_index_base_SH_SH_SH_bbb
                                        ; -- End function
	.section	.AMDGPU.csdata,"",@progbits
; Kernel info:
; codeLenInByte = 7432
; NumSgprs: 50
; NumVgprs: 62
; ScratchSize: 24
; MemoryBound: 0
; FloatMode: 240
; IeeeMode: 1
; LDSByteSize: 0 bytes/workgroup (compile time only)
; SGPRBlocks: 6
; VGPRBlocks: 7
; NumSGPRsForWavesPerEU: 50
; NumVGPRsForWavesPerEU: 62
; Occupancy: 16
; WaveLimiterHint : 1
; COMPUTE_PGM_RSRC2:SCRATCH_EN: 1
; COMPUTE_PGM_RSRC2:USER_SGPR: 15
; COMPUTE_PGM_RSRC2:TRAP_HANDLER: 0
; COMPUTE_PGM_RSRC2:TGID_X_EN: 1
; COMPUTE_PGM_RSRC2:TGID_Y_EN: 0
; COMPUTE_PGM_RSRC2:TGID_Z_EN: 0
; COMPUTE_PGM_RSRC2:TIDIG_COMP_CNT: 0
	.section	.text._ZN9rocsparseL38bsrgemm_block_per_row_atomic_multipassILj256ELj256ELj2Eli21rocsparse_complex_numIdEEEv20rocsparse_direction_T3_S4_PKS4_S6_NS_24const_host_device_scalarIT4_EEPKT2_S6_PKS8_SC_S6_SE_S9_SC_S6_SE_SC_PS4_PS8_PSA_21rocsparse_index_base_SI_SI_SI_bbb,"axG",@progbits,_ZN9rocsparseL38bsrgemm_block_per_row_atomic_multipassILj256ELj256ELj2Eli21rocsparse_complex_numIdEEEv20rocsparse_direction_T3_S4_PKS4_S6_NS_24const_host_device_scalarIT4_EEPKT2_S6_PKS8_SC_S6_SE_S9_SC_S6_SE_SC_PS4_PS8_PSA_21rocsparse_index_base_SI_SI_SI_bbb,comdat
	.globl	_ZN9rocsparseL38bsrgemm_block_per_row_atomic_multipassILj256ELj256ELj2Eli21rocsparse_complex_numIdEEEv20rocsparse_direction_T3_S4_PKS4_S6_NS_24const_host_device_scalarIT4_EEPKT2_S6_PKS8_SC_S6_SE_S9_SC_S6_SE_SC_PS4_PS8_PSA_21rocsparse_index_base_SI_SI_SI_bbb ; -- Begin function _ZN9rocsparseL38bsrgemm_block_per_row_atomic_multipassILj256ELj256ELj2Eli21rocsparse_complex_numIdEEEv20rocsparse_direction_T3_S4_PKS4_S6_NS_24const_host_device_scalarIT4_EEPKT2_S6_PKS8_SC_S6_SE_S9_SC_S6_SE_SC_PS4_PS8_PSA_21rocsparse_index_base_SI_SI_SI_bbb
	.p2align	8
	.type	_ZN9rocsparseL38bsrgemm_block_per_row_atomic_multipassILj256ELj256ELj2Eli21rocsparse_complex_numIdEEEv20rocsparse_direction_T3_S4_PKS4_S6_NS_24const_host_device_scalarIT4_EEPKT2_S6_PKS8_SC_S6_SE_S9_SC_S6_SE_SC_PS4_PS8_PSA_21rocsparse_index_base_SI_SI_SI_bbb,@function
_ZN9rocsparseL38bsrgemm_block_per_row_atomic_multipassILj256ELj256ELj2Eli21rocsparse_complex_numIdEEEv20rocsparse_direction_T3_S4_PKS4_S6_NS_24const_host_device_scalarIT4_EEPKT2_S6_PKS8_SC_S6_SE_S9_SC_S6_SE_SC_PS4_PS8_PSA_21rocsparse_index_base_SI_SI_SI_bbb: ; @_ZN9rocsparseL38bsrgemm_block_per_row_atomic_multipassILj256ELj256ELj2Eli21rocsparse_complex_numIdEEEv20rocsparse_direction_T3_S4_PKS4_S6_NS_24const_host_device_scalarIT4_EEPKT2_S6_PKS8_SC_S6_SE_S9_SC_S6_SE_SC_PS4_PS8_PSA_21rocsparse_index_base_SI_SI_SI_bbb
; %bb.0:
	s_clause 0x3
	s_load_b32 s13, s[0:1], 0xb8
	s_load_b128 s[8:11], s[0:1], 0x20
	s_load_b128 s[4:7], s[0:1], 0x60
	;; [unrolled: 1-line block ×3, first 2 shown]
	v_mov_b32_e32 v11, 0
	v_mov_b32_e32 v12, 0
	s_mov_b32 s12, s15
	s_waitcnt lgkmcnt(0)
	s_bitcmp1_b32 s13, 0
	v_mov_b32_e32 v1, s8
	s_cselect_b32 s56, -1, 0
	s_bitcmp1_b32 s13, 16
	v_dual_mov_b32 v9, v11 :: v_dual_mov_b32 v10, v12
	s_cselect_b32 s2, -1, 0
	v_mov_b32_e32 v2, s9
	s_xor_b32 s3, s2, -1
	v_dual_mov_b32 v14, v12 :: v_dual_mov_b32 v13, v11
	v_cndmask_b32_e64 v5, 0, 1, s3
	v_dual_mov_b32 v3, s4 :: v_dual_mov_b32 v4, s5
	s_bitcmp0_b32 s13, 0
	s_clause 0x1
	scratch_store_b64 off, v[1:2], off
	scratch_store_b64 off, v[3:4], off offset:8
	v_cmp_ne_u32_e32 vcc_lo, 1, v5
	s_cbranch_scc1 .LBB233_3
; %bb.1:
	s_mov_b64 s[14:15], src_private_base
	s_and_b32 s14, s2, exec_lo
	s_cselect_b32 s14, s15, s9
	s_delay_alu instid0(SALU_CYCLE_1) | instskip(SKIP_2) | instid1(VALU_DEP_2)
	v_dual_mov_b32 v1, 0 :: v_dual_mov_b32 v2, s14
	v_dual_mov_b32 v14, s11 :: v_dual_mov_b32 v13, s10
	s_and_b32 vcc_lo, exec_lo, vcc_lo
	v_cndmask_b32_e64 v1, s8, v1, s2
	flat_load_b64 v[9:10], v[1:2]
	s_cbranch_vccnz .LBB233_3
; %bb.2:
	v_dual_mov_b32 v1, s8 :: v_dual_mov_b32 v2, s9
	flat_load_b64 v[13:14], v[1:2] offset:8
.LBB233_3:
	s_load_b64 s[8:9], s[0:1], 0x18
	s_bitcmp1_b32 s13, 8
	v_dual_mov_b32 v16, v12 :: v_dual_mov_b32 v15, v11
	s_cselect_b32 s33, -1, 0
	s_bfe_u32 s10, s13, 0x10008
	s_delay_alu instid0(SALU_CYCLE_1)
	s_cmp_eq_u32 s10, 0
	s_cbranch_scc1 .LBB233_6
; %bb.4:
	s_mov_b64 s[10:11], src_private_base
	s_and_b32 s10, s2, exec_lo
	s_cselect_b32 s10, s11, s5
	s_delay_alu instid0(SALU_CYCLE_1) | instskip(SKIP_2) | instid1(VALU_DEP_2)
	v_dual_mov_b32 v1, 8 :: v_dual_mov_b32 v2, s10
	v_dual_mov_b32 v12, s7 :: v_dual_mov_b32 v11, s6
	s_and_not1_b32 vcc_lo, exec_lo, s3
	v_cndmask_b32_e64 v1, s4, v1, s2
	flat_load_b64 v[15:16], v[1:2]
	s_cbranch_vccnz .LBB233_6
; %bb.5:
	v_dual_mov_b32 v1, s4 :: v_dual_mov_b32 v2, s5
	flat_load_b64 v[11:12], v[1:2] offset:8
.LBB233_6:
	s_load_b64 s[2:3], s[0:1], 0x30
	s_waitcnt lgkmcnt(0)
	s_cmp_eq_u64 s[8:9], 0
	s_cbranch_scc1 .LBB233_8
; %bb.7:
	s_load_b64 s[4:5], s[0:1], 0x10
	s_waitcnt lgkmcnt(0)
	s_load_b32 s4, s[4:5], 0x0
	s_mov_b32 s5, 0
	s_waitcnt lgkmcnt(0)
	s_add_i32 s4, s4, s12
	s_delay_alu instid0(SALU_CYCLE_1) | instskip(NEXT) | instid1(SALU_CYCLE_1)
	s_lshl_b64 s[4:5], s[4:5], 2
	s_add_u32 s4, s8, s4
	s_addc_u32 s5, s9, s5
	s_load_b32 s12, s[4:5], 0x0
.LBB233_8:
	s_mov_b64 s[34:35], 0
	s_and_not1_b32 vcc_lo, exec_lo, s56
	s_mov_b64 s[48:49], 0
	s_cbranch_vccz .LBB233_11
; %bb.9:
	s_and_not1_b32 vcc_lo, exec_lo, s56
	s_cbranch_vccz .LBB233_12
.LBB233_10:
	s_load_b128 s[40:43], s[0:1], 0x0
	s_waitcnt lgkmcnt(0)
	s_cmp_lt_i32 s41, 1
	s_cbranch_scc0 .LBB233_13
	s_branch .LBB233_106
.LBB233_11:
	s_waitcnt lgkmcnt(0)
	s_ashr_i32 s13, s12, 31
	s_delay_alu instid0(SALU_CYCLE_1) | instskip(NEXT) | instid1(SALU_CYCLE_1)
	s_lshl_b64 s[4:5], s[12:13], 3
	s_add_u32 s4, s2, s4
	s_addc_u32 s5, s3, s5
	s_load_b64 s[4:5], s[4:5], 0x0
	s_waitcnt lgkmcnt(0)
	s_sub_u32 s48, s4, s36
	s_subb_u32 s49, s5, 0
	s_and_not1_b32 vcc_lo, exec_lo, s56
	s_cbranch_vccnz .LBB233_10
.LBB233_12:
	s_waitcnt lgkmcnt(0)
	s_ashr_i32 s13, s12, 31
	s_delay_alu instid0(SALU_CYCLE_1) | instskip(NEXT) | instid1(SALU_CYCLE_1)
	s_lshl_b64 s[4:5], s[12:13], 3
	s_add_u32 s2, s2, s4
	s_addc_u32 s3, s3, s5
	s_load_b64 s[2:3], s[2:3], 0x8
	s_waitcnt lgkmcnt(0)
	s_sub_u32 s34, s2, s36
	s_subb_u32 s35, s3, 0
	s_load_b128 s[40:43], s[0:1], 0x0
	s_waitcnt lgkmcnt(0)
	s_cmp_lt_i32 s41, 1
	s_cbranch_scc1 .LBB233_106
.LBB233_13:
	s_clause 0x4
	s_load_b256 s[16:23], s[0:1], 0x70
	s_load_b64 s[50:51], s[0:1], 0xa0
	s_load_b128 s[44:47], s[0:1], 0x90
	s_load_b64 s[14:15], s[0:1], 0x58
	s_load_b256 s[24:31], s[0:1], 0x38
	s_ashr_i32 s13, s12, 31
	v_bfe_u32 v7, v0, 1, 1
	s_lshl_b64 s[6:7], s[12:13], 3
	v_dual_mov_b32 v1, 0 :: v_dual_and_b32 v6, 3, v0
	v_and_b32_e32 v40, 1, v0
	s_delay_alu instid0(VALU_DEP_3) | instskip(SKIP_4) | instid1(VALU_DEP_4)
	v_mul_lo_u32 v2, v7, s42
	v_lshlrev_b32_e32 v23, 2, v0
	v_lshrrev_b32_e32 v39, 2, v0
	v_mov_b32_e32 v3, v1
	v_mul_lo_u32 v4, v40, s42
	v_dual_mov_b32 v5, v1 :: v_dual_add_nc_u32 v50, 0x4ff8, v23
	v_max_i32_e32 v8, v40, v7
	s_delay_alu instid0(VALU_DEP_4)
	v_lshlrev_b64 v[2:3], 4, v[2:3]
	s_waitcnt lgkmcnt(0)
	s_add_u32 s2, s22, s6
	s_addc_u32 s3, s23, s7
	v_lshlrev_b32_e32 v19, 4, v40
	s_load_b64 s[4:5], s[2:3], 0x0
	v_lshlrev_b64 v[4:5], 4, v[4:5]
	v_cmp_gt_i32_e64 s2, s42, v8
	v_cmp_le_i32_e64 s3, s42, v8
	v_add_co_u32 v8, vcc_lo, s26, v2
	v_add_co_ci_u32_e32 v17, vcc_lo, s27, v3, vcc_lo
	v_add_co_u32 v18, vcc_lo, s46, v4
	v_add_co_ci_u32_e32 v20, vcc_lo, s47, v5, vcc_lo
	;; [unrolled: 2-line block ×3, first 2 shown]
	v_cmp_lt_i64_e64 s8, s[48:49], s[34:35]
	v_and_b32_e32 v45, 2, v0
	v_cmp_gt_u32_e64 s0, 0x100, v0
	v_cmp_eq_u32_e64 s1, 0, v0
	s_waitcnt lgkmcnt(0)
	s_sub_u32 s22, s4, s38
	s_subb_u32 s23, s5, 0
	v_lshlrev_b32_e32 v7, 4, v7
	v_add_co_u32 v43, s4, v8, v19
	s_delay_alu instid0(VALU_DEP_1) | instskip(NEXT) | instid1(VALU_DEP_3)
	v_add_co_ci_u32_e64 v44, s4, 0, v17, s4
	v_add_co_u32 v18, vcc_lo, v18, v7
	v_add_co_ci_u32_e32 v20, vcc_lo, 0, v20, vcc_lo
	v_add_co_u32 v21, vcc_lo, v21, v19
	v_add_co_ci_u32_e32 v22, vcc_lo, 0, v22, vcc_lo
	s_cmp_eq_u32 s40, 0
	v_add_co_u32 v8, s4, s20, v4
	s_cselect_b32 vcc_lo, -1, 0
	v_add_co_ci_u32_e64 v17, s4, s21, v5, s4
	v_sub_co_u32 v46, s4, v39, s39
	v_dual_cndmask_b32 v58, v18, v21 :: v_dual_lshlrev_b32 v41, 4, v0
	v_cndmask_b32_e32 v57, v20, v22, vcc_lo
	v_mov_b32_e32 v21, s22
	v_sub_co_ci_u32_e64 v47, null, 0, 0, s4
	v_mov_b32_e32 v22, s23
	v_add_co_u32 v8, s4, v8, v7
	s_delay_alu instid0(VALU_DEP_1) | instskip(SKIP_1) | instid1(VALU_DEP_1)
	v_add_co_ci_u32_e64 v17, s4, 0, v17, s4
	v_add_co_u32 v2, s4, s20, v2
	v_add_co_ci_u32_e64 v3, s4, s21, v3, s4
	s_cmp_lg_u32 s40, 0
	s_delay_alu instid0(VALU_DEP_2) | instskip(NEXT) | instid1(VALU_DEP_1)
	v_add_co_u32 v2, s4, v2, v19
	v_add_co_ci_u32_e64 v3, s4, 0, v3, s4
	s_cselect_b32 s40, -1, 0
	s_delay_alu instid0(VALU_DEP_2) | instskip(SKIP_1) | instid1(VALU_DEP_3)
	v_cndmask_b32_e32 v60, v8, v2, vcc_lo
	v_lshlrev_b32_e32 v2, 6, v39
	v_cndmask_b32_e32 v59, v17, v3, vcc_lo
	v_add_co_u32 v3, vcc_lo, v4, s14
	s_cmp_gt_i32 s42, 0
	v_add_co_ci_u32_e32 v4, vcc_lo, s15, v5, vcc_lo
	v_or3_b32 v62, v2, v7, 0x4000
	v_and_b32_e32 v2, 0xfc, v0
	s_cselect_b32 s47, -1, 0
	s_add_u32 s16, s16, s6
	s_addc_u32 s17, s17, s7
	v_add_co_u32 v24, s55, v0, -1
	s_and_b32 s56, s56, s8
	v_cmp_ne_u32_e64 s5, 0, v0
	v_cmp_lt_u32_e64 s6, 1, v0
	v_cmp_lt_u32_e64 s7, 3, v0
	;; [unrolled: 1-line block ×7, first 2 shown]
	v_or_b32_e32 v61, 0xffffff00, v0
	v_add_co_u32 v17, vcc_lo, v3, 8
	v_add_co_u32 v0, s13, v19, s14
	v_add_co_ci_u32_e32 v18, vcc_lo, 0, v4, vcc_lo
	v_add_co_ci_u32_e64 v3, null, 0, s15, s13
	v_or3_b32 v4, v2, v45, v40
	s_movk_i32 s13, 0xfe0
	v_add_co_u32 v19, vcc_lo, v0, 8
	s_mov_b32 s53, 0
	v_or_b32_e32 v42, 0x4000, v41
	v_cmp_eq_u32_e64 s4, 3, v6
	v_lshl_add_u32 v49, v24, 2, 0x5000
	s_add_u32 s57, s28, 8
	v_add_co_ci_u32_e32 v20, vcc_lo, 0, v3, vcc_lo
	v_and_or_b32 v0, v41, s13, 0x4000
	v_lshlrev_b32_e32 v63, 4, v4
	v_or_b32_e32 v64, 0x5000, v2
	v_dual_mov_b32 v67, 0x100 :: v_dual_mov_b32 v2, v1
	v_mov_b32_e32 v3, v1
	v_mov_b32_e32 v4, v1
	v_or_b32_e32 v48, 0x5000, v23
	v_dual_mov_b32 v66, v1 :: v_dual_add_nc_u32 v51, 0x4ff0, v23
	v_add_nc_u32_e32 v52, 0x4fe0, v23
	v_add_nc_u32_e32 v53, 0x4fc0, v23
	v_dual_mov_b32 v65, 1 :: v_dual_add_nc_u32 v54, 0x4f80, v23
	v_add_nc_u32_e32 v55, 0x4f00, v23
	v_add_nc_u32_e32 v56, 0x4e00, v23
	s_mul_i32 s52, s42, s42
	s_addc_u32 s58, s29, 0
	s_mov_b32 s43, s53
	s_add_u32 s44, s44, -4
	s_mov_b32 s46, s37
	s_mov_b32 s54, s39
	s_addc_u32 s45, s45, -1
	s_lshl_b64 s[20:21], s[52:53], 4
	s_lshl_b64 s[22:23], s[42:43], 4
	s_branch .LBB233_15
.LBB233_14:                             ;   in Loop: Header=BB233_15 Depth=1
	s_or_b32 exec_lo, exec_lo, s13
	s_waitcnt_vscnt null, 0x0
	s_barrier
	buffer_gl0_inv
	ds_load_b32 v66, v1 offset:21504
	v_ashrrev_i32_e32 v5, 31, v6
	v_add_co_u32 v21, s13, v21, v6
	s_waitcnt lgkmcnt(0)
	s_barrier
	s_delay_alu instid0(VALU_DEP_2)
	v_add_co_ci_u32_e64 v22, s13, v22, v5, s13
	buffer_gl0_inv
	v_cmp_le_i32_e32 vcc_lo, s41, v66
	v_add_nc_u32_e32 v67, 0x100, v66
	s_cbranch_vccnz .LBB233_106
.LBB233_15:                             ; =>This Loop Header: Depth=1
                                        ;     Child Loop BB233_18 Depth 2
                                        ;     Child Loop BB233_24 Depth 2
                                        ;       Child Loop BB233_37 Depth 3
                                        ;         Child Loop BB233_46 Depth 4
                                        ;         Child Loop BB233_51 Depth 4
	;; [unrolled: 1-line block ×4, first 2 shown]
                                        ;     Child Loop BB233_66 Depth 2
                                        ;       Child Loop BB233_71 Depth 3
                                        ;       Child Loop BB233_73 Depth 3
                                        ;     Child Loop BB233_78 Depth 2
                                        ;     Child Loop BB233_103 Depth 2
	s_and_saveexec_b32 s13, s0
	s_cbranch_execz .LBB233_17
; %bb.16:                               ;   in Loop: Header=BB233_15 Depth=1
	ds_store_b32 v48, v1
.LBB233_17:                             ;   in Loop: Header=BB233_15 Depth=1
	s_or_b32 exec_lo, exec_lo, s13
	v_mov_b32_e32 v5, v41
	v_mov_b32_e32 v6, v61
	s_mov_b32 s13, 0
.LBB233_18:                             ;   Parent Loop BB233_15 Depth=1
                                        ; =>  This Inner Loop Header: Depth=2
	s_delay_alu instid0(VALU_DEP_1) | instskip(SKIP_4) | instid1(SALU_CYCLE_1)
	v_add_nc_u32_e32 v6, 0x100, v6
	ds_store_b128 v5, v[1:4]
	v_add_nc_u32_e32 v5, 0x1000, v5
	v_cmp_lt_u32_e32 vcc_lo, 0x2ff, v6
	s_or_b32 s13, vcc_lo, s13
	s_and_not1_b32 exec_lo, exec_lo, s13
	s_cbranch_execnz .LBB233_18
; %bb.19:                               ;   in Loop: Header=BB233_15 Depth=1
	s_or_b32 exec_lo, exec_lo, s13
	s_and_saveexec_b32 s13, s1
	s_cbranch_execz .LBB233_21
; %bb.20:                               ;   in Loop: Header=BB233_15 Depth=1
	v_mov_b32_e32 v5, s41
	ds_store_b32 v1, v5 offset:21504
.LBB233_21:                             ;   in Loop: Header=BB233_15 Depth=1
	s_or_b32 exec_lo, exec_lo, s13
	v_mov_b32_e32 v68, s41
	s_and_not1_b32 vcc_lo, exec_lo, s56
	s_waitcnt vmcnt(0) lgkmcnt(0)
	s_waitcnt_vscnt null, 0x0
	s_barrier
	buffer_gl0_inv
	s_cbranch_vccnz .LBB233_61
; %bb.22:                               ;   in Loop: Header=BB233_15 Depth=1
	v_cmp_ne_u32_e64 s13, 0, v66
	v_mov_b32_e32 v68, s41
	s_mov_b64 s[26:27], s[48:49]
	s_branch .LBB233_24
.LBB233_23:                             ;   in Loop: Header=BB233_24 Depth=2
	s_or_b32 exec_lo, exec_lo, s15
	s_add_u32 s26, s26, 64
	s_addc_u32 s27, s27, 0
	s_delay_alu instid0(SALU_CYCLE_1) | instskip(NEXT) | instid1(VALU_DEP_1)
	v_cmp_lt_i64_e64 s14, s[26:27], s[34:35]
	s_and_b32 vcc_lo, exec_lo, s14
	s_cbranch_vccz .LBB233_61
.LBB233_24:                             ;   Parent Loop BB233_15 Depth=1
                                        ; =>  This Loop Header: Depth=2
                                        ;       Child Loop BB233_37 Depth 3
                                        ;         Child Loop BB233_46 Depth 4
                                        ;         Child Loop BB233_51 Depth 4
	;; [unrolled: 1-line block ×4, first 2 shown]
	v_add_co_u32 v5, s14, s26, v39
	s_delay_alu instid0(VALU_DEP_1) | instskip(NEXT) | instid1(VALU_DEP_1)
	v_add_co_ci_u32_e64 v6, null, s27, 0, s14
	s_waitcnt_vscnt null, 0x0
	s_barrier
	buffer_gl0_inv
	v_cmp_gt_i64_e64 s14, s[34:35], v[5:6]
	s_delay_alu instid0(VALU_DEP_1)
	s_and_saveexec_b32 s15, s14
	s_cbranch_execz .LBB233_29
; %bb.25:                               ;   in Loop: Header=BB233_24 Depth=2
	s_and_saveexec_b32 s43, s3
	s_delay_alu instid0(SALU_CYCLE_1)
	s_xor_b32 s43, exec_lo, s43
	s_cbranch_execz .LBB233_27
; %bb.26:                               ;   in Loop: Header=BB233_24 Depth=2
	ds_store_b128 v42, v[1:4]
.LBB233_27:                             ;   in Loop: Header=BB233_24 Depth=2
	s_and_not1_saveexec_b32 s43, s43
	s_cbranch_execz .LBB233_29
; %bb.28:                               ;   in Loop: Header=BB233_24 Depth=2
	v_mad_u64_u32 v[7:8], null, v5, s52, 0
	s_delay_alu instid0(VALU_DEP_1) | instskip(NEXT) | instid1(VALU_DEP_1)
	v_mad_u64_u32 v[23:24], null, v6, s52, v[8:9]
	v_mov_b32_e32 v8, v23
	s_delay_alu instid0(VALU_DEP_1) | instskip(NEXT) | instid1(VALU_DEP_1)
	v_lshlrev_b64 v[7:8], 4, v[7:8]
	v_add_co_u32 v7, vcc_lo, v43, v7
	s_delay_alu instid0(VALU_DEP_2)
	v_add_co_ci_u32_e32 v8, vcc_lo, v44, v8, vcc_lo
	global_load_b128 v[23:26], v[7:8], off
	s_waitcnt vmcnt(0)
	ds_store_2addr_b64 v42, v[23:24], v[25:26] offset1:1
.LBB233_29:                             ;   in Loop: Header=BB233_24 Depth=2
	s_or_b32 exec_lo, exec_lo, s15
	v_mov_b32_e32 v7, 0
	v_mov_b32_e32 v8, 0
	s_waitcnt lgkmcnt(0)
	s_barrier
	buffer_gl0_inv
	s_and_saveexec_b32 s43, s14
	s_cbranch_execz .LBB233_58
; %bb.30:                               ;   in Loop: Header=BB233_24 Depth=2
	v_lshlrev_b64 v[7:8], 2, v[5:6]
	s_delay_alu instid0(VALU_DEP_1) | instskip(NEXT) | instid1(VALU_DEP_2)
	v_add_co_u32 v7, vcc_lo, s24, v7
	v_add_co_ci_u32_e32 v8, vcc_lo, s25, v8, vcc_lo
	s_and_b32 vcc_lo, exec_lo, s13
	global_load_b32 v7, v[7:8], off
	s_waitcnt vmcnt(0)
	v_subrev_nc_u32_e32 v23, s36, v7
	s_delay_alu instid0(VALU_DEP_1)
	v_ashrrev_i32_e32 v24, 31, v23
	s_cbranch_vccz .LBB233_60
; %bb.31:                               ;   in Loop: Header=BB233_24 Depth=2
	v_lshlrev_b64 v[7:8], 3, v[5:6]
	s_delay_alu instid0(VALU_DEP_1) | instskip(NEXT) | instid1(VALU_DEP_2)
	v_add_co_u32 v7, vcc_lo, s50, v7
	v_add_co_ci_u32_e32 v8, vcc_lo, s51, v8, vcc_lo
	global_load_b64 v[7:8], v[7:8], off
	s_cbranch_execnz .LBB233_33
.LBB233_32:                             ;   in Loop: Header=BB233_24 Depth=2
	s_waitcnt vmcnt(0)
	s_delay_alu instid0(VALU_DEP_1) | instskip(NEXT) | instid1(VALU_DEP_1)
	v_lshlrev_b64 v[7:8], 3, v[23:24]
	v_add_co_u32 v7, vcc_lo, s28, v7
	s_delay_alu instid0(VALU_DEP_2)
	v_add_co_ci_u32_e32 v8, vcc_lo, s29, v8, vcc_lo
	global_load_b64 v[7:8], v[7:8], off
	s_waitcnt vmcnt(0)
	v_sub_co_u32 v7, vcc_lo, v7, s46
	v_subrev_co_ci_u32_e32 v8, vcc_lo, 0, v8, vcc_lo
.LBB233_33:                             ;   in Loop: Header=BB233_24 Depth=2
	v_lshlrev_b64 v[23:24], 3, v[23:24]
	s_mov_b32 s53, exec_lo
	s_delay_alu instid0(VALU_DEP_1) | instskip(NEXT) | instid1(VALU_DEP_2)
	v_add_co_u32 v23, vcc_lo, s57, v23
	v_add_co_ci_u32_e32 v24, vcc_lo, s58, v24, vcc_lo
	global_load_b64 v[23:24], v[23:24], off
	s_waitcnt vmcnt(0)
	v_sub_co_u32 v23, vcc_lo, v23, s46
	v_subrev_co_ci_u32_e32 v24, vcc_lo, 0, v24, vcc_lo
	s_delay_alu instid0(VALU_DEP_1)
	v_cmpx_lt_i64_e64 v[7:8], v[23:24]
	s_cbranch_execz .LBB233_57
; %bb.34:                               ;   in Loop: Header=BB233_24 Depth=2
	v_mad_u64_u32 v[25:26], null, s20, v7, v[17:18]
	v_mul_lo_u32 v29, s20, v8
	v_mul_lo_u32 v30, s21, v7
	v_mad_u64_u32 v[27:28], null, s20, v7, v[19:20]
	s_mov_b32 s59, 0
	s_delay_alu instid0(VALU_DEP_2) | instskip(NEXT) | instid1(VALU_DEP_2)
	v_add3_u32 v26, v30, v26, v29
	v_add3_u32 v28, v30, v28, v29
	v_dual_mov_b32 v30, v8 :: v_dual_mov_b32 v29, v7
	s_branch .LBB233_37
.LBB233_35:                             ;   in Loop: Header=BB233_37 Depth=3
	s_or_b32 exec_lo, exec_lo, s62
	s_delay_alu instid0(SALU_CYCLE_1)
	s_or_b32 s60, s60, exec_lo
.LBB233_36:                             ;   in Loop: Header=BB233_37 Depth=3
	s_or_b32 exec_lo, exec_lo, s61
	v_add_co_u32 v29, vcc_lo, v29, 1
	v_add_co_ci_u32_e32 v30, vcc_lo, 0, v30, vcc_lo
	v_add_co_u32 v25, s15, v25, s20
	s_xor_b32 s60, s60, -1
	s_delay_alu instid0(VALU_DEP_2)
	v_cmp_ge_i64_e32 vcc_lo, v[29:30], v[23:24]
	v_add_co_ci_u32_e64 v26, s15, s21, v26, s15
	s_or_b32 s15, s60, vcc_lo
	v_add_co_u32 v27, vcc_lo, v27, s20
	v_add_co_ci_u32_e32 v28, vcc_lo, s21, v28, vcc_lo
	s_and_b32 s15, exec_lo, s15
	s_delay_alu instid0(SALU_CYCLE_1) | instskip(NEXT) | instid1(SALU_CYCLE_1)
	s_or_b32 s59, s15, s59
	s_and_not1_b32 exec_lo, exec_lo, s59
	s_cbranch_execz .LBB233_56
.LBB233_37:                             ;   Parent Loop BB233_15 Depth=1
                                        ;     Parent Loop BB233_24 Depth=2
                                        ; =>    This Loop Header: Depth=3
                                        ;         Child Loop BB233_46 Depth 4
                                        ;         Child Loop BB233_51 Depth 4
	;; [unrolled: 1-line block ×4, first 2 shown]
	s_delay_alu instid0(VALU_DEP_1) | instskip(NEXT) | instid1(VALU_DEP_1)
	v_lshlrev_b64 v[31:32], 2, v[29:30]
                                        ; implicit-def: $sgpr60
	v_add_co_u32 v31, vcc_lo, s30, v31
	s_delay_alu instid0(VALU_DEP_2) | instskip(SKIP_3) | instid1(VALU_DEP_1)
	v_add_co_ci_u32_e32 v32, vcc_lo, s31, v32, vcc_lo
	global_load_b32 v31, v[31:32], off
	s_waitcnt vmcnt(0)
	v_subrev_nc_u32_e32 v31, s37, v31
	v_cmp_lt_i32_e64 s15, v31, v66
	v_cmp_ge_i32_e32 vcc_lo, v31, v67
	s_delay_alu instid0(VALU_DEP_2) | instskip(NEXT) | instid1(SALU_CYCLE_1)
	s_or_b32 s15, s15, vcc_lo
	s_and_saveexec_b32 s61, s15
	s_delay_alu instid0(SALU_CYCLE_1)
	s_xor_b32 s15, exec_lo, s61
	s_cbranch_execz .LBB233_41
; %bb.38:                               ;   in Loop: Header=BB233_37 Depth=3
	s_mov_b32 s60, -1
	s_and_saveexec_b32 s61, vcc_lo
; %bb.39:                               ;   in Loop: Header=BB233_37 Depth=3
	v_min_i32_e32 v68, v31, v68
	v_dual_mov_b32 v7, v29 :: v_dual_mov_b32 v8, v30
	s_xor_b32 s60, exec_lo, -1
; %bb.40:                               ;   in Loop: Header=BB233_37 Depth=3
	s_or_b32 exec_lo, exec_lo, s61
	s_delay_alu instid0(SALU_CYCLE_1)
	s_and_b32 s60, s60, exec_lo
                                        ; implicit-def: $vgpr31
.LBB233_41:                             ;   in Loop: Header=BB233_37 Depth=3
	s_and_not1_saveexec_b32 s61, s15
	s_cbranch_execz .LBB233_36
; %bb.42:                               ;   in Loop: Header=BB233_37 Depth=3
	v_sub_nc_u32_e32 v31, v31, v66
	s_delay_alu instid0(VALU_DEP_1)
	v_lshlrev_b32_e32 v37, 2, v31
	ds_store_b32 v37, v65 offset:20480
	s_and_saveexec_b32 s62, s2
	s_cbranch_execz .LBB233_35
; %bb.43:                               ;   in Loop: Header=BB233_37 Depth=3
	v_cndmask_b32_e64 v31, 0, 1, s47
	s_and_not1_b32 vcc_lo, exec_lo, s40
	s_delay_alu instid0(VALU_DEP_1)
	v_cmp_ne_u32_e64 s15, 1, v31
	s_cbranch_vccnz .LBB233_48
; %bb.44:                               ;   in Loop: Header=BB233_37 Depth=3
	v_mov_b32_e32 v31, 0
	v_mov_b32_e32 v32, 0
	s_delay_alu instid0(VALU_DEP_3) | instskip(NEXT) | instid1(VALU_DEP_1)
	s_and_b32 vcc_lo, exec_lo, s15
	v_dual_mov_b32 v34, v32 :: v_dual_mov_b32 v33, v31
	s_cbranch_vccnz .LBB233_47
; %bb.45:                               ;   in Loop: Header=BB233_37 Depth=3
	v_dual_mov_b32 v31, 0 :: v_dual_mov_b32 v36, v26
	v_dual_mov_b32 v32, 0 :: v_dual_mov_b32 v35, v25
	v_mov_b32_e32 v38, v62
	s_mov_b32 s15, s42
	s_delay_alu instid0(VALU_DEP_2)
	v_dual_mov_b32 v34, v32 :: v_dual_mov_b32 v33, v31
	.p2align	6
.LBB233_46:                             ;   Parent Loop BB233_15 Depth=1
                                        ;     Parent Loop BB233_24 Depth=2
                                        ;       Parent Loop BB233_37 Depth=3
                                        ; =>      This Inner Loop Header: Depth=4
	global_load_b128 v[69:72], v[35:36], off offset:-8
	ds_load_b128 v[73:76], v38
	v_add_co_u32 v35, vcc_lo, v35, 16
	v_add_nc_u32_e32 v38, 32, v38
	v_add_co_ci_u32_e32 v36, vcc_lo, 0, v36, vcc_lo
	s_add_i32 s15, s15, -1
	s_delay_alu instid0(SALU_CYCLE_1) | instskip(SKIP_3) | instid1(VALU_DEP_2)
	s_cmp_lg_u32 s15, 0
	s_waitcnt vmcnt(0) lgkmcnt(0)
	v_fma_f64 v[31:32], v[73:74], v[69:70], v[31:32]
	v_fma_f64 v[33:34], v[75:76], v[69:70], v[33:34]
	v_fma_f64 v[31:32], -v[75:76], v[71:72], v[31:32]
	s_delay_alu instid0(VALU_DEP_2)
	v_fma_f64 v[33:34], v[73:74], v[71:72], v[33:34]
	s_cbranch_scc1 .LBB233_46
.LBB233_47:                             ;   in Loop: Header=BB233_37 Depth=3
	s_cbranch_execz .LBB233_49
	s_branch .LBB233_52
.LBB233_48:                             ;   in Loop: Header=BB233_37 Depth=3
                                        ; implicit-def: $vgpr31_vgpr32
                                        ; implicit-def: $vgpr33_vgpr34
.LBB233_49:                             ;   in Loop: Header=BB233_37 Depth=3
	v_mov_b32_e32 v31, 0
	v_mov_b32_e32 v32, 0
	s_and_not1_b32 vcc_lo, exec_lo, s47
	s_delay_alu instid0(VALU_DEP_1)
	v_dual_mov_b32 v34, v32 :: v_dual_mov_b32 v33, v31
	s_cbranch_vccnz .LBB233_52
; %bb.50:                               ;   in Loop: Header=BB233_37 Depth=3
	v_dual_mov_b32 v31, 0 :: v_dual_mov_b32 v38, v0
	v_mov_b32_e32 v32, 0
	v_dual_mov_b32 v36, v28 :: v_dual_mov_b32 v35, v27
	s_mov_b32 s15, s42
	s_delay_alu instid0(VALU_DEP_2)
	v_dual_mov_b32 v34, v32 :: v_dual_mov_b32 v33, v31
	.p2align	6
.LBB233_51:                             ;   Parent Loop BB233_15 Depth=1
                                        ;     Parent Loop BB233_24 Depth=2
                                        ;       Parent Loop BB233_37 Depth=3
                                        ; =>      This Inner Loop Header: Depth=4
	global_load_b128 v[69:72], v[35:36], off offset:-8
	ds_load_b128 v[73:76], v38
	v_add_co_u32 v35, vcc_lo, v35, s22
	v_add_co_ci_u32_e32 v36, vcc_lo, s23, v36, vcc_lo
	v_add_nc_u32_e32 v38, 16, v38
	s_add_i32 s15, s15, -1
	s_delay_alu instid0(SALU_CYCLE_1) | instskip(SKIP_3) | instid1(VALU_DEP_2)
	s_cmp_eq_u32 s15, 0
	s_waitcnt vmcnt(0) lgkmcnt(0)
	v_fma_f64 v[31:32], v[73:74], v[69:70], v[31:32]
	v_fma_f64 v[33:34], v[75:76], v[69:70], v[33:34]
	v_fma_f64 v[31:32], -v[75:76], v[71:72], v[31:32]
	s_delay_alu instid0(VALU_DEP_2)
	v_fma_f64 v[33:34], v[73:74], v[71:72], v[33:34]
	s_cbranch_scc0 .LBB233_51
.LBB233_52:                             ;   in Loop: Header=BB233_37 Depth=3
	s_delay_alu instid0(VALU_DEP_1) | instskip(SKIP_2) | instid1(VALU_DEP_1)
	v_mul_f64 v[35:36], v[33:34], -v[13:14]
	v_or3_b32 v37, v37, v45, v40
	s_mov_b32 s15, 0
	v_lshlrev_b32_e32 v69, 4, v37
	ds_load_b64 v[37:38], v69
	v_fma_f64 v[35:36], v[9:10], v[31:32], v[35:36]
.LBB233_53:                             ;   Parent Loop BB233_15 Depth=1
                                        ;     Parent Loop BB233_24 Depth=2
                                        ;       Parent Loop BB233_37 Depth=3
                                        ; =>      This Inner Loop Header: Depth=4
	s_waitcnt lgkmcnt(0)
	s_delay_alu instid0(VALU_DEP_1)
	v_add_f64 v[70:71], v[37:38], v[35:36]
	ds_cmpstore_rtn_b64 v[70:71], v69, v[70:71], v[37:38]
	s_waitcnt lgkmcnt(0)
	v_cmp_eq_u64_e32 vcc_lo, v[70:71], v[37:38]
	v_dual_mov_b32 v37, v70 :: v_dual_mov_b32 v38, v71
	s_or_b32 s15, vcc_lo, s15
	s_delay_alu instid0(SALU_CYCLE_1)
	s_and_not1_b32 exec_lo, exec_lo, s15
	s_cbranch_execnz .LBB233_53
; %bb.54:                               ;   in Loop: Header=BB233_37 Depth=3
	s_or_b32 exec_lo, exec_lo, s15
	v_mul_f64 v[33:34], v[9:10], v[33:34]
	s_mov_b32 s15, 0
	s_delay_alu instid0(VALU_DEP_1)
	v_fma_f64 v[31:32], v[13:14], v[31:32], v[33:34]
	ds_load_b64 v[33:34], v69 offset:8
.LBB233_55:                             ;   Parent Loop BB233_15 Depth=1
                                        ;     Parent Loop BB233_24 Depth=2
                                        ;       Parent Loop BB233_37 Depth=3
                                        ; =>      This Inner Loop Header: Depth=4
	s_waitcnt lgkmcnt(0)
	v_add_f64 v[35:36], v[33:34], v[31:32]
	ds_cmpstore_rtn_b64 v[35:36], v69, v[35:36], v[33:34] offset:8
	s_waitcnt lgkmcnt(0)
	v_cmp_eq_u64_e32 vcc_lo, v[35:36], v[33:34]
	v_dual_mov_b32 v33, v35 :: v_dual_mov_b32 v34, v36
	s_or_b32 s15, vcc_lo, s15
	s_delay_alu instid0(SALU_CYCLE_1)
	s_and_not1_b32 exec_lo, exec_lo, s15
	s_cbranch_execnz .LBB233_55
	s_branch .LBB233_35
.LBB233_56:                             ;   in Loop: Header=BB233_24 Depth=2
	s_or_b32 exec_lo, exec_lo, s59
.LBB233_57:                             ;   in Loop: Header=BB233_24 Depth=2
	s_delay_alu instid0(SALU_CYCLE_1)
	s_or_b32 exec_lo, exec_lo, s53
.LBB233_58:                             ;   in Loop: Header=BB233_24 Depth=2
	s_delay_alu instid0(SALU_CYCLE_1)
	s_or_b32 exec_lo, exec_lo, s43
	s_waitcnt lgkmcnt(0)
	s_barrier
	buffer_gl0_inv
	s_and_saveexec_b32 s15, s14
	s_cbranch_execz .LBB233_23
; %bb.59:                               ;   in Loop: Header=BB233_24 Depth=2
	v_lshlrev_b64 v[5:6], 3, v[5:6]
	s_delay_alu instid0(VALU_DEP_1) | instskip(NEXT) | instid1(VALU_DEP_2)
	v_add_co_u32 v5, vcc_lo, s50, v5
	v_add_co_ci_u32_e32 v6, vcc_lo, s51, v6, vcc_lo
	global_store_b64 v[5:6], v[7:8], off
	s_branch .LBB233_23
.LBB233_60:                             ;   in Loop: Header=BB233_24 Depth=2
                                        ; implicit-def: $vgpr7_vgpr8
	s_branch .LBB233_32
.LBB233_61:                             ;   in Loop: Header=BB233_15 Depth=1
	s_and_not1_b32 vcc_lo, exec_lo, s33
	s_cbranch_vccnz .LBB233_76
; %bb.62:                               ;   in Loop: Header=BB233_15 Depth=1
	s_load_b128 s[60:63], s[16:17], 0x0
	s_mov_b32 s15, exec_lo
	s_waitcnt lgkmcnt(0)
	v_add_co_u32 v23, vcc_lo, s60, v46
	v_add_co_ci_u32_e32 v24, vcc_lo, s61, v47, vcc_lo
	s_sub_u32 s26, s62, s54
	s_subb_u32 s27, s63, 0
	s_delay_alu instid0(VALU_DEP_1) | instid1(SALU_CYCLE_1)
	v_cmpx_gt_i64_e64 s[26:27], v[23:24]
	s_cbranch_execz .LBB233_75
; %bb.63:                               ;   in Loop: Header=BB233_15 Depth=1
	s_mov_b32 s43, 0
	s_branch .LBB233_66
.LBB233_64:                             ;   in Loop: Header=BB233_66 Depth=2
	s_or_b32 exec_lo, exec_lo, s53
	s_delay_alu instid0(SALU_CYCLE_1)
	s_or_b32 s13, s13, exec_lo
.LBB233_65:                             ;   in Loop: Header=BB233_66 Depth=2
	s_or_b32 exec_lo, exec_lo, s14
	v_add_co_u32 v23, vcc_lo, v23, 64
	v_add_co_ci_u32_e32 v24, vcc_lo, 0, v24, vcc_lo
	s_xor_b32 s13, s13, -1
	s_delay_alu instid0(VALU_DEP_1) | instskip(SKIP_1) | instid1(SALU_CYCLE_1)
	v_cmp_le_i64_e32 vcc_lo, s[26:27], v[23:24]
	s_or_b32 s13, s13, vcc_lo
	s_and_b32 s13, exec_lo, s13
	s_delay_alu instid0(SALU_CYCLE_1) | instskip(NEXT) | instid1(SALU_CYCLE_1)
	s_or_b32 s43, s13, s43
	s_and_not1_b32 exec_lo, exec_lo, s43
	s_cbranch_execz .LBB233_74
.LBB233_66:                             ;   Parent Loop BB233_15 Depth=1
                                        ; =>  This Loop Header: Depth=2
                                        ;       Child Loop BB233_71 Depth 3
                                        ;       Child Loop BB233_73 Depth 3
	v_lshlrev_b64 v[5:6], 2, v[23:24]
	s_delay_alu instid0(VALU_DEP_1) | instskip(NEXT) | instid1(VALU_DEP_2)
	v_add_co_u32 v5, vcc_lo, s18, v5
	v_add_co_ci_u32_e32 v6, vcc_lo, s19, v6, vcc_lo
	global_load_b32 v5, v[5:6], off
	s_waitcnt vmcnt(0)
	v_subrev_nc_u32_e32 v5, s39, v5
	s_delay_alu instid0(VALU_DEP_1) | instskip(SKIP_2) | instid1(VALU_DEP_2)
	v_cmp_lt_i32_e64 s13, v5, v66
	v_cmp_ge_i32_e64 s14, v5, v67
	v_cmp_lt_i32_e32 vcc_lo, v5, v67
	s_or_b32 s14, s13, s14
                                        ; implicit-def: $sgpr13
	s_delay_alu instid0(SALU_CYCLE_1) | instskip(NEXT) | instid1(SALU_CYCLE_1)
	s_and_saveexec_b32 s53, s14
	s_xor_b32 s14, exec_lo, s53
; %bb.67:                               ;   in Loop: Header=BB233_66 Depth=2
	v_min_i32_e32 v5, v5, v68
	s_and_b32 s13, vcc_lo, exec_lo
	s_delay_alu instid0(VALU_DEP_1)
	v_cndmask_b32_e32 v68, v5, v68, vcc_lo
                                        ; implicit-def: $vgpr5
; %bb.68:                               ;   in Loop: Header=BB233_66 Depth=2
	s_and_not1_saveexec_b32 s14, s14
	s_cbranch_execz .LBB233_65
; %bb.69:                               ;   in Loop: Header=BB233_66 Depth=2
	v_sub_nc_u32_e32 v5, v5, v66
	s_delay_alu instid0(VALU_DEP_1)
	v_lshlrev_b32_e32 v27, 2, v5
	ds_store_b32 v27, v65 offset:20480
	s_and_saveexec_b32 s53, s2
	s_cbranch_execz .LBB233_64
; %bb.70:                               ;   in Loop: Header=BB233_66 Depth=2
	v_mad_u64_u32 v[5:6], null, v23, s52, 0
	v_or3_b32 v27, v27, v45, v40
	s_mov_b32 s59, 0
	s_delay_alu instid0(VALU_DEP_1) | instskip(NEXT) | instid1(VALU_DEP_3)
	v_lshlrev_b32_e32 v29, 4, v27
	v_mad_u64_u32 v[7:8], null, v24, s52, v[6:7]
	ds_load_b64 v[27:28], v29
	v_mov_b32_e32 v6, v7
	s_delay_alu instid0(VALU_DEP_1) | instskip(NEXT) | instid1(VALU_DEP_1)
	v_lshlrev_b64 v[5:6], 4, v[5:6]
	v_add_co_u32 v5, vcc_lo, v60, v5
	s_delay_alu instid0(VALU_DEP_2) | instskip(SKIP_3) | instid1(VALU_DEP_1)
	v_add_co_ci_u32_e32 v6, vcc_lo, v59, v6, vcc_lo
	global_load_b128 v[5:8], v[5:6], off
	s_waitcnt vmcnt(0)
	v_mul_f64 v[25:26], v[7:8], -v[11:12]
	v_fma_f64 v[25:26], v[15:16], v[5:6], v[25:26]
.LBB233_71:                             ;   Parent Loop BB233_15 Depth=1
                                        ;     Parent Loop BB233_66 Depth=2
                                        ; =>    This Inner Loop Header: Depth=3
	s_waitcnt lgkmcnt(0)
	s_delay_alu instid0(VALU_DEP_1)
	v_add_f64 v[30:31], v[27:28], v[25:26]
	ds_cmpstore_rtn_b64 v[30:31], v29, v[30:31], v[27:28]
	s_waitcnt lgkmcnt(0)
	v_cmp_eq_u64_e32 vcc_lo, v[30:31], v[27:28]
	v_dual_mov_b32 v27, v30 :: v_dual_mov_b32 v28, v31
	s_or_b32 s59, vcc_lo, s59
	s_delay_alu instid0(SALU_CYCLE_1)
	s_and_not1_b32 exec_lo, exec_lo, s59
	s_cbranch_execnz .LBB233_71
; %bb.72:                               ;   in Loop: Header=BB233_66 Depth=2
	s_or_b32 exec_lo, exec_lo, s59
	v_mul_f64 v[7:8], v[15:16], v[7:8]
	s_mov_b32 s59, 0
	s_delay_alu instid0(VALU_DEP_1)
	v_fma_f64 v[5:6], v[11:12], v[5:6], v[7:8]
	ds_load_b64 v[7:8], v29 offset:8
.LBB233_73:                             ;   Parent Loop BB233_15 Depth=1
                                        ;     Parent Loop BB233_66 Depth=2
                                        ; =>    This Inner Loop Header: Depth=3
	s_waitcnt lgkmcnt(0)
	v_add_f64 v[25:26], v[7:8], v[5:6]
	ds_cmpstore_rtn_b64 v[25:26], v29, v[25:26], v[7:8] offset:8
	s_waitcnt lgkmcnt(0)
	v_cmp_eq_u64_e32 vcc_lo, v[25:26], v[7:8]
	v_dual_mov_b32 v7, v25 :: v_dual_mov_b32 v8, v26
	s_or_b32 s59, vcc_lo, s59
	s_delay_alu instid0(SALU_CYCLE_1)
	s_and_not1_b32 exec_lo, exec_lo, s59
	s_cbranch_execnz .LBB233_73
	s_branch .LBB233_64
.LBB233_74:                             ;   in Loop: Header=BB233_15 Depth=1
	s_or_b32 exec_lo, exec_lo, s43
.LBB233_75:                             ;   in Loop: Header=BB233_15 Depth=1
	s_delay_alu instid0(SALU_CYCLE_1)
	s_or_b32 exec_lo, exec_lo, s15
.LBB233_76:                             ;   in Loop: Header=BB233_15 Depth=1
	s_and_saveexec_b32 s13, s4
	s_cbranch_execz .LBB233_81
; %bb.77:                               ;   in Loop: Header=BB233_15 Depth=1
	s_mov_b32 s15, exec_lo
	s_brev_b32 s14, -2
.LBB233_78:                             ;   Parent Loop BB233_15 Depth=1
                                        ; =>  This Inner Loop Header: Depth=2
	s_ctz_i32_b32 s26, s15
	s_delay_alu instid0(SALU_CYCLE_1) | instskip(SKIP_1) | instid1(SALU_CYCLE_1)
	v_readlane_b32 s27, v68, s26
	s_lshl_b32 s26, 1, s26
	s_and_not1_b32 s15, s15, s26
	s_delay_alu instid0(VALU_DEP_1)
	s_min_i32 s14, s14, s27
	s_cmp_lg_u32 s15, 0
	s_cbranch_scc1 .LBB233_78
; %bb.79:                               ;   in Loop: Header=BB233_15 Depth=1
	v_mbcnt_lo_u32_b32 v5, exec_lo, 0
	s_mov_b32 s15, exec_lo
	s_delay_alu instid0(VALU_DEP_1)
	v_cmpx_eq_u32_e32 0, v5
	s_xor_b32 s15, exec_lo, s15
	s_cbranch_execz .LBB233_81
; %bb.80:                               ;   in Loop: Header=BB233_15 Depth=1
	v_mov_b32_e32 v5, s14
	ds_min_i32 v1, v5 offset:21504
.LBB233_81:                             ;   in Loop: Header=BB233_15 Depth=1
	s_or_b32 exec_lo, exec_lo, s13
	s_waitcnt lgkmcnt(0)
	s_waitcnt_vscnt null, 0x0
	s_barrier
	buffer_gl0_inv
	ds_load_b32 v5, v48
	s_waitcnt lgkmcnt(0)
	s_barrier
	buffer_gl0_inv
	s_and_saveexec_b32 s13, s5
	s_cbranch_execz .LBB233_83
; %bb.82:                               ;   in Loop: Header=BB233_15 Depth=1
	ds_load_b32 v6, v49
	s_waitcnt lgkmcnt(0)
	v_add_nc_u32_e32 v5, v6, v5
.LBB233_83:                             ;   in Loop: Header=BB233_15 Depth=1
	s_or_b32 exec_lo, exec_lo, s13
	s_barrier
	buffer_gl0_inv
	ds_store_b32 v48, v5
	s_waitcnt lgkmcnt(0)
	s_barrier
	buffer_gl0_inv
	s_and_saveexec_b32 s13, s6
	s_cbranch_execz .LBB233_85
; %bb.84:                               ;   in Loop: Header=BB233_15 Depth=1
	ds_load_b32 v6, v50
	s_waitcnt lgkmcnt(0)
	v_add_nc_u32_e32 v5, v6, v5
.LBB233_85:                             ;   in Loop: Header=BB233_15 Depth=1
	s_or_b32 exec_lo, exec_lo, s13
	s_barrier
	buffer_gl0_inv
	ds_store_b32 v48, v5
	;; [unrolled: 14-line block ×8, first 2 shown]
	s_waitcnt lgkmcnt(0)
	s_barrier
	buffer_gl0_inv
	ds_load_b32 v6, v1 offset:21500
	v_mov_b32_e32 v7, 0
	s_and_saveexec_b32 s13, s55
	s_cbranch_execz .LBB233_99
; %bb.98:                               ;   in Loop: Header=BB233_15 Depth=1
	ds_load_b32 v7, v49
.LBB233_99:                             ;   in Loop: Header=BB233_15 Depth=1
	s_or_b32 exec_lo, exec_lo, s13
	s_waitcnt lgkmcnt(0)
	v_cmp_eq_u32_e32 vcc_lo, v5, v7
	s_barrier
	buffer_gl0_inv
	s_and_b32 s14, s55, vcc_lo
	s_delay_alu instid0(SALU_CYCLE_1)
	s_and_saveexec_b32 s13, s14
	s_cbranch_execz .LBB233_101
; %bb.100:                              ;   in Loop: Header=BB233_15 Depth=1
	ds_store_b32 v48, v1
.LBB233_101:                            ;   in Loop: Header=BB233_15 Depth=1
	s_or_b32 exec_lo, exec_lo, s13
	v_add_co_u32 v5, vcc_lo, v21, -1
	v_add_co_ci_u32_e32 v7, vcc_lo, -1, v22, vcc_lo
	v_dual_mov_b32 v23, v64 :: v_dual_add_nc_u32 v8, s38, v66
	v_mov_b32_e32 v24, v63
	v_mov_b32_e32 v25, v39
	s_mov_b32 s13, 0
	s_waitcnt lgkmcnt(0)
	s_barrier
	buffer_gl0_inv
	s_branch .LBB233_103
.LBB233_102:                            ;   in Loop: Header=BB233_103 Depth=2
	s_or_b32 exec_lo, exec_lo, s14
	v_add_nc_u32_e32 v26, 64, v25
	v_cmp_lt_u32_e32 vcc_lo, 0xbf, v25
	v_add_nc_u32_e32 v24, 0x1000, v24
	v_add_nc_u32_e32 v23, 0x100, v23
	s_delay_alu instid0(VALU_DEP_4) | instskip(SKIP_1) | instid1(SALU_CYCLE_1)
	v_mov_b32_e32 v25, v26
	s_or_b32 s13, vcc_lo, s13
	s_and_not1_b32 exec_lo, exec_lo, s13
	s_cbranch_execz .LBB233_14
.LBB233_103:                            ;   Parent Loop BB233_15 Depth=1
                                        ; =>  This Inner Loop Header: Depth=2
	ds_load_b32 v26, v23
	s_mov_b32 s14, exec_lo
	s_waitcnt lgkmcnt(0)
	v_cmpx_ne_u32_e32 0, v26
	s_cbranch_execz .LBB233_102
; %bb.104:                              ;   in Loop: Header=BB233_103 Depth=2
	v_ashrrev_i32_e32 v27, 31, v26
	v_add_co_u32 v28, vcc_lo, v21, v26
	v_add_nc_u32_e32 v30, v8, v25
	s_delay_alu instid0(VALU_DEP_3) | instskip(NEXT) | instid1(VALU_DEP_1)
	v_add_co_ci_u32_e32 v29, vcc_lo, v22, v27, vcc_lo
	v_lshlrev_b64 v[28:29], 2, v[28:29]
	s_delay_alu instid0(VALU_DEP_1) | instskip(NEXT) | instid1(VALU_DEP_2)
	v_add_co_u32 v28, vcc_lo, s44, v28
	v_add_co_ci_u32_e32 v29, vcc_lo, s45, v29, vcc_lo
	global_store_b32 v[28:29], v30, off
	s_and_b32 exec_lo, exec_lo, s2
	s_cbranch_execz .LBB233_102
; %bb.105:                              ;   in Loop: Header=BB233_103 Depth=2
	v_add_co_u32 v26, vcc_lo, v5, v26
	v_add_co_ci_u32_e32 v27, vcc_lo, v7, v27, vcc_lo
	s_delay_alu instid0(VALU_DEP_2) | instskip(NEXT) | instid1(VALU_DEP_1)
	v_mad_u64_u32 v[30:31], null, v26, s52, 0
	v_mov_b32_e32 v26, v31
	s_delay_alu instid0(VALU_DEP_1) | instskip(SKIP_2) | instid1(VALU_DEP_1)
	v_mad_u64_u32 v[31:32], null, v27, s52, v[26:27]
	ds_load_2addr_b64 v[26:29], v24 offset1:1
	v_lshlrev_b64 v[30:31], 4, v[30:31]
	v_add_co_u32 v30, vcc_lo, v58, v30
	s_delay_alu instid0(VALU_DEP_2)
	v_add_co_ci_u32_e32 v31, vcc_lo, v57, v31, vcc_lo
	s_waitcnt lgkmcnt(0)
	global_store_b128 v[30:31], v[26:29], off
	s_branch .LBB233_102
.LBB233_106:
	s_endpgm
	.section	.rodata,"a",@progbits
	.p2align	6, 0x0
	.amdhsa_kernel _ZN9rocsparseL38bsrgemm_block_per_row_atomic_multipassILj256ELj256ELj2Eli21rocsparse_complex_numIdEEEv20rocsparse_direction_T3_S4_PKS4_S6_NS_24const_host_device_scalarIT4_EEPKT2_S6_PKS8_SC_S6_SE_S9_SC_S6_SE_SC_PS4_PS8_PSA_21rocsparse_index_base_SI_SI_SI_bbb
		.amdhsa_group_segment_fixed_size 21512
		.amdhsa_private_segment_fixed_size 24
		.amdhsa_kernarg_size 188
		.amdhsa_user_sgpr_count 15
		.amdhsa_user_sgpr_dispatch_ptr 0
		.amdhsa_user_sgpr_queue_ptr 0
		.amdhsa_user_sgpr_kernarg_segment_ptr 1
		.amdhsa_user_sgpr_dispatch_id 0
		.amdhsa_user_sgpr_private_segment_size 0
		.amdhsa_wavefront_size32 1
		.amdhsa_uses_dynamic_stack 0
		.amdhsa_enable_private_segment 1
		.amdhsa_system_sgpr_workgroup_id_x 1
		.amdhsa_system_sgpr_workgroup_id_y 0
		.amdhsa_system_sgpr_workgroup_id_z 0
		.amdhsa_system_sgpr_workgroup_info 0
		.amdhsa_system_vgpr_workitem_id 0
		.amdhsa_next_free_vgpr 77
		.amdhsa_next_free_sgpr 64
		.amdhsa_reserve_vcc 1
		.amdhsa_float_round_mode_32 0
		.amdhsa_float_round_mode_16_64 0
		.amdhsa_float_denorm_mode_32 3
		.amdhsa_float_denorm_mode_16_64 3
		.amdhsa_dx10_clamp 1
		.amdhsa_ieee_mode 1
		.amdhsa_fp16_overflow 0
		.amdhsa_workgroup_processor_mode 1
		.amdhsa_memory_ordered 1
		.amdhsa_forward_progress 0
		.amdhsa_shared_vgpr_count 0
		.amdhsa_exception_fp_ieee_invalid_op 0
		.amdhsa_exception_fp_denorm_src 0
		.amdhsa_exception_fp_ieee_div_zero 0
		.amdhsa_exception_fp_ieee_overflow 0
		.amdhsa_exception_fp_ieee_underflow 0
		.amdhsa_exception_fp_ieee_inexact 0
		.amdhsa_exception_int_div_zero 0
	.end_amdhsa_kernel
	.section	.text._ZN9rocsparseL38bsrgemm_block_per_row_atomic_multipassILj256ELj256ELj2Eli21rocsparse_complex_numIdEEEv20rocsparse_direction_T3_S4_PKS4_S6_NS_24const_host_device_scalarIT4_EEPKT2_S6_PKS8_SC_S6_SE_S9_SC_S6_SE_SC_PS4_PS8_PSA_21rocsparse_index_base_SI_SI_SI_bbb,"axG",@progbits,_ZN9rocsparseL38bsrgemm_block_per_row_atomic_multipassILj256ELj256ELj2Eli21rocsparse_complex_numIdEEEv20rocsparse_direction_T3_S4_PKS4_S6_NS_24const_host_device_scalarIT4_EEPKT2_S6_PKS8_SC_S6_SE_S9_SC_S6_SE_SC_PS4_PS8_PSA_21rocsparse_index_base_SI_SI_SI_bbb,comdat
.Lfunc_end233:
	.size	_ZN9rocsparseL38bsrgemm_block_per_row_atomic_multipassILj256ELj256ELj2Eli21rocsparse_complex_numIdEEEv20rocsparse_direction_T3_S4_PKS4_S6_NS_24const_host_device_scalarIT4_EEPKT2_S6_PKS8_SC_S6_SE_S9_SC_S6_SE_SC_PS4_PS8_PSA_21rocsparse_index_base_SI_SI_SI_bbb, .Lfunc_end233-_ZN9rocsparseL38bsrgemm_block_per_row_atomic_multipassILj256ELj256ELj2Eli21rocsparse_complex_numIdEEEv20rocsparse_direction_T3_S4_PKS4_S6_NS_24const_host_device_scalarIT4_EEPKT2_S6_PKS8_SC_S6_SE_S9_SC_S6_SE_SC_PS4_PS8_PSA_21rocsparse_index_base_SI_SI_SI_bbb
                                        ; -- End function
	.section	.AMDGPU.csdata,"",@progbits
; Kernel info:
; codeLenInByte = 4556
; NumSgprs: 66
; NumVgprs: 77
; ScratchSize: 24
; MemoryBound: 0
; FloatMode: 240
; IeeeMode: 1
; LDSByteSize: 21512 bytes/workgroup (compile time only)
; SGPRBlocks: 8
; VGPRBlocks: 9
; NumSGPRsForWavesPerEU: 66
; NumVGPRsForWavesPerEU: 77
; Occupancy: 12
; WaveLimiterHint : 1
; COMPUTE_PGM_RSRC2:SCRATCH_EN: 1
; COMPUTE_PGM_RSRC2:USER_SGPR: 15
; COMPUTE_PGM_RSRC2:TRAP_HANDLER: 0
; COMPUTE_PGM_RSRC2:TGID_X_EN: 1
; COMPUTE_PGM_RSRC2:TGID_Y_EN: 0
; COMPUTE_PGM_RSRC2:TGID_Z_EN: 0
; COMPUTE_PGM_RSRC2:TIDIG_COMP_CNT: 0
	.section	.text._ZN9rocsparseL23bsrgemm_fill_wf_per_rowILj256ELj64ELj8ELj137ELj4Eli21rocsparse_complex_numIdEEEv20rocsparse_direction_T5_S4_S4_PKS4_S6_NS_24const_host_device_scalarIT6_EEPKT4_S6_PKS8_SC_S6_SE_S9_SC_S6_SE_SC_PS4_PS8_21rocsparse_index_base_SH_SH_SH_bbb,"axG",@progbits,_ZN9rocsparseL23bsrgemm_fill_wf_per_rowILj256ELj64ELj8ELj137ELj4Eli21rocsparse_complex_numIdEEEv20rocsparse_direction_T5_S4_S4_PKS4_S6_NS_24const_host_device_scalarIT6_EEPKT4_S6_PKS8_SC_S6_SE_S9_SC_S6_SE_SC_PS4_PS8_21rocsparse_index_base_SH_SH_SH_bbb,comdat
	.globl	_ZN9rocsparseL23bsrgemm_fill_wf_per_rowILj256ELj64ELj8ELj137ELj4Eli21rocsparse_complex_numIdEEEv20rocsparse_direction_T5_S4_S4_PKS4_S6_NS_24const_host_device_scalarIT6_EEPKT4_S6_PKS8_SC_S6_SE_S9_SC_S6_SE_SC_PS4_PS8_21rocsparse_index_base_SH_SH_SH_bbb ; -- Begin function _ZN9rocsparseL23bsrgemm_fill_wf_per_rowILj256ELj64ELj8ELj137ELj4Eli21rocsparse_complex_numIdEEEv20rocsparse_direction_T5_S4_S4_PKS4_S6_NS_24const_host_device_scalarIT6_EEPKT4_S6_PKS8_SC_S6_SE_S9_SC_S6_SE_SC_PS4_PS8_21rocsparse_index_base_SH_SH_SH_bbb
	.p2align	8
	.type	_ZN9rocsparseL23bsrgemm_fill_wf_per_rowILj256ELj64ELj8ELj137ELj4Eli21rocsparse_complex_numIdEEEv20rocsparse_direction_T5_S4_S4_PKS4_S6_NS_24const_host_device_scalarIT6_EEPKT4_S6_PKS8_SC_S6_SE_S9_SC_S6_SE_SC_PS4_PS8_21rocsparse_index_base_SH_SH_SH_bbb,@function
_ZN9rocsparseL23bsrgemm_fill_wf_per_rowILj256ELj64ELj8ELj137ELj4Eli21rocsparse_complex_numIdEEEv20rocsparse_direction_T5_S4_S4_PKS4_S6_NS_24const_host_device_scalarIT6_EEPKT4_S6_PKS8_SC_S6_SE_S9_SC_S6_SE_SC_PS4_PS8_21rocsparse_index_base_SH_SH_SH_bbb: ; @_ZN9rocsparseL23bsrgemm_fill_wf_per_rowILj256ELj64ELj8ELj137ELj4Eli21rocsparse_complex_numIdEEEv20rocsparse_direction_T5_S4_S4_PKS4_S6_NS_24const_host_device_scalarIT6_EEPKT4_S6_PKS8_SC_S6_SE_S9_SC_S6_SE_SC_PS4_PS8_21rocsparse_index_base_SH_SH_SH_bbb
; %bb.0:
	s_load_b32 s12, s[2:3], 0xb0
	s_load_b64 s[16:17], s[0:1], 0x4
	v_and_b32_e32 v44, 0x3ff, v0
	s_clause 0x1
	s_load_b128 s[8:11], s[2:3], 0x20
	s_load_b128 s[4:7], s[2:3], 0x60
	v_mov_b32_e32 v4, 0
	v_mov_b32_e32 v5, 0
	v_bfe_u32 v2, v0, 10, 10
	v_bfe_u32 v0, v0, 20, 10
	s_delay_alu instid0(VALU_DEP_3)
	v_dual_mov_b32 v11, v5 :: v_dual_mov_b32 v10, v4
	v_dual_mov_b32 v13, v5 :: v_dual_mov_b32 v12, v4
	s_waitcnt lgkmcnt(0)
	s_bitcmp1_b32 s12, 0
	s_cselect_b32 s1, -1, 0
	s_bitcmp1_b32 s12, 16
	v_mov_b32_e32 v7, s5
	s_cselect_b32 s0, -1, 0
	s_lshr_b32 s13, s16, 16
	s_delay_alu instid0(SALU_CYCLE_1) | instskip(NEXT) | instid1(SALU_CYCLE_1)
	s_mul_i32 s13, s13, s17
	v_mul_lo_u32 v1, s13, v44
	s_xor_b32 s13, s0, -1
	s_bitcmp0_b32 s12, 0
	v_cndmask_b32_e64 v3, 0, 1, s13
	s_delay_alu instid0(VALU_DEP_2) | instskip(NEXT) | instid1(VALU_DEP_2)
	v_mad_u32_u24 v1, v2, s17, v1
	v_cmp_ne_u32_e32 vcc_lo, 1, v3
	s_delay_alu instid0(VALU_DEP_2) | instskip(SKIP_1) | instid1(VALU_DEP_2)
	v_add_lshl_u32 v0, v1, v0, 3
	v_dual_mov_b32 v1, s8 :: v_dual_mov_b32 v2, s9
	v_dual_mov_b32 v6, s4 :: v_dual_add_nc_u32 v3, 0x80, v0
	ds_store_2addr_stride64_b64 v3, v[6:7], v[1:2] offset0:16 offset1:20
	s_cbranch_scc1 .LBB234_3
; %bb.1:
	s_mov_b64 s[16:17], src_shared_base
	s_and_b32 s14, s0, exec_lo
	s_cselect_b32 s14, s17, s9
	s_delay_alu instid0(SALU_CYCLE_1) | instskip(SKIP_2) | instid1(VALU_DEP_2)
	v_dual_mov_b32 v2, s14 :: v_dual_add_nc_u32 v1, 0x2880, v0
	v_dual_mov_b32 v13, s11 :: v_dual_mov_b32 v12, s10
	s_and_b32 vcc_lo, exec_lo, vcc_lo
	v_cndmask_b32_e64 v1, s8, v1, s0
	flat_load_b64 v[10:11], v[1:2]
	s_cbranch_vccnz .LBB234_3
; %bb.2:
	v_dual_mov_b32 v1, s8 :: v_dual_mov_b32 v2, s9
	flat_load_b64 v[12:13], v[1:2] offset:8
.LBB234_3:
	s_load_b128 s[36:39], s[2:3], 0xa0
	s_bitcmp1_b32 s12, 8
	v_dual_mov_b32 v7, v5 :: v_dual_mov_b32 v6, v4
	s_cselect_b32 s14, -1, 0
	s_bfe_u32 s8, s12, 0x10008
	s_delay_alu instid0(SALU_CYCLE_1)
	s_cmp_eq_u32 s8, 0
	s_cbranch_scc1 .LBB234_6
; %bb.4:
	s_mov_b64 s[8:9], src_shared_base
	s_and_b32 s8, s0, exec_lo
	s_cselect_b32 s8, s9, s5
	s_delay_alu instid0(SALU_CYCLE_1) | instskip(SKIP_2) | instid1(VALU_DEP_2)
	v_dual_mov_b32 v1, s8 :: v_dual_add_nc_u32 v0, 0x2080, v0
	v_dual_mov_b32 v4, s6 :: v_dual_mov_b32 v5, s7
	s_and_not1_b32 vcc_lo, exec_lo, s13
	v_cndmask_b32_e64 v0, s4, v0, s0
	flat_load_b64 v[6:7], v[0:1]
	s_cbranch_vccnz .LBB234_6
; %bb.5:
	v_dual_mov_b32 v0, s4 :: v_dual_mov_b32 v1, s5
	flat_load_b64 v[4:5], v[0:1] offset:8
.LBB234_6:
	s_clause 0x4
	s_load_b128 s[40:43], s[2:3], 0x90
	s_load_b256 s[16:23], s[2:3], 0x70
	s_load_b128 s[44:47], s[2:3], 0x50
	s_load_b256 s[4:11], s[2:3], 0x0
	s_load_b256 s[24:31], s[2:3], 0x30
	v_lshrrev_b32_e32 v39, 6, v44
	v_and_b32_e32 v8, 63, v44
	s_mov_b32 s0, exec_lo
	s_delay_alu instid0(VALU_DEP_2) | instskip(NEXT) | instid1(VALU_DEP_2)
	v_lshl_or_b32 v38, v39, 5, 0x2000
	v_cmpx_gt_u32_e32 8, v8
	s_cbranch_execz .LBB234_8
; %bb.7:
	s_delay_alu instid0(VALU_DEP_2)
	v_lshl_add_u32 v0, v8, 2, v38
	s_waitcnt lgkmcnt(0)
	v_mov_b32_e32 v1, s6
	ds_store_b32 v0, v1
.LBB234_8:
	s_or_b32 exec_lo, exec_lo, s0
	v_mov_b32_e32 v0, 0
	v_lshlrev_b32_e32 v40, 11, v39
	v_or_b32_e32 v9, 0xffffffc0, v8
	s_mov_b32 s0, 0
	s_delay_alu instid0(VALU_DEP_3) | instskip(NEXT) | instid1(VALU_DEP_3)
	v_mov_b32_e32 v1, v0
	v_lshl_or_b32 v14, v8, 4, v40
	v_mov_b32_e32 v2, v0
	v_mov_b32_e32 v3, v0
.LBB234_9:                              ; =>This Inner Loop Header: Depth=1
	v_add_co_u32 v9, s2, v9, 64
	s_delay_alu instid0(VALU_DEP_1) | instskip(SKIP_3) | instid1(SALU_CYCLE_1)
	s_xor_b32 s2, s2, -1
	ds_store_b128 v14, v[0:3]
	v_add_nc_u32_e32 v14, 0x400, v14
	s_and_b32 s2, exec_lo, s2
	s_or_b32 s0, s2, s0
	s_delay_alu instid0(SALU_CYCLE_1)
	s_and_not1_b32 exec_lo, exec_lo, s0
	s_cbranch_execnz .LBB234_9
; %bb.10:
	s_or_b32 exec_lo, exec_lo, s0
	v_lshl_or_b32 v0, s15, 2, v39
	s_waitcnt vmcnt(0) lgkmcnt(0)
	s_barrier
	buffer_gl0_inv
	s_mov_b32 s0, exec_lo
	v_cmpx_gt_i32_e64 s5, v0
	s_cbranch_execz .LBB234_82
; %bb.11:
	s_cmp_eq_u64 s[10:11], 0
	s_cbranch_scc1 .LBB234_13
; %bb.12:
	s_load_b32 s0, s[8:9], 0x0
	s_waitcnt lgkmcnt(0)
	v_add_nc_u32_e32 v0, s0, v0
	s_delay_alu instid0(VALU_DEP_1) | instskip(NEXT) | instid1(VALU_DEP_1)
	v_ashrrev_i32_e32 v1, 31, v0
	v_lshlrev_b64 v[0:1], 2, v[0:1]
	s_delay_alu instid0(VALU_DEP_1) | instskip(NEXT) | instid1(VALU_DEP_2)
	v_add_co_u32 v0, vcc_lo, s10, v0
	v_add_co_ci_u32_e32 v1, vcc_lo, s11, v1, vcc_lo
	global_load_b32 v0, v[0:1], off
.LBB234_13:
	s_waitcnt vmcnt(0)
	v_ashrrev_i32_e32 v1, 31, v0
	v_lshrrev_b32_e32 v41, 4, v8
	v_and_b32_e32 v42, 3, v44
	v_bfe_u32 v43, v44, 2, 2
	s_and_not1_b32 vcc_lo, exec_lo, s1
	v_lshlrev_b64 v[8:9], 3, v[0:1]
	s_mul_i32 s2, s7, s7
	s_cbranch_vccnz .LBB234_51
; %bb.14:
	s_delay_alu instid0(VALU_DEP_1) | instskip(NEXT) | instid1(VALU_DEP_2)
	v_add_co_u32 v0, vcc_lo, s24, v8
	v_add_co_ci_u32_e32 v1, vcc_lo, s25, v9, vcc_lo
	v_sub_co_u32 v16, s0, v41, s36
	s_delay_alu instid0(VALU_DEP_1)
	v_sub_co_ci_u32_e64 v17, null, 0, 0, s0
	global_load_b128 v[0:3], v[0:1], off
	s_mov_b32 s3, 0
	s_mov_b32 s5, exec_lo
	s_waitcnt vmcnt(0)
	v_sub_co_u32 v14, vcc_lo, v2, s36
	v_subrev_co_ci_u32_e32 v15, vcc_lo, 0, v3, vcc_lo
	v_add_co_u32 v16, vcc_lo, v0, v16
	v_add_co_ci_u32_e32 v17, vcc_lo, v1, v17, vcc_lo
	s_delay_alu instid0(VALU_DEP_1)
	v_cmpx_lt_i64_e64 v[16:17], v[14:15]
	s_cbranch_execz .LBB234_50
; %bb.15:
	v_mad_u64_u32 v[0:1], null, v16, s2, 0
	v_mul_lo_u32 v18, v42, s7
	v_dual_mov_b32 v19, 0 :: v_dual_lshlrev_b32 v22, 4, v43
	v_mul_lo_u32 v20, v43, s7
	s_cmp_lg_u32 s4, 0
	v_and_b32_e32 v45, 15, v44
	v_mad_u64_u32 v[2:3], null, v17, s2, v[1:2]
	v_max_i32_e32 v3, v42, v43
	v_mov_b32_e32 v21, v19
	s_mov_b32 s10, s7
	s_mov_b32 s11, s3
	s_cselect_b32 s24, -1, 0
	v_cmp_gt_i32_e64 s0, s7, v3
	s_delay_alu instid0(VALU_DEP_4)
	v_mov_b32_e32 v1, v2
	v_lshlrev_b64 v[2:3], 4, v[18:19]
	s_cmp_gt_i32 s7, 0
	s_mov_b32 s15, s37
	s_cselect_b32 s25, -1, 0
	v_lshlrev_b64 v[0:1], 4, v[0:1]
	s_lshl_b64 s[8:9], s[2:3], 6
	s_lshl_b64 s[10:11], s[10:11], 4
	;; [unrolled: 1-line block ×3, first 2 shown]
	s_delay_alu instid0(VALU_DEP_1) | instskip(NEXT) | instid1(VALU_DEP_2)
	v_add_co_u32 v18, vcc_lo, v0, v22
	v_add_co_ci_u32_e32 v19, vcc_lo, 0, v1, vcc_lo
	v_lshlrev_b64 v[22:23], 4, v[20:21]
	s_delay_alu instid0(VALU_DEP_3) | instskip(NEXT) | instid1(VALU_DEP_3)
	v_add_co_u32 v18, vcc_lo, v18, s28
	v_add_co_ci_u32_e32 v19, vcc_lo, s29, v19, vcc_lo
	v_add_co_u32 v2, vcc_lo, v2, s46
	v_add_co_ci_u32_e32 v3, vcc_lo, s47, v3, vcc_lo
	s_delay_alu instid0(VALU_DEP_4) | instskip(NEXT) | instid1(VALU_DEP_4)
	v_add_co_u32 v18, vcc_lo, v18, 8
	v_add_co_ci_u32_e32 v19, vcc_lo, 0, v19, vcc_lo
	s_delay_alu instid0(VALU_DEP_4) | instskip(SKIP_4) | instid1(VALU_DEP_4)
	v_add_co_u32 v20, vcc_lo, v2, 8
	v_lshlrev_b32_e32 v2, 4, v42
	v_add_co_ci_u32_e32 v21, vcc_lo, 0, v3, vcc_lo
	v_add_co_u32 v0, vcc_lo, v0, v22
	v_add_co_ci_u32_e32 v1, vcc_lo, v1, v23, vcc_lo
	v_add_co_u32 v2, s1, v2, s46
	s_delay_alu instid0(VALU_DEP_3) | instskip(NEXT) | instid1(VALU_DEP_3)
	v_add_co_u32 v0, vcc_lo, v0, s28
	v_add_co_ci_u32_e32 v1, vcc_lo, s29, v1, vcc_lo
	v_add_co_ci_u32_e64 v3, null, 0, s47, s1
	s_delay_alu instid0(VALU_DEP_3) | instskip(NEXT) | instid1(VALU_DEP_3)
	v_add_co_u32 v22, vcc_lo, v0, 8
	v_add_co_ci_u32_e32 v23, vcc_lo, 0, v1, vcc_lo
	v_add_co_u32 v24, vcc_lo, v2, 8
	s_delay_alu instid0(VALU_DEP_4)
	v_add_co_ci_u32_e32 v25, vcc_lo, 0, v3, vcc_lo
	s_branch .LBB234_17
.LBB234_16:                             ;   in Loop: Header=BB234_17 Depth=1
	s_or_b32 exec_lo, exec_lo, s28
	v_add_co_u32 v16, vcc_lo, v16, 4
	v_add_co_ci_u32_e32 v17, vcc_lo, 0, v17, vcc_lo
	v_add_co_u32 v18, vcc_lo, v18, s8
	v_add_co_ci_u32_e32 v19, vcc_lo, s9, v19, vcc_lo
	s_delay_alu instid0(VALU_DEP_3) | instskip(SKIP_1) | instid1(VALU_DEP_1)
	v_cmp_ge_i64_e32 vcc_lo, v[16:17], v[14:15]
	v_add_co_u32 v22, s1, v22, s8
	v_add_co_ci_u32_e64 v23, s1, s9, v23, s1
	s_or_b32 s3, vcc_lo, s3
	s_delay_alu instid0(SALU_CYCLE_1)
	s_and_not1_b32 exec_lo, exec_lo, s3
	s_cbranch_execz .LBB234_50
.LBB234_17:                             ; =>This Loop Header: Depth=1
                                        ;     Child Loop BB234_20 Depth 2
                                        ;       Child Loop BB234_24 Depth 3
                                        ;       Child Loop BB234_29 Depth 3
	;; [unrolled: 1-line block ×3, first 2 shown]
                                        ;         Child Loop BB234_38 Depth 4
                                        ;         Child Loop BB234_40 Depth 4
	;; [unrolled: 1-line block ×4, first 2 shown]
	v_lshlrev_b64 v[0:1], 2, v[16:17]
	s_mov_b32 s28, exec_lo
	s_delay_alu instid0(VALU_DEP_1) | instskip(NEXT) | instid1(VALU_DEP_2)
	v_add_co_u32 v0, vcc_lo, s26, v0
	v_add_co_ci_u32_e32 v1, vcc_lo, s27, v1, vcc_lo
	global_load_b32 v0, v[0:1], off
	s_waitcnt vmcnt(0)
	v_subrev_nc_u32_e32 v0, s36, v0
	s_delay_alu instid0(VALU_DEP_1) | instskip(NEXT) | instid1(VALU_DEP_1)
	v_ashrrev_i32_e32 v1, 31, v0
	v_lshlrev_b64 v[0:1], 3, v[0:1]
	s_delay_alu instid0(VALU_DEP_1) | instskip(NEXT) | instid1(VALU_DEP_2)
	v_add_co_u32 v0, vcc_lo, s30, v0
	v_add_co_ci_u32_e32 v1, vcc_lo, s31, v1, vcc_lo
	global_load_b128 v[0:3], v[0:1], off
	s_waitcnt vmcnt(0)
	v_cmpx_lt_i64_e64 v[0:1], v[2:3]
	s_cbranch_execz .LBB234_16
; %bb.18:                               ;   in Loop: Header=BB234_17 Depth=1
	v_sub_co_u32 v0, vcc_lo, v0, s15
	v_subrev_co_ci_u32_e32 v1, vcc_lo, 0, v1, vcc_lo
	v_sub_co_u32 v2, vcc_lo, v2, s15
	s_delay_alu instid0(VALU_DEP_3) | instskip(NEXT) | instid1(VALU_DEP_3)
	v_mad_u64_u32 v[26:27], null, s12, v0, v[20:21]
	v_mul_lo_u32 v30, s12, v1
	v_mul_lo_u32 v31, s13, v0
	v_mad_u64_u32 v[28:29], null, s12, v0, v[24:25]
	v_subrev_co_ci_u32_e32 v3, vcc_lo, 0, v3, vcc_lo
	s_mov_b32 s29, 0
	s_delay_alu instid0(VALU_DEP_3) | instskip(NEXT) | instid1(VALU_DEP_3)
	v_add3_u32 v27, v31, v27, v30
	v_add3_u32 v29, v31, v29, v30
	s_branch .LBB234_20
.LBB234_19:                             ;   in Loop: Header=BB234_20 Depth=2
	s_or_b32 exec_lo, exec_lo, s33
	v_add_co_u32 v0, vcc_lo, v0, 1
	v_add_co_ci_u32_e32 v1, vcc_lo, 0, v1, vcc_lo
	v_add_co_u32 v26, vcc_lo, v26, s12
	v_add_co_ci_u32_e32 v27, vcc_lo, s13, v27, vcc_lo
	s_delay_alu instid0(VALU_DEP_3) | instskip(SKIP_1) | instid1(VALU_DEP_1)
	v_cmp_ge_i64_e32 vcc_lo, v[0:1], v[2:3]
	v_add_co_u32 v28, s1, v28, s12
	v_add_co_ci_u32_e64 v29, s1, s13, v29, s1
	s_or_b32 s29, vcc_lo, s29
	s_delay_alu instid0(SALU_CYCLE_1)
	s_and_not1_b32 exec_lo, exec_lo, s29
	s_cbranch_execz .LBB234_16
.LBB234_20:                             ;   Parent Loop BB234_17 Depth=1
                                        ; =>  This Loop Header: Depth=2
                                        ;       Child Loop BB234_24 Depth 3
                                        ;       Child Loop BB234_29 Depth 3
	;; [unrolled: 1-line block ×3, first 2 shown]
                                        ;         Child Loop BB234_38 Depth 4
                                        ;         Child Loop BB234_40 Depth 4
                                        ;         Child Loop BB234_46 Depth 4
                                        ;         Child Loop BB234_48 Depth 4
	s_and_saveexec_b32 s33, s0
	s_cbranch_execz .LBB234_19
; %bb.21:                               ;   in Loop: Header=BB234_20 Depth=2
	v_lshlrev_b64 v[30:31], 2, v[0:1]
	s_delay_alu instid0(VALU_DEP_1) | instskip(NEXT) | instid1(VALU_DEP_2)
	v_add_co_u32 v30, vcc_lo, s44, v30
	v_add_co_ci_u32_e32 v31, vcc_lo, s45, v31, vcc_lo
	s_and_not1_b32 vcc_lo, exec_lo, s24
	global_load_b32 v46, v[30:31], off
	v_cndmask_b32_e64 v30, 0, 1, s25
	s_delay_alu instid0(VALU_DEP_1)
	v_cmp_ne_u32_e64 s1, 1, v30
	s_cbranch_vccnz .LBB234_26
; %bb.22:                               ;   in Loop: Header=BB234_20 Depth=2
	v_mov_b32_e32 v32, 0
	v_mov_b32_e32 v33, 0
	s_delay_alu instid0(VALU_DEP_2) | instskip(SKIP_1) | instid1(VALU_DEP_2)
	v_mov_b32_e32 v30, v32
	s_and_b32 vcc_lo, exec_lo, s1
	v_mov_b32_e32 v31, v33
	s_cbranch_vccnz .LBB234_25
; %bb.23:                               ;   in Loop: Header=BB234_20 Depth=2
	v_dual_mov_b32 v32, 0 :: v_dual_mov_b32 v35, v27
	v_dual_mov_b32 v33, 0 :: v_dual_mov_b32 v34, v26
	;; [unrolled: 1-line block ×3, first 2 shown]
	s_delay_alu instid0(VALU_DEP_2)
	v_dual_mov_b32 v30, v32 :: v_dual_mov_b32 v31, v33
	s_mov_b32 s1, s7
	.p2align	6
.LBB234_24:                             ;   Parent Loop BB234_17 Depth=1
                                        ;     Parent Loop BB234_20 Depth=2
                                        ; =>    This Inner Loop Header: Depth=3
	global_load_b128 v[47:50], v[36:37], off offset:-8
	global_load_b128 v[51:54], v[34:35], off offset:-8
	v_add_co_u32 v36, vcc_lo, v36, s10
	v_add_co_ci_u32_e32 v37, vcc_lo, s11, v37, vcc_lo
	v_add_co_u32 v34, vcc_lo, v34, 16
	v_add_co_ci_u32_e32 v35, vcc_lo, 0, v35, vcc_lo
	s_add_i32 s1, s1, -1
	s_delay_alu instid0(SALU_CYCLE_1) | instskip(SKIP_3) | instid1(VALU_DEP_2)
	s_cmp_lg_u32 s1, 0
	s_waitcnt vmcnt(0)
	v_fma_f64 v[32:33], v[47:48], v[51:52], v[32:33]
	v_fma_f64 v[30:31], v[49:50], v[51:52], v[30:31]
	v_fma_f64 v[32:33], -v[49:50], v[53:54], v[32:33]
	s_delay_alu instid0(VALU_DEP_2)
	v_fma_f64 v[30:31], v[47:48], v[53:54], v[30:31]
	s_cbranch_scc1 .LBB234_24
.LBB234_25:                             ;   in Loop: Header=BB234_20 Depth=2
	s_cbranch_execz .LBB234_27
	s_branch .LBB234_30
.LBB234_26:                             ;   in Loop: Header=BB234_20 Depth=2
                                        ; implicit-def: $vgpr32_vgpr33
                                        ; implicit-def: $vgpr30_vgpr31
.LBB234_27:                             ;   in Loop: Header=BB234_20 Depth=2
	v_mov_b32_e32 v32, 0
	v_mov_b32_e32 v33, 0
	s_delay_alu instid0(VALU_DEP_2) | instskip(SKIP_1) | instid1(VALU_DEP_2)
	v_mov_b32_e32 v30, v32
	s_and_not1_b32 vcc_lo, exec_lo, s25
	v_mov_b32_e32 v31, v33
	s_cbranch_vccnz .LBB234_30
; %bb.28:                               ;   in Loop: Header=BB234_20 Depth=2
	v_dual_mov_b32 v32, 0 :: v_dual_mov_b32 v35, v29
	v_dual_mov_b32 v33, 0 :: v_dual_mov_b32 v34, v28
	;; [unrolled: 1-line block ×3, first 2 shown]
	s_delay_alu instid0(VALU_DEP_2)
	v_dual_mov_b32 v30, v32 :: v_dual_mov_b32 v31, v33
	s_mov_b32 s1, s7
	.p2align	6
.LBB234_29:                             ;   Parent Loop BB234_17 Depth=1
                                        ;     Parent Loop BB234_20 Depth=2
                                        ; =>    This Inner Loop Header: Depth=3
	global_load_b128 v[47:50], v[36:37], off offset:-8
	global_load_b128 v[51:54], v[34:35], off offset:-8
	v_add_co_u32 v36, vcc_lo, v36, 16
	v_add_co_ci_u32_e32 v37, vcc_lo, 0, v37, vcc_lo
	v_add_co_u32 v34, vcc_lo, v34, s10
	v_add_co_ci_u32_e32 v35, vcc_lo, s11, v35, vcc_lo
	s_add_i32 s1, s1, -1
	s_delay_alu instid0(SALU_CYCLE_1) | instskip(SKIP_3) | instid1(VALU_DEP_2)
	s_cmp_eq_u32 s1, 0
	s_waitcnt vmcnt(0)
	v_fma_f64 v[32:33], v[47:48], v[51:52], v[32:33]
	v_fma_f64 v[30:31], v[49:50], v[51:52], v[30:31]
	v_fma_f64 v[32:33], -v[49:50], v[53:54], v[32:33]
	s_delay_alu instid0(VALU_DEP_2)
	v_fma_f64 v[30:31], v[47:48], v[53:54], v[30:31]
	s_cbranch_scc0 .LBB234_29
.LBB234_30:                             ;   in Loop: Header=BB234_20 Depth=2
	s_delay_alu instid0(VALU_DEP_1) | instskip(SKIP_2) | instid1(VALU_DEP_2)
	v_mul_f64 v[34:35], v[30:31], -v[12:13]
	v_mul_f64 v[36:37], v[10:11], v[30:31]
	s_mov_b32 s1, 0
	v_fma_f64 v[30:31], v[10:11], v[32:33], v[34:35]
	s_delay_alu instid0(VALU_DEP_2) | instskip(SKIP_2) | instid1(VALU_DEP_1)
	v_fma_f64 v[32:33], v[12:13], v[32:33], v[36:37]
	s_waitcnt vmcnt(0)
	v_subrev_nc_u32_e32 v36, s37, v46
	v_and_b32_e32 v37, 7, v36
	s_branch .LBB234_32
.LBB234_31:                             ;   in Loop: Header=BB234_32 Depth=3
	s_or_b32 exec_lo, exec_lo, s34
	s_xor_b32 s34, s35, -1
	s_delay_alu instid0(SALU_CYCLE_1) | instskip(NEXT) | instid1(SALU_CYCLE_1)
	s_and_b32 s34, exec_lo, s34
	s_or_b32 s1, s34, s1
	s_delay_alu instid0(SALU_CYCLE_1)
	s_and_not1_b32 exec_lo, exec_lo, s1
	s_cbranch_execz .LBB234_19
.LBB234_32:                             ;   Parent Loop BB234_17 Depth=1
                                        ;     Parent Loop BB234_20 Depth=2
                                        ; =>    This Loop Header: Depth=3
                                        ;         Child Loop BB234_38 Depth 4
                                        ;         Child Loop BB234_40 Depth 4
	;; [unrolled: 1-line block ×4, first 2 shown]
	s_delay_alu instid0(VALU_DEP_1)
	v_lshl_add_u32 v34, v37, 2, v38
	s_mov_b32 s34, exec_lo
                                        ; implicit-def: $sgpr35
	ds_load_b32 v35, v34
	s_waitcnt lgkmcnt(0)
	v_cmpx_ne_u32_e64 v35, v36
	s_xor_b32 s34, exec_lo, s34
	s_cbranch_execz .LBB234_44
; %bb.33:                               ;   in Loop: Header=BB234_32 Depth=3
	s_mov_b32 s46, exec_lo
                                        ; implicit-def: $sgpr35
	v_cmpx_ne_u32_e64 s6, v35
	s_xor_b32 s46, exec_lo, s46
; %bb.34:                               ;   in Loop: Header=BB234_32 Depth=3
	v_add_nc_u32_e32 v34, 1, v37
	s_mov_b32 s35, -1
	s_delay_alu instid0(VALU_DEP_1)
	v_and_b32_e32 v37, 7, v34
                                        ; implicit-def: $vgpr34
; %bb.35:                               ;   in Loop: Header=BB234_32 Depth=3
	s_and_not1_saveexec_b32 s46, s46
	s_cbranch_execz .LBB234_43
; %bb.36:                               ;   in Loop: Header=BB234_32 Depth=3
	v_mov_b32_e32 v35, s6
	s_mov_b32 s48, -1
	s_mov_b32 s47, exec_lo
	ds_cmpstore_rtn_b32 v34, v34, v36, v35
	s_waitcnt lgkmcnt(0)
	v_cmpx_eq_u32_e64 s6, v34
	s_cbranch_execz .LBB234_42
; %bb.37:                               ;   in Loop: Header=BB234_32 Depth=3
	v_lshlrev_b32_e32 v34, 4, v45
	s_mov_b32 s48, 0
	s_delay_alu instid0(VALU_DEP_1) | instskip(NEXT) | instid1(VALU_DEP_1)
	v_lshl_or_b32 v34, v37, 8, v34
	v_add_nc_u32_e32 v46, v40, v34
	ds_load_b64 v[34:35], v46
.LBB234_38:                             ;   Parent Loop BB234_17 Depth=1
                                        ;     Parent Loop BB234_20 Depth=2
                                        ;       Parent Loop BB234_32 Depth=3
                                        ; =>      This Inner Loop Header: Depth=4
	s_waitcnt lgkmcnt(0)
	v_add_f64 v[47:48], v[34:35], v[30:31]
	ds_cmpstore_rtn_b64 v[47:48], v46, v[47:48], v[34:35]
	s_waitcnt lgkmcnt(0)
	v_cmp_eq_u64_e32 vcc_lo, v[47:48], v[34:35]
	v_dual_mov_b32 v34, v47 :: v_dual_mov_b32 v35, v48
	s_or_b32 s48, vcc_lo, s48
	s_delay_alu instid0(SALU_CYCLE_1)
	s_and_not1_b32 exec_lo, exec_lo, s48
	s_cbranch_execnz .LBB234_38
; %bb.39:                               ;   in Loop: Header=BB234_32 Depth=3
	s_or_b32 exec_lo, exec_lo, s48
	ds_load_b64 v[34:35], v46 offset:8
	s_mov_b32 s48, 0
.LBB234_40:                             ;   Parent Loop BB234_17 Depth=1
                                        ;     Parent Loop BB234_20 Depth=2
                                        ;       Parent Loop BB234_32 Depth=3
                                        ; =>      This Inner Loop Header: Depth=4
	s_waitcnt lgkmcnt(0)
	v_add_f64 v[47:48], v[34:35], v[32:33]
	ds_cmpstore_rtn_b64 v[47:48], v46, v[47:48], v[34:35] offset:8
	s_waitcnt lgkmcnt(0)
	v_cmp_eq_u64_e32 vcc_lo, v[47:48], v[34:35]
	v_dual_mov_b32 v34, v47 :: v_dual_mov_b32 v35, v48
	s_or_b32 s48, vcc_lo, s48
	s_delay_alu instid0(SALU_CYCLE_1)
	s_and_not1_b32 exec_lo, exec_lo, s48
	s_cbranch_execnz .LBB234_40
; %bb.41:                               ;   in Loop: Header=BB234_32 Depth=3
	s_or_b32 exec_lo, exec_lo, s48
	s_delay_alu instid0(SALU_CYCLE_1)
	s_xor_b32 s48, exec_lo, -1
.LBB234_42:                             ;   in Loop: Header=BB234_32 Depth=3
	s_or_b32 exec_lo, exec_lo, s47
	s_delay_alu instid0(SALU_CYCLE_1) | instskip(SKIP_1) | instid1(SALU_CYCLE_1)
	s_and_not1_b32 s35, s35, exec_lo
	s_and_b32 s47, s48, exec_lo
	s_or_b32 s35, s35, s47
.LBB234_43:                             ;   in Loop: Header=BB234_32 Depth=3
	s_or_b32 exec_lo, exec_lo, s46
	s_delay_alu instid0(SALU_CYCLE_1)
	s_and_b32 s35, s35, exec_lo
.LBB234_44:                             ;   in Loop: Header=BB234_32 Depth=3
	s_and_not1_saveexec_b32 s34, s34
	s_cbranch_execz .LBB234_31
; %bb.45:                               ;   in Loop: Header=BB234_32 Depth=3
	v_lshlrev_b32_e32 v34, 4, v45
	s_mov_b32 s46, 0
	s_delay_alu instid0(VALU_DEP_1) | instskip(NEXT) | instid1(VALU_DEP_1)
	v_lshl_or_b32 v34, v37, 8, v34
	v_add_nc_u32_e32 v46, v40, v34
	ds_load_b64 v[34:35], v46
.LBB234_46:                             ;   Parent Loop BB234_17 Depth=1
                                        ;     Parent Loop BB234_20 Depth=2
                                        ;       Parent Loop BB234_32 Depth=3
                                        ; =>      This Inner Loop Header: Depth=4
	s_waitcnt lgkmcnt(0)
	v_add_f64 v[47:48], v[34:35], v[30:31]
	ds_cmpstore_rtn_b64 v[47:48], v46, v[47:48], v[34:35]
	s_waitcnt lgkmcnt(0)
	v_cmp_eq_u64_e32 vcc_lo, v[47:48], v[34:35]
	v_dual_mov_b32 v34, v47 :: v_dual_mov_b32 v35, v48
	s_or_b32 s46, vcc_lo, s46
	s_delay_alu instid0(SALU_CYCLE_1)
	s_and_not1_b32 exec_lo, exec_lo, s46
	s_cbranch_execnz .LBB234_46
; %bb.47:                               ;   in Loop: Header=BB234_32 Depth=3
	s_or_b32 exec_lo, exec_lo, s46
	ds_load_b64 v[34:35], v46 offset:8
	s_mov_b32 s46, 0
.LBB234_48:                             ;   Parent Loop BB234_17 Depth=1
                                        ;     Parent Loop BB234_20 Depth=2
                                        ;       Parent Loop BB234_32 Depth=3
                                        ; =>      This Inner Loop Header: Depth=4
	s_waitcnt lgkmcnt(0)
	v_add_f64 v[47:48], v[34:35], v[32:33]
	ds_cmpstore_rtn_b64 v[47:48], v46, v[47:48], v[34:35] offset:8
	s_waitcnt lgkmcnt(0)
	v_cmp_eq_u64_e32 vcc_lo, v[47:48], v[34:35]
	v_dual_mov_b32 v34, v47 :: v_dual_mov_b32 v35, v48
	s_or_b32 s46, vcc_lo, s46
	s_delay_alu instid0(SALU_CYCLE_1)
	s_and_not1_b32 exec_lo, exec_lo, s46
	s_cbranch_execnz .LBB234_48
; %bb.49:                               ;   in Loop: Header=BB234_32 Depth=3
	s_or_b32 exec_lo, exec_lo, s46
	s_delay_alu instid0(SALU_CYCLE_1)
	s_and_not1_b32 s35, s35, exec_lo
	s_branch .LBB234_31
.LBB234_50:
	s_or_b32 exec_lo, exec_lo, s5
.LBB234_51:
	s_delay_alu instid0(SALU_CYCLE_1)
	s_and_not1_b32 vcc_lo, exec_lo, s14
	s_barrier
	buffer_gl0_inv
	s_cbranch_vccnz .LBB234_77
; %bb.52:
	v_add_co_u32 v0, vcc_lo, s16, v8
	v_add_co_ci_u32_e32 v1, vcc_lo, s17, v9, vcc_lo
	v_sub_co_u32 v2, s0, v41, s39
	s_delay_alu instid0(VALU_DEP_1)
	v_sub_co_ci_u32_e64 v3, null, 0, 0, s0
	global_load_b128 v[10:13], v[0:1], off
	s_mov_b32 s3, 0
	s_mov_b32 s1, exec_lo
	s_waitcnt vmcnt(0)
	v_sub_co_u32 v0, vcc_lo, v12, s39
	v_subrev_co_ci_u32_e32 v1, vcc_lo, 0, v13, vcc_lo
	v_add_co_u32 v2, vcc_lo, v10, v2
	v_add_co_ci_u32_e32 v3, vcc_lo, v11, v3, vcc_lo
	s_delay_alu instid0(VALU_DEP_1)
	v_cmpx_lt_i64_e64 v[2:3], v[0:1]
	s_cbranch_execz .LBB234_76
; %bb.53:
	v_mul_lo_u32 v10, v42, s7
	v_dual_mov_b32 v11, 0 :: v_dual_lshlrev_b32 v16, 4, v42
	v_lshlrev_b32_e32 v15, 4, v43
	v_max_i32_e32 v14, v42, v43
	s_cmp_eq_u32 s4, 0
	s_cselect_b32 s0, -1, 0
	s_delay_alu instid0(VALU_DEP_4) | instskip(SKIP_1) | instid1(VALU_DEP_2)
	v_lshlrev_b64 v[12:13], 4, v[10:11]
	v_mul_lo_u32 v10, v43, s7
	v_add_co_u32 v12, vcc_lo, s20, v12
	s_delay_alu instid0(VALU_DEP_3) | instskip(NEXT) | instid1(VALU_DEP_3)
	v_add_co_ci_u32_e32 v13, vcc_lo, s21, v13, vcc_lo
	v_lshlrev_b64 v[10:11], 4, v[10:11]
	s_delay_alu instid0(VALU_DEP_1) | instskip(NEXT) | instid1(VALU_DEP_2)
	v_add_co_u32 v10, vcc_lo, s20, v10
	v_add_co_ci_u32_e32 v11, vcc_lo, s21, v11, vcc_lo
	v_add_co_u32 v12, vcc_lo, v12, v15
	v_add_co_ci_u32_e32 v13, vcc_lo, 0, v13, vcc_lo
	s_delay_alu instid0(VALU_DEP_4) | instskip(NEXT) | instid1(VALU_DEP_4)
	v_add_co_u32 v10, vcc_lo, v10, v16
	v_add_co_ci_u32_e32 v11, vcc_lo, 0, v11, vcc_lo
	v_and_b32_e32 v15, 15, v44
	v_cmp_gt_i32_e32 vcc_lo, s7, v14
	s_delay_alu instid0(VALU_DEP_4) | instskip(NEXT) | instid1(VALU_DEP_4)
	v_cndmask_b32_e64 v17, v12, v10, s0
	v_cndmask_b32_e64 v16, v13, v11, s0
	s_delay_alu instid0(VALU_DEP_4)
	v_lshlrev_b32_e32 v18, 4, v15
	s_branch .LBB234_55
.LBB234_54:                             ;   in Loop: Header=BB234_55 Depth=1
	s_or_b32 exec_lo, exec_lo, s5
	v_add_co_u32 v2, s0, v2, 4
	s_delay_alu instid0(VALU_DEP_1) | instskip(NEXT) | instid1(VALU_DEP_1)
	v_add_co_ci_u32_e64 v3, s0, 0, v3, s0
	v_cmp_ge_i64_e64 s0, v[2:3], v[0:1]
	s_delay_alu instid0(VALU_DEP_1) | instskip(NEXT) | instid1(SALU_CYCLE_1)
	s_or_b32 s3, s0, s3
	s_and_not1_b32 exec_lo, exec_lo, s3
	s_cbranch_execz .LBB234_76
.LBB234_55:                             ; =>This Loop Header: Depth=1
                                        ;     Child Loop BB234_58 Depth 2
                                        ;       Child Loop BB234_64 Depth 3
                                        ;       Child Loop BB234_66 Depth 3
	;; [unrolled: 1-line block ×4, first 2 shown]
	s_and_saveexec_b32 s5, vcc_lo
	s_cbranch_execz .LBB234_54
; %bb.56:                               ;   in Loop: Header=BB234_55 Depth=1
	v_mad_u64_u32 v[10:11], null, v2, s2, 0
	s_mov_b32 s8, 0
	s_delay_alu instid0(VALU_DEP_1) | instskip(NEXT) | instid1(VALU_DEP_1)
	v_mad_u64_u32 v[12:13], null, v3, s2, v[11:12]
	v_mov_b32_e32 v11, v12
	s_delay_alu instid0(VALU_DEP_1) | instskip(NEXT) | instid1(VALU_DEP_1)
	v_lshlrev_b64 v[10:11], 4, v[10:11]
	v_add_co_u32 v10, s0, v17, v10
	s_delay_alu instid0(VALU_DEP_1) | instskip(SKIP_2) | instid1(VALU_DEP_1)
	v_add_co_ci_u32_e64 v11, s0, v16, v11, s0
	global_load_b128 v[12:15], v[10:11], off
	v_lshlrev_b64 v[10:11], 2, v[2:3]
	v_add_co_u32 v10, s0, s18, v10
	s_delay_alu instid0(VALU_DEP_1)
	v_add_co_ci_u32_e64 v11, s0, s19, v11, s0
	global_load_b32 v19, v[10:11], off
	s_waitcnt vmcnt(1)
	v_mul_f64 v[10:11], v[14:15], -v[4:5]
	v_mul_f64 v[14:15], v[6:7], v[14:15]
	s_waitcnt vmcnt(0)
	v_subrev_nc_u32_e32 v19, s39, v19
	s_delay_alu instid0(VALU_DEP_1) | instskip(NEXT) | instid1(VALU_DEP_4)
	v_and_b32_e32 v20, 7, v19
	v_fma_f64 v[10:11], v[6:7], v[12:13], v[10:11]
	s_delay_alu instid0(VALU_DEP_4)
	v_fma_f64 v[12:13], v[4:5], v[12:13], v[14:15]
	s_branch .LBB234_58
.LBB234_57:                             ;   in Loop: Header=BB234_58 Depth=2
	s_or_b32 exec_lo, exec_lo, s9
	s_xor_b32 s0, s10, -1
	s_delay_alu instid0(SALU_CYCLE_1) | instskip(NEXT) | instid1(SALU_CYCLE_1)
	s_and_b32 s0, exec_lo, s0
	s_or_b32 s8, s0, s8
	s_delay_alu instid0(SALU_CYCLE_1)
	s_and_not1_b32 exec_lo, exec_lo, s8
	s_cbranch_execz .LBB234_54
.LBB234_58:                             ;   Parent Loop BB234_55 Depth=1
                                        ; =>  This Loop Header: Depth=2
                                        ;       Child Loop BB234_64 Depth 3
                                        ;       Child Loop BB234_66 Depth 3
	;; [unrolled: 1-line block ×4, first 2 shown]
	s_delay_alu instid0(VALU_DEP_3)
	v_lshl_add_u32 v14, v20, 2, v38
	s_mov_b32 s9, exec_lo
                                        ; implicit-def: $sgpr10
	ds_load_b32 v15, v14
	s_waitcnt lgkmcnt(0)
	v_cmpx_ne_u32_e64 v15, v19
	s_xor_b32 s9, exec_lo, s9
	s_cbranch_execz .LBB234_70
; %bb.59:                               ;   in Loop: Header=BB234_58 Depth=2
	v_cmp_ne_u32_e64 s0, s6, v15
                                        ; implicit-def: $sgpr10
	s_delay_alu instid0(VALU_DEP_1) | instskip(NEXT) | instid1(SALU_CYCLE_1)
	s_and_saveexec_b32 s11, s0
	s_xor_b32 s0, exec_lo, s11
; %bb.60:                               ;   in Loop: Header=BB234_58 Depth=2
	v_add_nc_u32_e32 v14, 1, v20
	s_mov_b32 s10, -1
	s_delay_alu instid0(VALU_DEP_1)
	v_and_b32_e32 v20, 7, v14
                                        ; implicit-def: $vgpr14
; %bb.61:                               ;   in Loop: Header=BB234_58 Depth=2
	s_and_not1_saveexec_b32 s11, s0
	s_cbranch_execz .LBB234_69
; %bb.62:                               ;   in Loop: Header=BB234_58 Depth=2
	v_mov_b32_e32 v15, s6
	s_mov_b32 s13, -1
	s_mov_b32 s12, exec_lo
	ds_cmpstore_rtn_b32 v14, v14, v19, v15
	s_waitcnt lgkmcnt(0)
	v_cmpx_eq_u32_e64 s6, v14
	s_cbranch_execz .LBB234_68
; %bb.63:                               ;   in Loop: Header=BB234_58 Depth=2
	v_lshl_or_b32 v14, v20, 8, v18
	s_mov_b32 s13, 0
	s_delay_alu instid0(VALU_DEP_1)
	v_add_nc_u32_e32 v21, v40, v14
	ds_load_b64 v[14:15], v21
.LBB234_64:                             ;   Parent Loop BB234_55 Depth=1
                                        ;     Parent Loop BB234_58 Depth=2
                                        ; =>    This Inner Loop Header: Depth=3
	s_waitcnt lgkmcnt(0)
	v_add_f64 v[22:23], v[14:15], v[10:11]
	ds_cmpstore_rtn_b64 v[22:23], v21, v[22:23], v[14:15]
	s_waitcnt lgkmcnt(0)
	v_cmp_eq_u64_e64 s0, v[22:23], v[14:15]
	v_dual_mov_b32 v14, v22 :: v_dual_mov_b32 v15, v23
	s_delay_alu instid0(VALU_DEP_2) | instskip(NEXT) | instid1(SALU_CYCLE_1)
	s_or_b32 s13, s0, s13
	s_and_not1_b32 exec_lo, exec_lo, s13
	s_cbranch_execnz .LBB234_64
; %bb.65:                               ;   in Loop: Header=BB234_58 Depth=2
	s_or_b32 exec_lo, exec_lo, s13
	ds_load_b64 v[14:15], v21 offset:8
	s_mov_b32 s13, 0
.LBB234_66:                             ;   Parent Loop BB234_55 Depth=1
                                        ;     Parent Loop BB234_58 Depth=2
                                        ; =>    This Inner Loop Header: Depth=3
	s_waitcnt lgkmcnt(0)
	v_add_f64 v[22:23], v[14:15], v[12:13]
	ds_cmpstore_rtn_b64 v[22:23], v21, v[22:23], v[14:15] offset:8
	s_waitcnt lgkmcnt(0)
	v_cmp_eq_u64_e64 s0, v[22:23], v[14:15]
	v_dual_mov_b32 v14, v22 :: v_dual_mov_b32 v15, v23
	s_delay_alu instid0(VALU_DEP_2) | instskip(NEXT) | instid1(SALU_CYCLE_1)
	s_or_b32 s13, s0, s13
	s_and_not1_b32 exec_lo, exec_lo, s13
	s_cbranch_execnz .LBB234_66
; %bb.67:                               ;   in Loop: Header=BB234_58 Depth=2
	s_or_b32 exec_lo, exec_lo, s13
	s_delay_alu instid0(SALU_CYCLE_1)
	s_xor_b32 s13, exec_lo, -1
.LBB234_68:                             ;   in Loop: Header=BB234_58 Depth=2
	s_or_b32 exec_lo, exec_lo, s12
	s_delay_alu instid0(SALU_CYCLE_1) | instskip(SKIP_1) | instid1(SALU_CYCLE_1)
	s_and_not1_b32 s0, s10, exec_lo
	s_and_b32 s10, s13, exec_lo
	s_or_b32 s10, s0, s10
.LBB234_69:                             ;   in Loop: Header=BB234_58 Depth=2
	s_or_b32 exec_lo, exec_lo, s11
	s_delay_alu instid0(SALU_CYCLE_1)
	s_and_b32 s10, s10, exec_lo
.LBB234_70:                             ;   in Loop: Header=BB234_58 Depth=2
	s_and_not1_saveexec_b32 s9, s9
	s_cbranch_execz .LBB234_57
; %bb.71:                               ;   in Loop: Header=BB234_58 Depth=2
	v_lshl_or_b32 v14, v20, 8, v18
	s_mov_b32 s11, 0
	s_delay_alu instid0(VALU_DEP_1)
	v_add_nc_u32_e32 v21, v40, v14
	ds_load_b64 v[14:15], v21
.LBB234_72:                             ;   Parent Loop BB234_55 Depth=1
                                        ;     Parent Loop BB234_58 Depth=2
                                        ; =>    This Inner Loop Header: Depth=3
	s_waitcnt lgkmcnt(0)
	v_add_f64 v[22:23], v[14:15], v[10:11]
	ds_cmpstore_rtn_b64 v[22:23], v21, v[22:23], v[14:15]
	s_waitcnt lgkmcnt(0)
	v_cmp_eq_u64_e64 s0, v[22:23], v[14:15]
	v_dual_mov_b32 v14, v22 :: v_dual_mov_b32 v15, v23
	s_delay_alu instid0(VALU_DEP_2) | instskip(NEXT) | instid1(SALU_CYCLE_1)
	s_or_b32 s11, s0, s11
	s_and_not1_b32 exec_lo, exec_lo, s11
	s_cbranch_execnz .LBB234_72
; %bb.73:                               ;   in Loop: Header=BB234_58 Depth=2
	s_or_b32 exec_lo, exec_lo, s11
	ds_load_b64 v[14:15], v21 offset:8
	s_mov_b32 s11, 0
.LBB234_74:                             ;   Parent Loop BB234_55 Depth=1
                                        ;     Parent Loop BB234_58 Depth=2
                                        ; =>    This Inner Loop Header: Depth=3
	s_waitcnt lgkmcnt(0)
	v_add_f64 v[22:23], v[14:15], v[12:13]
	ds_cmpstore_rtn_b64 v[22:23], v21, v[22:23], v[14:15] offset:8
	s_waitcnt lgkmcnt(0)
	v_cmp_eq_u64_e64 s0, v[22:23], v[14:15]
	v_dual_mov_b32 v14, v22 :: v_dual_mov_b32 v15, v23
	s_delay_alu instid0(VALU_DEP_2) | instskip(NEXT) | instid1(SALU_CYCLE_1)
	s_or_b32 s11, s0, s11
	s_and_not1_b32 exec_lo, exec_lo, s11
	s_cbranch_execnz .LBB234_74
; %bb.75:                               ;   in Loop: Header=BB234_58 Depth=2
	s_or_b32 exec_lo, exec_lo, s11
	s_delay_alu instid0(SALU_CYCLE_1)
	s_and_not1_b32 s10, s10, exec_lo
	s_branch .LBB234_57
.LBB234_76:
	s_or_b32 exec_lo, exec_lo, s1
.LBB234_77:
	v_add_co_u32 v0, vcc_lo, s22, v8
	v_add_co_ci_u32_e32 v1, vcc_lo, s23, v9, vcc_lo
	s_barrier
	buffer_gl0_inv
	global_load_b64 v[0:1], v[0:1], off
	s_cmp_eq_u32 s4, 0
	v_mul_lo_u32 v3, v43, s7
	s_cselect_b32 vcc_lo, -1, 0
	v_dual_mov_b32 v4, 0 :: v_dual_lshlrev_b32 v9, 5, v39
	v_dual_cndmask_b32 v5, v42, v43 :: v_dual_cndmask_b32 v6, v43, v42
	v_lshlrev_b32_e32 v8, 4, v42
	v_max_i32_e32 v7, v42, v43
	s_delay_alu instid0(VALU_DEP_4)
	v_lshlrev_b64 v[3:4], 4, v[3:4]
	v_lshlrev_b32_e32 v10, 2, v41
	v_lshlrev_b32_e32 v6, 4, v6
	v_or_b32_e32 v2, -4, v41
	v_cmp_gt_i32_e32 vcc_lo, s7, v7
	s_mov_b32 s1, 0
	v_add_co_u32 v3, s0, s42, v3
	v_lshl_or_b32 v6, v41, 8, v6
	v_add_co_ci_u32_e64 v4, s0, s43, v4, s0
	s_delay_alu instid0(VALU_DEP_3) | instskip(NEXT) | instid1(VALU_DEP_3)
	v_add_co_u32 v3, s0, v3, v8
	v_lshl_or_b32 v5, v5, 6, v6
	s_delay_alu instid0(VALU_DEP_3) | instskip(SKIP_1) | instid1(VALU_DEP_3)
	v_add_co_ci_u32_e64 v4, s0, 0, v4, s0
	v_or3_b32 v8, v9, v10, 0x2000
	v_add_nc_u32_e32 v5, v40, v5
	s_waitcnt vmcnt(0)
	v_sub_co_u32 v6, s0, v0, s38
	s_delay_alu instid0(VALU_DEP_1)
	v_subrev_co_ci_u32_e64 v7, s0, 0, v1, s0
	s_branch .LBB234_79
.LBB234_78:                             ;   in Loop: Header=BB234_79 Depth=1
	s_or_b32 exec_lo, exec_lo, s3
	v_add_co_u32 v2, s0, v2, 4
	s_delay_alu instid0(VALU_DEP_1) | instskip(SKIP_3) | instid1(SALU_CYCLE_1)
	s_xor_b32 s0, s0, -1
	v_add_nc_u32_e32 v5, 0x400, v5
	v_add_nc_u32_e32 v8, 16, v8
	s_and_b32 s0, exec_lo, s0
	s_or_b32 s1, s0, s1
	s_delay_alu instid0(SALU_CYCLE_1)
	s_and_not1_b32 exec_lo, exec_lo, s1
	s_cbranch_execz .LBB234_82
.LBB234_79:                             ; =>This Inner Loop Header: Depth=1
	ds_load_b32 v9, v8
	s_mov_b32 s3, exec_lo
	s_waitcnt lgkmcnt(0)
	v_cmpx_gt_i32_e64 s6, v9
	s_cbranch_execz .LBB234_78
; %bb.80:                               ;   in Loop: Header=BB234_79 Depth=1
	ds_load_b128 v[10:13], v38
	ds_load_b128 v[14:17], v38 offset:16
	s_waitcnt lgkmcnt(1)
	v_cmp_gt_i32_e64 s0, v9, v10
	s_delay_alu instid0(VALU_DEP_1) | instskip(SKIP_1) | instid1(VALU_DEP_1)
	v_cndmask_b32_e64 v0, 0, 1, s0
	v_cmp_gt_i32_e64 s0, v9, v11
	v_cndmask_b32_e64 v1, 0, 1, s0
	s_delay_alu instid0(VALU_DEP_3) | instskip(NEXT) | instid1(VALU_DEP_1)
	v_add_co_u32 v0, s0, v6, v0
	v_add_co_ci_u32_e64 v10, s0, 0, v7, s0
	v_cmp_gt_i32_e64 s0, v9, v12
	v_add_nc_u32_e32 v12, s38, v9
	s_delay_alu instid0(VALU_DEP_2) | instskip(SKIP_1) | instid1(VALU_DEP_1)
	v_cndmask_b32_e64 v11, 0, 1, s0
	v_add_co_u32 v0, s0, v0, v1
	v_add_co_ci_u32_e64 v1, s0, 0, v10, s0
	v_cmp_gt_i32_e64 s0, v9, v13
	s_delay_alu instid0(VALU_DEP_1) | instskip(NEXT) | instid1(VALU_DEP_4)
	v_cndmask_b32_e64 v10, 0, 1, s0
	v_add_co_u32 v0, s0, v0, v11
	s_delay_alu instid0(VALU_DEP_1) | instskip(SKIP_2) | instid1(VALU_DEP_1)
	v_add_co_ci_u32_e64 v1, s0, 0, v1, s0
	s_waitcnt lgkmcnt(0)
	v_cmp_gt_i32_e64 s0, v9, v14
	v_cndmask_b32_e64 v11, 0, 1, s0
	v_add_co_u32 v0, s0, v0, v10
	s_delay_alu instid0(VALU_DEP_1) | instskip(SKIP_1) | instid1(VALU_DEP_1)
	v_add_co_ci_u32_e64 v1, s0, 0, v1, s0
	v_cmp_gt_i32_e64 s0, v9, v15
	v_cndmask_b32_e64 v10, 0, 1, s0
	s_delay_alu instid0(VALU_DEP_4) | instskip(NEXT) | instid1(VALU_DEP_1)
	v_add_co_u32 v0, s0, v0, v11
	v_add_co_ci_u32_e64 v1, s0, 0, v1, s0
	v_cmp_gt_i32_e64 s0, v9, v16
	s_delay_alu instid0(VALU_DEP_1) | instskip(NEXT) | instid1(VALU_DEP_4)
	v_cndmask_b32_e64 v11, 0, 1, s0
	v_add_co_u32 v0, s0, v0, v10
	s_delay_alu instid0(VALU_DEP_1) | instskip(SKIP_1) | instid1(VALU_DEP_1)
	v_add_co_ci_u32_e64 v1, s0, 0, v1, s0
	v_cmp_gt_i32_e64 s0, v9, v17
	v_cndmask_b32_e64 v10, 0, 1, s0
	s_delay_alu instid0(VALU_DEP_4) | instskip(NEXT) | instid1(VALU_DEP_1)
	v_add_co_u32 v0, s0, v0, v11
	v_add_co_ci_u32_e64 v1, s0, 0, v1, s0
	s_delay_alu instid0(VALU_DEP_2) | instskip(NEXT) | instid1(VALU_DEP_1)
	v_add_co_u32 v0, s0, v0, v10
	v_add_co_ci_u32_e64 v1, s0, 0, v1, s0
	s_delay_alu instid0(VALU_DEP_1) | instskip(NEXT) | instid1(VALU_DEP_1)
	v_lshlrev_b64 v[10:11], 2, v[0:1]
	v_add_co_u32 v9, s0, s40, v10
	s_delay_alu instid0(VALU_DEP_1)
	v_add_co_ci_u32_e64 v10, s0, s41, v11, s0
	global_store_b32 v[9:10], v12, off
	s_and_b32 exec_lo, exec_lo, vcc_lo
	s_cbranch_execz .LBB234_78
; %bb.81:                               ;   in Loop: Header=BB234_79 Depth=1
	v_mad_u64_u32 v[13:14], null, v0, s2, 0
	ds_load_2addr_b64 v[9:12], v5 offset1:1
	v_mov_b32_e32 v0, v14
	s_delay_alu instid0(VALU_DEP_1) | instskip(NEXT) | instid1(VALU_DEP_1)
	v_mad_u64_u32 v[14:15], null, v1, s2, v[0:1]
	v_lshlrev_b64 v[0:1], 4, v[13:14]
	s_delay_alu instid0(VALU_DEP_1) | instskip(NEXT) | instid1(VALU_DEP_1)
	v_add_co_u32 v0, s0, v3, v0
	v_add_co_ci_u32_e64 v1, s0, v4, v1, s0
	s_waitcnt lgkmcnt(0)
	global_store_b128 v[0:1], v[9:12], off
	s_branch .LBB234_78
.LBB234_82:
	s_nop 0
	s_sendmsg sendmsg(MSG_DEALLOC_VGPRS)
	s_endpgm
	.section	.rodata,"a",@progbits
	.p2align	6, 0x0
	.amdhsa_kernel _ZN9rocsparseL23bsrgemm_fill_wf_per_rowILj256ELj64ELj8ELj137ELj4Eli21rocsparse_complex_numIdEEEv20rocsparse_direction_T5_S4_S4_PKS4_S6_NS_24const_host_device_scalarIT6_EEPKT4_S6_PKS8_SC_S6_SE_S9_SC_S6_SE_SC_PS4_PS8_21rocsparse_index_base_SH_SH_SH_bbb
		.amdhsa_group_segment_fixed_size 12416
		.amdhsa_private_segment_fixed_size 0
		.amdhsa_kernarg_size 180
		.amdhsa_user_sgpr_count 15
		.amdhsa_user_sgpr_dispatch_ptr 1
		.amdhsa_user_sgpr_queue_ptr 0
		.amdhsa_user_sgpr_kernarg_segment_ptr 1
		.amdhsa_user_sgpr_dispatch_id 0
		.amdhsa_user_sgpr_private_segment_size 0
		.amdhsa_wavefront_size32 1
		.amdhsa_uses_dynamic_stack 0
		.amdhsa_enable_private_segment 0
		.amdhsa_system_sgpr_workgroup_id_x 1
		.amdhsa_system_sgpr_workgroup_id_y 0
		.amdhsa_system_sgpr_workgroup_id_z 0
		.amdhsa_system_sgpr_workgroup_info 0
		.amdhsa_system_vgpr_workitem_id 2
		.amdhsa_next_free_vgpr 55
		.amdhsa_next_free_sgpr 49
		.amdhsa_reserve_vcc 1
		.amdhsa_float_round_mode_32 0
		.amdhsa_float_round_mode_16_64 0
		.amdhsa_float_denorm_mode_32 3
		.amdhsa_float_denorm_mode_16_64 3
		.amdhsa_dx10_clamp 1
		.amdhsa_ieee_mode 1
		.amdhsa_fp16_overflow 0
		.amdhsa_workgroup_processor_mode 1
		.amdhsa_memory_ordered 1
		.amdhsa_forward_progress 0
		.amdhsa_shared_vgpr_count 0
		.amdhsa_exception_fp_ieee_invalid_op 0
		.amdhsa_exception_fp_denorm_src 0
		.amdhsa_exception_fp_ieee_div_zero 0
		.amdhsa_exception_fp_ieee_overflow 0
		.amdhsa_exception_fp_ieee_underflow 0
		.amdhsa_exception_fp_ieee_inexact 0
		.amdhsa_exception_int_div_zero 0
	.end_amdhsa_kernel
	.section	.text._ZN9rocsparseL23bsrgemm_fill_wf_per_rowILj256ELj64ELj8ELj137ELj4Eli21rocsparse_complex_numIdEEEv20rocsparse_direction_T5_S4_S4_PKS4_S6_NS_24const_host_device_scalarIT6_EEPKT4_S6_PKS8_SC_S6_SE_S9_SC_S6_SE_SC_PS4_PS8_21rocsparse_index_base_SH_SH_SH_bbb,"axG",@progbits,_ZN9rocsparseL23bsrgemm_fill_wf_per_rowILj256ELj64ELj8ELj137ELj4Eli21rocsparse_complex_numIdEEEv20rocsparse_direction_T5_S4_S4_PKS4_S6_NS_24const_host_device_scalarIT6_EEPKT4_S6_PKS8_SC_S6_SE_S9_SC_S6_SE_SC_PS4_PS8_21rocsparse_index_base_SH_SH_SH_bbb,comdat
.Lfunc_end234:
	.size	_ZN9rocsparseL23bsrgemm_fill_wf_per_rowILj256ELj64ELj8ELj137ELj4Eli21rocsparse_complex_numIdEEEv20rocsparse_direction_T5_S4_S4_PKS4_S6_NS_24const_host_device_scalarIT6_EEPKT4_S6_PKS8_SC_S6_SE_S9_SC_S6_SE_SC_PS4_PS8_21rocsparse_index_base_SH_SH_SH_bbb, .Lfunc_end234-_ZN9rocsparseL23bsrgemm_fill_wf_per_rowILj256ELj64ELj8ELj137ELj4Eli21rocsparse_complex_numIdEEEv20rocsparse_direction_T5_S4_S4_PKS4_S6_NS_24const_host_device_scalarIT6_EEPKT4_S6_PKS8_SC_S6_SE_S9_SC_S6_SE_SC_PS4_PS8_21rocsparse_index_base_SH_SH_SH_bbb
                                        ; -- End function
	.section	.AMDGPU.csdata,"",@progbits
; Kernel info:
; codeLenInByte = 4252
; NumSgprs: 51
; NumVgprs: 55
; ScratchSize: 0
; MemoryBound: 0
; FloatMode: 240
; IeeeMode: 1
; LDSByteSize: 12416 bytes/workgroup (compile time only)
; SGPRBlocks: 6
; VGPRBlocks: 6
; NumSGPRsForWavesPerEU: 51
; NumVGPRsForWavesPerEU: 55
; Occupancy: 16
; WaveLimiterHint : 1
; COMPUTE_PGM_RSRC2:SCRATCH_EN: 0
; COMPUTE_PGM_RSRC2:USER_SGPR: 15
; COMPUTE_PGM_RSRC2:TRAP_HANDLER: 0
; COMPUTE_PGM_RSRC2:TGID_X_EN: 1
; COMPUTE_PGM_RSRC2:TGID_Y_EN: 0
; COMPUTE_PGM_RSRC2:TGID_Z_EN: 0
; COMPUTE_PGM_RSRC2:TIDIG_COMP_CNT: 2
	.section	.text._ZN9rocsparseL23bsrgemm_fill_wf_per_rowILj256ELj64ELj16ELj137ELj4Eli21rocsparse_complex_numIdEEEv20rocsparse_direction_T5_S4_S4_PKS4_S6_NS_24const_host_device_scalarIT6_EEPKT4_S6_PKS8_SC_S6_SE_S9_SC_S6_SE_SC_PS4_PS8_21rocsparse_index_base_SH_SH_SH_bbb,"axG",@progbits,_ZN9rocsparseL23bsrgemm_fill_wf_per_rowILj256ELj64ELj16ELj137ELj4Eli21rocsparse_complex_numIdEEEv20rocsparse_direction_T5_S4_S4_PKS4_S6_NS_24const_host_device_scalarIT6_EEPKT4_S6_PKS8_SC_S6_SE_S9_SC_S6_SE_SC_PS4_PS8_21rocsparse_index_base_SH_SH_SH_bbb,comdat
	.globl	_ZN9rocsparseL23bsrgemm_fill_wf_per_rowILj256ELj64ELj16ELj137ELj4Eli21rocsparse_complex_numIdEEEv20rocsparse_direction_T5_S4_S4_PKS4_S6_NS_24const_host_device_scalarIT6_EEPKT4_S6_PKS8_SC_S6_SE_S9_SC_S6_SE_SC_PS4_PS8_21rocsparse_index_base_SH_SH_SH_bbb ; -- Begin function _ZN9rocsparseL23bsrgemm_fill_wf_per_rowILj256ELj64ELj16ELj137ELj4Eli21rocsparse_complex_numIdEEEv20rocsparse_direction_T5_S4_S4_PKS4_S6_NS_24const_host_device_scalarIT6_EEPKT4_S6_PKS8_SC_S6_SE_S9_SC_S6_SE_SC_PS4_PS8_21rocsparse_index_base_SH_SH_SH_bbb
	.p2align	8
	.type	_ZN9rocsparseL23bsrgemm_fill_wf_per_rowILj256ELj64ELj16ELj137ELj4Eli21rocsparse_complex_numIdEEEv20rocsparse_direction_T5_S4_S4_PKS4_S6_NS_24const_host_device_scalarIT6_EEPKT4_S6_PKS8_SC_S6_SE_S9_SC_S6_SE_SC_PS4_PS8_21rocsparse_index_base_SH_SH_SH_bbb,@function
_ZN9rocsparseL23bsrgemm_fill_wf_per_rowILj256ELj64ELj16ELj137ELj4Eli21rocsparse_complex_numIdEEEv20rocsparse_direction_T5_S4_S4_PKS4_S6_NS_24const_host_device_scalarIT6_EEPKT4_S6_PKS8_SC_S6_SE_S9_SC_S6_SE_SC_PS4_PS8_21rocsparse_index_base_SH_SH_SH_bbb: ; @_ZN9rocsparseL23bsrgemm_fill_wf_per_rowILj256ELj64ELj16ELj137ELj4Eli21rocsparse_complex_numIdEEEv20rocsparse_direction_T5_S4_S4_PKS4_S6_NS_24const_host_device_scalarIT6_EEPKT4_S6_PKS8_SC_S6_SE_S9_SC_S6_SE_SC_PS4_PS8_21rocsparse_index_base_SH_SH_SH_bbb
; %bb.0:
	s_load_b32 s12, s[2:3], 0xb0
	s_load_b64 s[16:17], s[0:1], 0x4
	s_clause 0x1
	s_load_b128 s[8:11], s[2:3], 0x20
	s_load_b128 s[4:7], s[2:3], 0x60
	v_and_b32_e32 v44, 0x3ff, v0
	v_mov_b32_e32 v4, 0
	v_mov_b32_e32 v5, 0
	v_bfe_u32 v2, v0, 10, 10
	v_bfe_u32 v0, v0, 20, 10
	s_delay_alu instid0(VALU_DEP_3)
	v_dual_mov_b32 v11, v5 :: v_dual_mov_b32 v10, v4
	v_dual_mov_b32 v13, v5 :: v_dual_mov_b32 v12, v4
	s_waitcnt lgkmcnt(0)
	s_bitcmp1_b32 s12, 0
	s_cselect_b32 s1, -1, 0
	s_bitcmp1_b32 s12, 16
	v_mov_b32_e32 v7, s5
	s_cselect_b32 s0, -1, 0
	s_lshr_b32 s13, s16, 16
	v_mov_b32_e32 v6, s4
	s_mul_i32 s13, s13, s17
	s_delay_alu instid0(SALU_CYCLE_1)
	v_mul_lo_u32 v1, s13, v44
	s_xor_b32 s13, s0, -1
	s_bitcmp0_b32 s12, 0
	v_cndmask_b32_e64 v8, 0, 1, s13
	scratch_store_b64 off, v[6:7], off
	v_mad_u32_u24 v3, v2, s17, v1
	v_dual_mov_b32 v1, s8 :: v_dual_mov_b32 v2, s9
	v_cmp_ne_u32_e32 vcc_lo, 1, v8
	s_delay_alu instid0(VALU_DEP_3)
	v_add_lshl_u32 v0, v3, v0, 3
	ds_store_b64 v0, v[1:2] offset:16640
	s_cbranch_scc1 .LBB235_3
; %bb.1:
	s_mov_b64 s[16:17], src_shared_base
	s_and_b32 s14, s0, exec_lo
	s_cselect_b32 s14, s17, s9
	s_delay_alu instid0(SALU_CYCLE_1) | instskip(SKIP_2) | instid1(VALU_DEP_2)
	v_dual_mov_b32 v1, s14 :: v_dual_add_nc_u32 v0, 0x4100, v0
	v_dual_mov_b32 v13, s11 :: v_dual_mov_b32 v12, s10
	s_and_b32 vcc_lo, exec_lo, vcc_lo
	v_cndmask_b32_e64 v0, s8, v0, s0
	flat_load_b64 v[10:11], v[0:1]
	s_cbranch_vccnz .LBB235_3
; %bb.2:
	v_dual_mov_b32 v0, s8 :: v_dual_mov_b32 v1, s9
	flat_load_b64 v[12:13], v[0:1] offset:8
.LBB235_3:
	s_load_b128 s[36:39], s[2:3], 0xa0
	s_bitcmp1_b32 s12, 8
	v_dual_mov_b32 v7, v5 :: v_dual_mov_b32 v6, v4
	s_cselect_b32 s14, -1, 0
	s_bfe_u32 s8, s12, 0x10008
	s_delay_alu instid0(SALU_CYCLE_1)
	s_cmp_eq_u32 s8, 0
	s_cbranch_scc1 .LBB235_6
; %bb.4:
	s_mov_b64 s[8:9], src_private_base
	s_and_b32 s8, s0, exec_lo
	s_cselect_b32 s8, s9, s5
	s_delay_alu instid0(SALU_CYCLE_1) | instskip(SKIP_2) | instid1(VALU_DEP_2)
	v_dual_mov_b32 v0, 0 :: v_dual_mov_b32 v1, s8
	v_dual_mov_b32 v4, s6 :: v_dual_mov_b32 v5, s7
	s_and_not1_b32 vcc_lo, exec_lo, s13
	v_cndmask_b32_e64 v0, s4, v0, s0
	flat_load_b64 v[6:7], v[0:1]
	s_cbranch_vccnz .LBB235_6
; %bb.5:
	v_dual_mov_b32 v0, s4 :: v_dual_mov_b32 v1, s5
	flat_load_b64 v[4:5], v[0:1] offset:8
.LBB235_6:
	s_clause 0x4
	s_load_b128 s[40:43], s[2:3], 0x90
	s_load_b256 s[16:23], s[2:3], 0x70
	s_load_b128 s[44:47], s[2:3], 0x50
	s_load_b256 s[4:11], s[2:3], 0x0
	s_load_b256 s[24:31], s[2:3], 0x30
	s_movk_i32 s0, 0xc0
	v_and_b32_e32 v8, 63, v44
	v_lshrrev_b32_e32 v39, 6, v44
	v_and_or_b32 v38, v44, s0, 0x4000
	s_mov_b32 s0, exec_lo
	s_delay_alu instid0(VALU_DEP_3)
	v_cmpx_gt_u32_e32 16, v8
	s_cbranch_execz .LBB235_8
; %bb.7:
	s_delay_alu instid0(VALU_DEP_2)
	v_lshl_add_u32 v0, v8, 2, v38
	s_waitcnt lgkmcnt(0)
	v_mov_b32_e32 v1, s6
	ds_store_b32 v0, v1
.LBB235_8:
	s_or_b32 exec_lo, exec_lo, s0
	v_mov_b32_e32 v0, 0
	v_lshlrev_b32_e32 v40, 12, v39
	v_or_b32_e32 v9, 0xffffffc0, v8
	s_mov_b32 s0, 0
	s_delay_alu instid0(VALU_DEP_3) | instskip(NEXT) | instid1(VALU_DEP_3)
	v_mov_b32_e32 v1, v0
	v_lshl_or_b32 v14, v8, 4, v40
	v_mov_b32_e32 v2, v0
	v_mov_b32_e32 v3, v0
.LBB235_9:                              ; =>This Inner Loop Header: Depth=1
	v_add_nc_u32_e32 v9, 64, v9
	ds_store_b128 v14, v[0:3]
	v_add_nc_u32_e32 v14, 0x400, v14
	v_cmp_lt_u32_e32 vcc_lo, 0xbf, v9
	s_or_b32 s0, vcc_lo, s0
	s_delay_alu instid0(SALU_CYCLE_1)
	s_and_not1_b32 exec_lo, exec_lo, s0
	s_cbranch_execnz .LBB235_9
; %bb.10:
	s_or_b32 exec_lo, exec_lo, s0
	v_lshl_or_b32 v0, s15, 2, v39
	s_waitcnt vmcnt(0) lgkmcnt(0)
	s_waitcnt_vscnt null, 0x0
	s_barrier
	buffer_gl0_inv
	s_mov_b32 s0, exec_lo
	v_cmpx_gt_i32_e64 s5, v0
	s_cbranch_execz .LBB235_82
; %bb.11:
	s_cmp_eq_u64 s[10:11], 0
	s_cbranch_scc1 .LBB235_13
; %bb.12:
	s_load_b32 s0, s[8:9], 0x0
	s_waitcnt lgkmcnt(0)
	v_add_nc_u32_e32 v0, s0, v0
	s_delay_alu instid0(VALU_DEP_1) | instskip(NEXT) | instid1(VALU_DEP_1)
	v_ashrrev_i32_e32 v1, 31, v0
	v_lshlrev_b64 v[0:1], 2, v[0:1]
	s_delay_alu instid0(VALU_DEP_1) | instskip(NEXT) | instid1(VALU_DEP_2)
	v_add_co_u32 v0, vcc_lo, s10, v0
	v_add_co_ci_u32_e32 v1, vcc_lo, s11, v1, vcc_lo
	global_load_b32 v0, v[0:1], off
.LBB235_13:
	s_waitcnt vmcnt(0)
	v_ashrrev_i32_e32 v1, 31, v0
	v_lshrrev_b32_e32 v41, 4, v8
	v_and_b32_e32 v42, 3, v44
	v_bfe_u32 v43, v44, 2, 2
	s_and_not1_b32 vcc_lo, exec_lo, s1
	v_lshlrev_b64 v[8:9], 3, v[0:1]
	s_mul_i32 s2, s7, s7
	s_cbranch_vccnz .LBB235_51
; %bb.14:
	s_delay_alu instid0(VALU_DEP_1) | instskip(NEXT) | instid1(VALU_DEP_2)
	v_add_co_u32 v0, vcc_lo, s24, v8
	v_add_co_ci_u32_e32 v1, vcc_lo, s25, v9, vcc_lo
	v_sub_co_u32 v16, s0, v41, s36
	s_delay_alu instid0(VALU_DEP_1)
	v_sub_co_ci_u32_e64 v17, null, 0, 0, s0
	global_load_b128 v[0:3], v[0:1], off
	s_mov_b32 s3, 0
	s_mov_b32 s5, exec_lo
	s_waitcnt vmcnt(0)
	v_sub_co_u32 v14, vcc_lo, v2, s36
	v_subrev_co_ci_u32_e32 v15, vcc_lo, 0, v3, vcc_lo
	v_add_co_u32 v16, vcc_lo, v0, v16
	v_add_co_ci_u32_e32 v17, vcc_lo, v1, v17, vcc_lo
	s_delay_alu instid0(VALU_DEP_1)
	v_cmpx_lt_i64_e64 v[16:17], v[14:15]
	s_cbranch_execz .LBB235_50
; %bb.15:
	v_mad_u64_u32 v[0:1], null, v16, s2, 0
	v_mul_lo_u32 v18, v42, s7
	v_dual_mov_b32 v19, 0 :: v_dual_lshlrev_b32 v22, 4, v43
	v_mul_lo_u32 v20, v43, s7
	s_cmp_lg_u32 s4, 0
	v_and_b32_e32 v45, 15, v44
	v_mad_u64_u32 v[2:3], null, v17, s2, v[1:2]
	v_max_i32_e32 v3, v42, v43
	v_mov_b32_e32 v21, v19
	s_mov_b32 s10, s7
	s_mov_b32 s11, s3
	s_cselect_b32 s24, -1, 0
	v_cmp_gt_i32_e64 s0, s7, v3
	s_delay_alu instid0(VALU_DEP_4)
	v_mov_b32_e32 v1, v2
	v_lshlrev_b64 v[2:3], 4, v[18:19]
	s_cmp_gt_i32 s7, 0
	s_mov_b32 s15, s37
	s_cselect_b32 s25, -1, 0
	v_lshlrev_b64 v[0:1], 4, v[0:1]
	s_lshl_b64 s[8:9], s[2:3], 6
	s_lshl_b64 s[10:11], s[10:11], 4
	;; [unrolled: 1-line block ×3, first 2 shown]
	s_delay_alu instid0(VALU_DEP_1) | instskip(NEXT) | instid1(VALU_DEP_2)
	v_add_co_u32 v18, vcc_lo, v0, v22
	v_add_co_ci_u32_e32 v19, vcc_lo, 0, v1, vcc_lo
	v_lshlrev_b64 v[22:23], 4, v[20:21]
	s_delay_alu instid0(VALU_DEP_3) | instskip(NEXT) | instid1(VALU_DEP_3)
	v_add_co_u32 v18, vcc_lo, v18, s28
	v_add_co_ci_u32_e32 v19, vcc_lo, s29, v19, vcc_lo
	v_add_co_u32 v2, vcc_lo, v2, s46
	v_add_co_ci_u32_e32 v3, vcc_lo, s47, v3, vcc_lo
	s_delay_alu instid0(VALU_DEP_4) | instskip(NEXT) | instid1(VALU_DEP_4)
	v_add_co_u32 v18, vcc_lo, v18, 8
	v_add_co_ci_u32_e32 v19, vcc_lo, 0, v19, vcc_lo
	s_delay_alu instid0(VALU_DEP_4) | instskip(SKIP_4) | instid1(VALU_DEP_4)
	v_add_co_u32 v20, vcc_lo, v2, 8
	v_lshlrev_b32_e32 v2, 4, v42
	v_add_co_ci_u32_e32 v21, vcc_lo, 0, v3, vcc_lo
	v_add_co_u32 v0, vcc_lo, v0, v22
	v_add_co_ci_u32_e32 v1, vcc_lo, v1, v23, vcc_lo
	v_add_co_u32 v2, s1, v2, s46
	s_delay_alu instid0(VALU_DEP_3) | instskip(NEXT) | instid1(VALU_DEP_3)
	v_add_co_u32 v0, vcc_lo, v0, s28
	v_add_co_ci_u32_e32 v1, vcc_lo, s29, v1, vcc_lo
	v_add_co_ci_u32_e64 v3, null, 0, s47, s1
	s_delay_alu instid0(VALU_DEP_3) | instskip(NEXT) | instid1(VALU_DEP_3)
	v_add_co_u32 v22, vcc_lo, v0, 8
	v_add_co_ci_u32_e32 v23, vcc_lo, 0, v1, vcc_lo
	v_add_co_u32 v24, vcc_lo, v2, 8
	s_delay_alu instid0(VALU_DEP_4)
	v_add_co_ci_u32_e32 v25, vcc_lo, 0, v3, vcc_lo
	s_branch .LBB235_17
.LBB235_16:                             ;   in Loop: Header=BB235_17 Depth=1
	s_or_b32 exec_lo, exec_lo, s28
	v_add_co_u32 v16, vcc_lo, v16, 4
	v_add_co_ci_u32_e32 v17, vcc_lo, 0, v17, vcc_lo
	v_add_co_u32 v18, vcc_lo, v18, s8
	v_add_co_ci_u32_e32 v19, vcc_lo, s9, v19, vcc_lo
	s_delay_alu instid0(VALU_DEP_3) | instskip(SKIP_1) | instid1(VALU_DEP_1)
	v_cmp_ge_i64_e32 vcc_lo, v[16:17], v[14:15]
	v_add_co_u32 v22, s1, v22, s8
	v_add_co_ci_u32_e64 v23, s1, s9, v23, s1
	s_or_b32 s3, vcc_lo, s3
	s_delay_alu instid0(SALU_CYCLE_1)
	s_and_not1_b32 exec_lo, exec_lo, s3
	s_cbranch_execz .LBB235_50
.LBB235_17:                             ; =>This Loop Header: Depth=1
                                        ;     Child Loop BB235_20 Depth 2
                                        ;       Child Loop BB235_24 Depth 3
                                        ;       Child Loop BB235_29 Depth 3
	;; [unrolled: 1-line block ×3, first 2 shown]
                                        ;         Child Loop BB235_38 Depth 4
                                        ;         Child Loop BB235_40 Depth 4
	;; [unrolled: 1-line block ×4, first 2 shown]
	v_lshlrev_b64 v[0:1], 2, v[16:17]
	s_mov_b32 s28, exec_lo
	s_delay_alu instid0(VALU_DEP_1) | instskip(NEXT) | instid1(VALU_DEP_2)
	v_add_co_u32 v0, vcc_lo, s26, v0
	v_add_co_ci_u32_e32 v1, vcc_lo, s27, v1, vcc_lo
	global_load_b32 v0, v[0:1], off
	s_waitcnt vmcnt(0)
	v_subrev_nc_u32_e32 v0, s36, v0
	s_delay_alu instid0(VALU_DEP_1) | instskip(NEXT) | instid1(VALU_DEP_1)
	v_ashrrev_i32_e32 v1, 31, v0
	v_lshlrev_b64 v[0:1], 3, v[0:1]
	s_delay_alu instid0(VALU_DEP_1) | instskip(NEXT) | instid1(VALU_DEP_2)
	v_add_co_u32 v0, vcc_lo, s30, v0
	v_add_co_ci_u32_e32 v1, vcc_lo, s31, v1, vcc_lo
	global_load_b128 v[0:3], v[0:1], off
	s_waitcnt vmcnt(0)
	v_cmpx_lt_i64_e64 v[0:1], v[2:3]
	s_cbranch_execz .LBB235_16
; %bb.18:                               ;   in Loop: Header=BB235_17 Depth=1
	v_sub_co_u32 v0, vcc_lo, v0, s15
	v_subrev_co_ci_u32_e32 v1, vcc_lo, 0, v1, vcc_lo
	v_sub_co_u32 v2, vcc_lo, v2, s15
	s_delay_alu instid0(VALU_DEP_3) | instskip(NEXT) | instid1(VALU_DEP_3)
	v_mad_u64_u32 v[26:27], null, s12, v0, v[20:21]
	v_mul_lo_u32 v30, s12, v1
	v_mul_lo_u32 v31, s13, v0
	v_mad_u64_u32 v[28:29], null, s12, v0, v[24:25]
	v_subrev_co_ci_u32_e32 v3, vcc_lo, 0, v3, vcc_lo
	s_mov_b32 s29, 0
	s_delay_alu instid0(VALU_DEP_3) | instskip(NEXT) | instid1(VALU_DEP_3)
	v_add3_u32 v27, v31, v27, v30
	v_add3_u32 v29, v31, v29, v30
	s_branch .LBB235_20
.LBB235_19:                             ;   in Loop: Header=BB235_20 Depth=2
	s_or_b32 exec_lo, exec_lo, s33
	v_add_co_u32 v0, vcc_lo, v0, 1
	v_add_co_ci_u32_e32 v1, vcc_lo, 0, v1, vcc_lo
	v_add_co_u32 v26, vcc_lo, v26, s12
	v_add_co_ci_u32_e32 v27, vcc_lo, s13, v27, vcc_lo
	s_delay_alu instid0(VALU_DEP_3) | instskip(SKIP_1) | instid1(VALU_DEP_1)
	v_cmp_ge_i64_e32 vcc_lo, v[0:1], v[2:3]
	v_add_co_u32 v28, s1, v28, s12
	v_add_co_ci_u32_e64 v29, s1, s13, v29, s1
	s_or_b32 s29, vcc_lo, s29
	s_delay_alu instid0(SALU_CYCLE_1)
	s_and_not1_b32 exec_lo, exec_lo, s29
	s_cbranch_execz .LBB235_16
.LBB235_20:                             ;   Parent Loop BB235_17 Depth=1
                                        ; =>  This Loop Header: Depth=2
                                        ;       Child Loop BB235_24 Depth 3
                                        ;       Child Loop BB235_29 Depth 3
	;; [unrolled: 1-line block ×3, first 2 shown]
                                        ;         Child Loop BB235_38 Depth 4
                                        ;         Child Loop BB235_40 Depth 4
                                        ;         Child Loop BB235_46 Depth 4
                                        ;         Child Loop BB235_48 Depth 4
	s_and_saveexec_b32 s33, s0
	s_cbranch_execz .LBB235_19
; %bb.21:                               ;   in Loop: Header=BB235_20 Depth=2
	v_lshlrev_b64 v[30:31], 2, v[0:1]
	s_delay_alu instid0(VALU_DEP_1) | instskip(NEXT) | instid1(VALU_DEP_2)
	v_add_co_u32 v30, vcc_lo, s44, v30
	v_add_co_ci_u32_e32 v31, vcc_lo, s45, v31, vcc_lo
	s_and_not1_b32 vcc_lo, exec_lo, s24
	global_load_b32 v46, v[30:31], off
	v_cndmask_b32_e64 v30, 0, 1, s25
	s_delay_alu instid0(VALU_DEP_1)
	v_cmp_ne_u32_e64 s1, 1, v30
	s_cbranch_vccnz .LBB235_26
; %bb.22:                               ;   in Loop: Header=BB235_20 Depth=2
	v_mov_b32_e32 v32, 0
	v_mov_b32_e32 v33, 0
	s_delay_alu instid0(VALU_DEP_2) | instskip(SKIP_1) | instid1(VALU_DEP_2)
	v_mov_b32_e32 v30, v32
	s_and_b32 vcc_lo, exec_lo, s1
	v_mov_b32_e32 v31, v33
	s_cbranch_vccnz .LBB235_25
; %bb.23:                               ;   in Loop: Header=BB235_20 Depth=2
	v_dual_mov_b32 v32, 0 :: v_dual_mov_b32 v35, v27
	v_dual_mov_b32 v33, 0 :: v_dual_mov_b32 v34, v26
	;; [unrolled: 1-line block ×3, first 2 shown]
	s_delay_alu instid0(VALU_DEP_2)
	v_dual_mov_b32 v30, v32 :: v_dual_mov_b32 v31, v33
	s_mov_b32 s1, s7
	.p2align	6
.LBB235_24:                             ;   Parent Loop BB235_17 Depth=1
                                        ;     Parent Loop BB235_20 Depth=2
                                        ; =>    This Inner Loop Header: Depth=3
	global_load_b128 v[47:50], v[36:37], off offset:-8
	global_load_b128 v[51:54], v[34:35], off offset:-8
	v_add_co_u32 v36, vcc_lo, v36, s10
	v_add_co_ci_u32_e32 v37, vcc_lo, s11, v37, vcc_lo
	v_add_co_u32 v34, vcc_lo, v34, 16
	v_add_co_ci_u32_e32 v35, vcc_lo, 0, v35, vcc_lo
	s_add_i32 s1, s1, -1
	s_delay_alu instid0(SALU_CYCLE_1) | instskip(SKIP_3) | instid1(VALU_DEP_2)
	s_cmp_lg_u32 s1, 0
	s_waitcnt vmcnt(0)
	v_fma_f64 v[32:33], v[47:48], v[51:52], v[32:33]
	v_fma_f64 v[30:31], v[49:50], v[51:52], v[30:31]
	v_fma_f64 v[32:33], -v[49:50], v[53:54], v[32:33]
	s_delay_alu instid0(VALU_DEP_2)
	v_fma_f64 v[30:31], v[47:48], v[53:54], v[30:31]
	s_cbranch_scc1 .LBB235_24
.LBB235_25:                             ;   in Loop: Header=BB235_20 Depth=2
	s_cbranch_execz .LBB235_27
	s_branch .LBB235_30
.LBB235_26:                             ;   in Loop: Header=BB235_20 Depth=2
                                        ; implicit-def: $vgpr32_vgpr33
                                        ; implicit-def: $vgpr30_vgpr31
.LBB235_27:                             ;   in Loop: Header=BB235_20 Depth=2
	v_mov_b32_e32 v32, 0
	v_mov_b32_e32 v33, 0
	s_delay_alu instid0(VALU_DEP_2) | instskip(SKIP_1) | instid1(VALU_DEP_2)
	v_mov_b32_e32 v30, v32
	s_and_not1_b32 vcc_lo, exec_lo, s25
	v_mov_b32_e32 v31, v33
	s_cbranch_vccnz .LBB235_30
; %bb.28:                               ;   in Loop: Header=BB235_20 Depth=2
	v_dual_mov_b32 v32, 0 :: v_dual_mov_b32 v35, v29
	v_dual_mov_b32 v33, 0 :: v_dual_mov_b32 v34, v28
	;; [unrolled: 1-line block ×3, first 2 shown]
	s_delay_alu instid0(VALU_DEP_2)
	v_dual_mov_b32 v30, v32 :: v_dual_mov_b32 v31, v33
	s_mov_b32 s1, s7
	.p2align	6
.LBB235_29:                             ;   Parent Loop BB235_17 Depth=1
                                        ;     Parent Loop BB235_20 Depth=2
                                        ; =>    This Inner Loop Header: Depth=3
	global_load_b128 v[47:50], v[36:37], off offset:-8
	global_load_b128 v[51:54], v[34:35], off offset:-8
	v_add_co_u32 v36, vcc_lo, v36, 16
	v_add_co_ci_u32_e32 v37, vcc_lo, 0, v37, vcc_lo
	v_add_co_u32 v34, vcc_lo, v34, s10
	v_add_co_ci_u32_e32 v35, vcc_lo, s11, v35, vcc_lo
	s_add_i32 s1, s1, -1
	s_delay_alu instid0(SALU_CYCLE_1) | instskip(SKIP_3) | instid1(VALU_DEP_2)
	s_cmp_eq_u32 s1, 0
	s_waitcnt vmcnt(0)
	v_fma_f64 v[32:33], v[47:48], v[51:52], v[32:33]
	v_fma_f64 v[30:31], v[49:50], v[51:52], v[30:31]
	v_fma_f64 v[32:33], -v[49:50], v[53:54], v[32:33]
	s_delay_alu instid0(VALU_DEP_2)
	v_fma_f64 v[30:31], v[47:48], v[53:54], v[30:31]
	s_cbranch_scc0 .LBB235_29
.LBB235_30:                             ;   in Loop: Header=BB235_20 Depth=2
	s_delay_alu instid0(VALU_DEP_1) | instskip(SKIP_2) | instid1(VALU_DEP_2)
	v_mul_f64 v[34:35], v[30:31], -v[12:13]
	v_mul_f64 v[36:37], v[10:11], v[30:31]
	s_mov_b32 s1, 0
	v_fma_f64 v[30:31], v[10:11], v[32:33], v[34:35]
	s_delay_alu instid0(VALU_DEP_2) | instskip(SKIP_2) | instid1(VALU_DEP_1)
	v_fma_f64 v[32:33], v[12:13], v[32:33], v[36:37]
	s_waitcnt vmcnt(0)
	v_subrev_nc_u32_e32 v36, s37, v46
	v_lshl_add_u32 v34, v36, 3, v36
	s_delay_alu instid0(VALU_DEP_1)
	v_and_b32_e32 v37, 15, v34
	s_branch .LBB235_32
.LBB235_31:                             ;   in Loop: Header=BB235_32 Depth=3
	s_or_b32 exec_lo, exec_lo, s34
	s_xor_b32 s34, s35, -1
	s_delay_alu instid0(SALU_CYCLE_1) | instskip(NEXT) | instid1(SALU_CYCLE_1)
	s_and_b32 s34, exec_lo, s34
	s_or_b32 s1, s34, s1
	s_delay_alu instid0(SALU_CYCLE_1)
	s_and_not1_b32 exec_lo, exec_lo, s1
	s_cbranch_execz .LBB235_19
.LBB235_32:                             ;   Parent Loop BB235_17 Depth=1
                                        ;     Parent Loop BB235_20 Depth=2
                                        ; =>    This Loop Header: Depth=3
                                        ;         Child Loop BB235_38 Depth 4
                                        ;         Child Loop BB235_40 Depth 4
	;; [unrolled: 1-line block ×4, first 2 shown]
	s_delay_alu instid0(VALU_DEP_1)
	v_lshl_add_u32 v34, v37, 2, v38
	s_mov_b32 s34, exec_lo
                                        ; implicit-def: $sgpr35
	ds_load_b32 v35, v34
	s_waitcnt lgkmcnt(0)
	v_cmpx_ne_u32_e64 v35, v36
	s_xor_b32 s34, exec_lo, s34
	s_cbranch_execz .LBB235_44
; %bb.33:                               ;   in Loop: Header=BB235_32 Depth=3
	s_mov_b32 s46, exec_lo
                                        ; implicit-def: $sgpr35
	v_cmpx_ne_u32_e64 s6, v35
	s_xor_b32 s46, exec_lo, s46
; %bb.34:                               ;   in Loop: Header=BB235_32 Depth=3
	v_add_nc_u32_e32 v34, 1, v37
	s_mov_b32 s35, -1
	s_delay_alu instid0(VALU_DEP_1)
	v_and_b32_e32 v37, 15, v34
                                        ; implicit-def: $vgpr34
; %bb.35:                               ;   in Loop: Header=BB235_32 Depth=3
	s_and_not1_saveexec_b32 s46, s46
	s_cbranch_execz .LBB235_43
; %bb.36:                               ;   in Loop: Header=BB235_32 Depth=3
	v_mov_b32_e32 v35, s6
	s_mov_b32 s48, -1
	s_mov_b32 s47, exec_lo
	ds_cmpstore_rtn_b32 v34, v34, v36, v35
	s_waitcnt lgkmcnt(0)
	v_cmpx_eq_u32_e64 s6, v34
	s_cbranch_execz .LBB235_42
; %bb.37:                               ;   in Loop: Header=BB235_32 Depth=3
	v_lshlrev_b32_e32 v34, 4, v45
	s_mov_b32 s48, 0
	s_delay_alu instid0(VALU_DEP_1) | instskip(NEXT) | instid1(VALU_DEP_1)
	v_lshl_or_b32 v34, v37, 8, v34
	v_add_nc_u32_e32 v46, v40, v34
	ds_load_b64 v[34:35], v46
.LBB235_38:                             ;   Parent Loop BB235_17 Depth=1
                                        ;     Parent Loop BB235_20 Depth=2
                                        ;       Parent Loop BB235_32 Depth=3
                                        ; =>      This Inner Loop Header: Depth=4
	s_waitcnt lgkmcnt(0)
	v_add_f64 v[47:48], v[34:35], v[30:31]
	ds_cmpstore_rtn_b64 v[47:48], v46, v[47:48], v[34:35]
	s_waitcnt lgkmcnt(0)
	v_cmp_eq_u64_e32 vcc_lo, v[47:48], v[34:35]
	v_dual_mov_b32 v34, v47 :: v_dual_mov_b32 v35, v48
	s_or_b32 s48, vcc_lo, s48
	s_delay_alu instid0(SALU_CYCLE_1)
	s_and_not1_b32 exec_lo, exec_lo, s48
	s_cbranch_execnz .LBB235_38
; %bb.39:                               ;   in Loop: Header=BB235_32 Depth=3
	s_or_b32 exec_lo, exec_lo, s48
	ds_load_b64 v[34:35], v46 offset:8
	s_mov_b32 s48, 0
.LBB235_40:                             ;   Parent Loop BB235_17 Depth=1
                                        ;     Parent Loop BB235_20 Depth=2
                                        ;       Parent Loop BB235_32 Depth=3
                                        ; =>      This Inner Loop Header: Depth=4
	s_waitcnt lgkmcnt(0)
	v_add_f64 v[47:48], v[34:35], v[32:33]
	ds_cmpstore_rtn_b64 v[47:48], v46, v[47:48], v[34:35] offset:8
	s_waitcnt lgkmcnt(0)
	v_cmp_eq_u64_e32 vcc_lo, v[47:48], v[34:35]
	v_dual_mov_b32 v34, v47 :: v_dual_mov_b32 v35, v48
	s_or_b32 s48, vcc_lo, s48
	s_delay_alu instid0(SALU_CYCLE_1)
	s_and_not1_b32 exec_lo, exec_lo, s48
	s_cbranch_execnz .LBB235_40
; %bb.41:                               ;   in Loop: Header=BB235_32 Depth=3
	s_or_b32 exec_lo, exec_lo, s48
	s_delay_alu instid0(SALU_CYCLE_1)
	s_xor_b32 s48, exec_lo, -1
.LBB235_42:                             ;   in Loop: Header=BB235_32 Depth=3
	s_or_b32 exec_lo, exec_lo, s47
	s_delay_alu instid0(SALU_CYCLE_1) | instskip(SKIP_1) | instid1(SALU_CYCLE_1)
	s_and_not1_b32 s35, s35, exec_lo
	s_and_b32 s47, s48, exec_lo
	s_or_b32 s35, s35, s47
.LBB235_43:                             ;   in Loop: Header=BB235_32 Depth=3
	s_or_b32 exec_lo, exec_lo, s46
	s_delay_alu instid0(SALU_CYCLE_1)
	s_and_b32 s35, s35, exec_lo
.LBB235_44:                             ;   in Loop: Header=BB235_32 Depth=3
	s_and_not1_saveexec_b32 s34, s34
	s_cbranch_execz .LBB235_31
; %bb.45:                               ;   in Loop: Header=BB235_32 Depth=3
	v_lshlrev_b32_e32 v34, 4, v45
	s_mov_b32 s46, 0
	s_delay_alu instid0(VALU_DEP_1) | instskip(NEXT) | instid1(VALU_DEP_1)
	v_lshl_or_b32 v34, v37, 8, v34
	v_add_nc_u32_e32 v46, v40, v34
	ds_load_b64 v[34:35], v46
.LBB235_46:                             ;   Parent Loop BB235_17 Depth=1
                                        ;     Parent Loop BB235_20 Depth=2
                                        ;       Parent Loop BB235_32 Depth=3
                                        ; =>      This Inner Loop Header: Depth=4
	s_waitcnt lgkmcnt(0)
	v_add_f64 v[47:48], v[34:35], v[30:31]
	ds_cmpstore_rtn_b64 v[47:48], v46, v[47:48], v[34:35]
	s_waitcnt lgkmcnt(0)
	v_cmp_eq_u64_e32 vcc_lo, v[47:48], v[34:35]
	v_dual_mov_b32 v34, v47 :: v_dual_mov_b32 v35, v48
	s_or_b32 s46, vcc_lo, s46
	s_delay_alu instid0(SALU_CYCLE_1)
	s_and_not1_b32 exec_lo, exec_lo, s46
	s_cbranch_execnz .LBB235_46
; %bb.47:                               ;   in Loop: Header=BB235_32 Depth=3
	s_or_b32 exec_lo, exec_lo, s46
	ds_load_b64 v[34:35], v46 offset:8
	s_mov_b32 s46, 0
.LBB235_48:                             ;   Parent Loop BB235_17 Depth=1
                                        ;     Parent Loop BB235_20 Depth=2
                                        ;       Parent Loop BB235_32 Depth=3
                                        ; =>      This Inner Loop Header: Depth=4
	s_waitcnt lgkmcnt(0)
	v_add_f64 v[47:48], v[34:35], v[32:33]
	ds_cmpstore_rtn_b64 v[47:48], v46, v[47:48], v[34:35] offset:8
	s_waitcnt lgkmcnt(0)
	v_cmp_eq_u64_e32 vcc_lo, v[47:48], v[34:35]
	v_dual_mov_b32 v34, v47 :: v_dual_mov_b32 v35, v48
	s_or_b32 s46, vcc_lo, s46
	s_delay_alu instid0(SALU_CYCLE_1)
	s_and_not1_b32 exec_lo, exec_lo, s46
	s_cbranch_execnz .LBB235_48
; %bb.49:                               ;   in Loop: Header=BB235_32 Depth=3
	s_or_b32 exec_lo, exec_lo, s46
	s_delay_alu instid0(SALU_CYCLE_1)
	s_and_not1_b32 s35, s35, exec_lo
	s_branch .LBB235_31
.LBB235_50:
	s_or_b32 exec_lo, exec_lo, s5
.LBB235_51:
	s_delay_alu instid0(SALU_CYCLE_1)
	s_and_not1_b32 vcc_lo, exec_lo, s14
	s_barrier
	buffer_gl0_inv
	s_cbranch_vccnz .LBB235_77
; %bb.52:
	v_add_co_u32 v0, vcc_lo, s16, v8
	v_add_co_ci_u32_e32 v1, vcc_lo, s17, v9, vcc_lo
	v_sub_co_u32 v2, s0, v41, s39
	s_delay_alu instid0(VALU_DEP_1)
	v_sub_co_ci_u32_e64 v3, null, 0, 0, s0
	global_load_b128 v[10:13], v[0:1], off
	s_mov_b32 s3, 0
	s_mov_b32 s1, exec_lo
	s_waitcnt vmcnt(0)
	v_sub_co_u32 v0, vcc_lo, v12, s39
	v_subrev_co_ci_u32_e32 v1, vcc_lo, 0, v13, vcc_lo
	v_add_co_u32 v2, vcc_lo, v10, v2
	v_add_co_ci_u32_e32 v3, vcc_lo, v11, v3, vcc_lo
	s_delay_alu instid0(VALU_DEP_1)
	v_cmpx_lt_i64_e64 v[2:3], v[0:1]
	s_cbranch_execz .LBB235_76
; %bb.53:
	v_mul_lo_u32 v10, v42, s7
	v_dual_mov_b32 v11, 0 :: v_dual_lshlrev_b32 v16, 4, v42
	v_lshlrev_b32_e32 v15, 4, v43
	v_max_i32_e32 v14, v42, v43
	s_cmp_eq_u32 s4, 0
	s_cselect_b32 s0, -1, 0
	s_delay_alu instid0(VALU_DEP_4) | instskip(SKIP_1) | instid1(VALU_DEP_2)
	v_lshlrev_b64 v[12:13], 4, v[10:11]
	v_mul_lo_u32 v10, v43, s7
	v_add_co_u32 v12, vcc_lo, s20, v12
	s_delay_alu instid0(VALU_DEP_3) | instskip(NEXT) | instid1(VALU_DEP_3)
	v_add_co_ci_u32_e32 v13, vcc_lo, s21, v13, vcc_lo
	v_lshlrev_b64 v[10:11], 4, v[10:11]
	s_delay_alu instid0(VALU_DEP_1) | instskip(NEXT) | instid1(VALU_DEP_2)
	v_add_co_u32 v10, vcc_lo, s20, v10
	v_add_co_ci_u32_e32 v11, vcc_lo, s21, v11, vcc_lo
	v_add_co_u32 v12, vcc_lo, v12, v15
	v_add_co_ci_u32_e32 v13, vcc_lo, 0, v13, vcc_lo
	s_delay_alu instid0(VALU_DEP_4) | instskip(NEXT) | instid1(VALU_DEP_4)
	v_add_co_u32 v10, vcc_lo, v10, v16
	v_add_co_ci_u32_e32 v11, vcc_lo, 0, v11, vcc_lo
	v_and_b32_e32 v15, 15, v44
	v_cmp_gt_i32_e32 vcc_lo, s7, v14
	s_delay_alu instid0(VALU_DEP_4) | instskip(NEXT) | instid1(VALU_DEP_4)
	v_cndmask_b32_e64 v17, v12, v10, s0
	v_cndmask_b32_e64 v16, v13, v11, s0
	s_delay_alu instid0(VALU_DEP_4)
	v_lshlrev_b32_e32 v18, 4, v15
	s_branch .LBB235_55
.LBB235_54:                             ;   in Loop: Header=BB235_55 Depth=1
	s_or_b32 exec_lo, exec_lo, s5
	v_add_co_u32 v2, s0, v2, 4
	s_delay_alu instid0(VALU_DEP_1) | instskip(NEXT) | instid1(VALU_DEP_1)
	v_add_co_ci_u32_e64 v3, s0, 0, v3, s0
	v_cmp_ge_i64_e64 s0, v[2:3], v[0:1]
	s_delay_alu instid0(VALU_DEP_1) | instskip(NEXT) | instid1(SALU_CYCLE_1)
	s_or_b32 s3, s0, s3
	s_and_not1_b32 exec_lo, exec_lo, s3
	s_cbranch_execz .LBB235_76
.LBB235_55:                             ; =>This Loop Header: Depth=1
                                        ;     Child Loop BB235_58 Depth 2
                                        ;       Child Loop BB235_64 Depth 3
                                        ;       Child Loop BB235_66 Depth 3
	;; [unrolled: 1-line block ×4, first 2 shown]
	s_and_saveexec_b32 s5, vcc_lo
	s_cbranch_execz .LBB235_54
; %bb.56:                               ;   in Loop: Header=BB235_55 Depth=1
	v_mad_u64_u32 v[10:11], null, v2, s2, 0
	s_mov_b32 s8, 0
	s_delay_alu instid0(VALU_DEP_1) | instskip(NEXT) | instid1(VALU_DEP_1)
	v_mad_u64_u32 v[12:13], null, v3, s2, v[11:12]
	v_mov_b32_e32 v11, v12
	s_delay_alu instid0(VALU_DEP_1) | instskip(NEXT) | instid1(VALU_DEP_1)
	v_lshlrev_b64 v[10:11], 4, v[10:11]
	v_add_co_u32 v10, s0, v17, v10
	s_delay_alu instid0(VALU_DEP_1) | instskip(SKIP_2) | instid1(VALU_DEP_1)
	v_add_co_ci_u32_e64 v11, s0, v16, v11, s0
	global_load_b128 v[12:15], v[10:11], off
	v_lshlrev_b64 v[10:11], 2, v[2:3]
	v_add_co_u32 v10, s0, s18, v10
	s_delay_alu instid0(VALU_DEP_1)
	v_add_co_ci_u32_e64 v11, s0, s19, v11, s0
	global_load_b32 v19, v[10:11], off
	s_waitcnt vmcnt(1)
	v_mul_f64 v[10:11], v[14:15], -v[4:5]
	v_mul_f64 v[14:15], v[6:7], v[14:15]
	s_waitcnt vmcnt(0)
	v_subrev_nc_u32_e32 v19, s39, v19
	s_delay_alu instid0(VALU_DEP_3) | instskip(NEXT) | instid1(VALU_DEP_3)
	v_fma_f64 v[10:11], v[6:7], v[12:13], v[10:11]
	v_fma_f64 v[12:13], v[4:5], v[12:13], v[14:15]
	s_delay_alu instid0(VALU_DEP_3) | instskip(NEXT) | instid1(VALU_DEP_1)
	v_lshl_add_u32 v14, v19, 3, v19
	v_and_b32_e32 v20, 15, v14
	s_branch .LBB235_58
.LBB235_57:                             ;   in Loop: Header=BB235_58 Depth=2
	s_or_b32 exec_lo, exec_lo, s9
	s_xor_b32 s0, s10, -1
	s_delay_alu instid0(SALU_CYCLE_1) | instskip(NEXT) | instid1(SALU_CYCLE_1)
	s_and_b32 s0, exec_lo, s0
	s_or_b32 s8, s0, s8
	s_delay_alu instid0(SALU_CYCLE_1)
	s_and_not1_b32 exec_lo, exec_lo, s8
	s_cbranch_execz .LBB235_54
.LBB235_58:                             ;   Parent Loop BB235_55 Depth=1
                                        ; =>  This Loop Header: Depth=2
                                        ;       Child Loop BB235_64 Depth 3
                                        ;       Child Loop BB235_66 Depth 3
	;; [unrolled: 1-line block ×4, first 2 shown]
	s_delay_alu instid0(VALU_DEP_1)
	v_lshl_add_u32 v14, v20, 2, v38
	s_mov_b32 s9, exec_lo
                                        ; implicit-def: $sgpr10
	ds_load_b32 v15, v14
	s_waitcnt lgkmcnt(0)
	v_cmpx_ne_u32_e64 v15, v19
	s_xor_b32 s9, exec_lo, s9
	s_cbranch_execz .LBB235_70
; %bb.59:                               ;   in Loop: Header=BB235_58 Depth=2
	v_cmp_ne_u32_e64 s0, s6, v15
                                        ; implicit-def: $sgpr10
	s_delay_alu instid0(VALU_DEP_1) | instskip(NEXT) | instid1(SALU_CYCLE_1)
	s_and_saveexec_b32 s11, s0
	s_xor_b32 s0, exec_lo, s11
; %bb.60:                               ;   in Loop: Header=BB235_58 Depth=2
	v_add_nc_u32_e32 v14, 1, v20
	s_mov_b32 s10, -1
	s_delay_alu instid0(VALU_DEP_1)
	v_and_b32_e32 v20, 15, v14
                                        ; implicit-def: $vgpr14
; %bb.61:                               ;   in Loop: Header=BB235_58 Depth=2
	s_and_not1_saveexec_b32 s11, s0
	s_cbranch_execz .LBB235_69
; %bb.62:                               ;   in Loop: Header=BB235_58 Depth=2
	v_mov_b32_e32 v15, s6
	s_mov_b32 s13, -1
	s_mov_b32 s12, exec_lo
	ds_cmpstore_rtn_b32 v14, v14, v19, v15
	s_waitcnt lgkmcnt(0)
	v_cmpx_eq_u32_e64 s6, v14
	s_cbranch_execz .LBB235_68
; %bb.63:                               ;   in Loop: Header=BB235_58 Depth=2
	v_lshl_or_b32 v14, v20, 8, v18
	s_mov_b32 s13, 0
	s_delay_alu instid0(VALU_DEP_1)
	v_add_nc_u32_e32 v21, v40, v14
	ds_load_b64 v[14:15], v21
.LBB235_64:                             ;   Parent Loop BB235_55 Depth=1
                                        ;     Parent Loop BB235_58 Depth=2
                                        ; =>    This Inner Loop Header: Depth=3
	s_waitcnt lgkmcnt(0)
	v_add_f64 v[22:23], v[14:15], v[10:11]
	ds_cmpstore_rtn_b64 v[22:23], v21, v[22:23], v[14:15]
	s_waitcnt lgkmcnt(0)
	v_cmp_eq_u64_e64 s0, v[22:23], v[14:15]
	v_dual_mov_b32 v14, v22 :: v_dual_mov_b32 v15, v23
	s_delay_alu instid0(VALU_DEP_2) | instskip(NEXT) | instid1(SALU_CYCLE_1)
	s_or_b32 s13, s0, s13
	s_and_not1_b32 exec_lo, exec_lo, s13
	s_cbranch_execnz .LBB235_64
; %bb.65:                               ;   in Loop: Header=BB235_58 Depth=2
	s_or_b32 exec_lo, exec_lo, s13
	ds_load_b64 v[14:15], v21 offset:8
	s_mov_b32 s13, 0
.LBB235_66:                             ;   Parent Loop BB235_55 Depth=1
                                        ;     Parent Loop BB235_58 Depth=2
                                        ; =>    This Inner Loop Header: Depth=3
	s_waitcnt lgkmcnt(0)
	v_add_f64 v[22:23], v[14:15], v[12:13]
	ds_cmpstore_rtn_b64 v[22:23], v21, v[22:23], v[14:15] offset:8
	s_waitcnt lgkmcnt(0)
	v_cmp_eq_u64_e64 s0, v[22:23], v[14:15]
	v_dual_mov_b32 v14, v22 :: v_dual_mov_b32 v15, v23
	s_delay_alu instid0(VALU_DEP_2) | instskip(NEXT) | instid1(SALU_CYCLE_1)
	s_or_b32 s13, s0, s13
	s_and_not1_b32 exec_lo, exec_lo, s13
	s_cbranch_execnz .LBB235_66
; %bb.67:                               ;   in Loop: Header=BB235_58 Depth=2
	s_or_b32 exec_lo, exec_lo, s13
	s_delay_alu instid0(SALU_CYCLE_1)
	s_xor_b32 s13, exec_lo, -1
.LBB235_68:                             ;   in Loop: Header=BB235_58 Depth=2
	s_or_b32 exec_lo, exec_lo, s12
	s_delay_alu instid0(SALU_CYCLE_1) | instskip(SKIP_1) | instid1(SALU_CYCLE_1)
	s_and_not1_b32 s0, s10, exec_lo
	s_and_b32 s10, s13, exec_lo
	s_or_b32 s10, s0, s10
.LBB235_69:                             ;   in Loop: Header=BB235_58 Depth=2
	s_or_b32 exec_lo, exec_lo, s11
	s_delay_alu instid0(SALU_CYCLE_1)
	s_and_b32 s10, s10, exec_lo
.LBB235_70:                             ;   in Loop: Header=BB235_58 Depth=2
	s_and_not1_saveexec_b32 s9, s9
	s_cbranch_execz .LBB235_57
; %bb.71:                               ;   in Loop: Header=BB235_58 Depth=2
	v_lshl_or_b32 v14, v20, 8, v18
	s_mov_b32 s11, 0
	s_delay_alu instid0(VALU_DEP_1)
	v_add_nc_u32_e32 v21, v40, v14
	ds_load_b64 v[14:15], v21
.LBB235_72:                             ;   Parent Loop BB235_55 Depth=1
                                        ;     Parent Loop BB235_58 Depth=2
                                        ; =>    This Inner Loop Header: Depth=3
	s_waitcnt lgkmcnt(0)
	v_add_f64 v[22:23], v[14:15], v[10:11]
	ds_cmpstore_rtn_b64 v[22:23], v21, v[22:23], v[14:15]
	s_waitcnt lgkmcnt(0)
	v_cmp_eq_u64_e64 s0, v[22:23], v[14:15]
	v_dual_mov_b32 v14, v22 :: v_dual_mov_b32 v15, v23
	s_delay_alu instid0(VALU_DEP_2) | instskip(NEXT) | instid1(SALU_CYCLE_1)
	s_or_b32 s11, s0, s11
	s_and_not1_b32 exec_lo, exec_lo, s11
	s_cbranch_execnz .LBB235_72
; %bb.73:                               ;   in Loop: Header=BB235_58 Depth=2
	s_or_b32 exec_lo, exec_lo, s11
	ds_load_b64 v[14:15], v21 offset:8
	s_mov_b32 s11, 0
.LBB235_74:                             ;   Parent Loop BB235_55 Depth=1
                                        ;     Parent Loop BB235_58 Depth=2
                                        ; =>    This Inner Loop Header: Depth=3
	s_waitcnt lgkmcnt(0)
	v_add_f64 v[22:23], v[14:15], v[12:13]
	ds_cmpstore_rtn_b64 v[22:23], v21, v[22:23], v[14:15] offset:8
	s_waitcnt lgkmcnt(0)
	v_cmp_eq_u64_e64 s0, v[22:23], v[14:15]
	v_dual_mov_b32 v14, v22 :: v_dual_mov_b32 v15, v23
	s_delay_alu instid0(VALU_DEP_2) | instskip(NEXT) | instid1(SALU_CYCLE_1)
	s_or_b32 s11, s0, s11
	s_and_not1_b32 exec_lo, exec_lo, s11
	s_cbranch_execnz .LBB235_74
; %bb.75:                               ;   in Loop: Header=BB235_58 Depth=2
	s_or_b32 exec_lo, exec_lo, s11
	s_delay_alu instid0(SALU_CYCLE_1)
	s_and_not1_b32 s10, s10, exec_lo
	s_branch .LBB235_57
.LBB235_76:
	s_or_b32 exec_lo, exec_lo, s1
.LBB235_77:
	v_add_co_u32 v0, vcc_lo, s22, v8
	v_add_co_ci_u32_e32 v1, vcc_lo, s23, v9, vcc_lo
	s_barrier
	buffer_gl0_inv
	global_load_b64 v[0:1], v[0:1], off
	s_cmp_eq_u32 s4, 0
	v_mul_lo_u32 v3, v43, s7
	s_cselect_b32 vcc_lo, -1, 0
	v_dual_mov_b32 v4, 0 :: v_dual_lshlrev_b32 v9, 6, v39
	v_dual_cndmask_b32 v5, v42, v43 :: v_dual_cndmask_b32 v6, v43, v42
	v_lshlrev_b32_e32 v8, 4, v42
	v_max_i32_e32 v7, v42, v43
	s_delay_alu instid0(VALU_DEP_4)
	v_lshlrev_b64 v[3:4], 4, v[3:4]
	v_lshlrev_b32_e32 v10, 2, v41
	v_lshlrev_b32_e32 v6, 4, v6
	v_or_b32_e32 v2, -4, v41
	v_cmp_gt_i32_e32 vcc_lo, s7, v7
	s_mov_b32 s1, 0
	v_add_co_u32 v3, s0, s42, v3
	v_lshl_or_b32 v6, v41, 8, v6
	v_add_co_ci_u32_e64 v4, s0, s43, v4, s0
	s_delay_alu instid0(VALU_DEP_3) | instskip(NEXT) | instid1(VALU_DEP_3)
	v_add_co_u32 v3, s0, v3, v8
	v_lshl_or_b32 v5, v5, 6, v6
	s_delay_alu instid0(VALU_DEP_3) | instskip(SKIP_1) | instid1(VALU_DEP_3)
	v_add_co_ci_u32_e64 v4, s0, 0, v4, s0
	v_or3_b32 v8, v9, v10, 0x4000
	v_add_nc_u32_e32 v5, v40, v5
	s_waitcnt vmcnt(0)
	v_sub_co_u32 v6, s0, v0, s38
	s_delay_alu instid0(VALU_DEP_1)
	v_subrev_co_ci_u32_e64 v7, s0, 0, v1, s0
	s_branch .LBB235_79
.LBB235_78:                             ;   in Loop: Header=BB235_79 Depth=1
	s_or_b32 exec_lo, exec_lo, s3
	v_add_nc_u32_e32 v2, 4, v2
	v_add_nc_u32_e32 v5, 0x400, v5
	;; [unrolled: 1-line block ×3, first 2 shown]
	s_delay_alu instid0(VALU_DEP_3) | instskip(NEXT) | instid1(VALU_DEP_1)
	v_cmp_lt_u32_e64 s0, 11, v2
	s_or_b32 s1, s0, s1
	s_delay_alu instid0(SALU_CYCLE_1)
	s_and_not1_b32 exec_lo, exec_lo, s1
	s_cbranch_execz .LBB235_82
.LBB235_79:                             ; =>This Inner Loop Header: Depth=1
	ds_load_b32 v9, v8
	s_mov_b32 s3, exec_lo
	s_waitcnt lgkmcnt(0)
	v_cmpx_gt_i32_e64 s6, v9
	s_cbranch_execz .LBB235_78
; %bb.80:                               ;   in Loop: Header=BB235_79 Depth=1
	ds_load_b128 v[10:13], v38
	ds_load_b128 v[14:17], v38 offset:16
	ds_load_b128 v[18:21], v38 offset:32
	;; [unrolled: 1-line block ×3, first 2 shown]
	s_waitcnt lgkmcnt(3)
	v_cmp_gt_i32_e64 s0, v9, v10
	s_delay_alu instid0(VALU_DEP_1) | instskip(SKIP_1) | instid1(VALU_DEP_1)
	v_cndmask_b32_e64 v0, 0, 1, s0
	v_cmp_gt_i32_e64 s0, v9, v11
	v_cndmask_b32_e64 v1, 0, 1, s0
	s_delay_alu instid0(VALU_DEP_3) | instskip(NEXT) | instid1(VALU_DEP_1)
	v_add_co_u32 v0, s0, v6, v0
	v_add_co_ci_u32_e64 v10, s0, 0, v7, s0
	v_cmp_gt_i32_e64 s0, v9, v12
	v_add_nc_u32_e32 v12, s38, v9
	s_delay_alu instid0(VALU_DEP_2) | instskip(SKIP_1) | instid1(VALU_DEP_1)
	v_cndmask_b32_e64 v11, 0, 1, s0
	v_add_co_u32 v0, s0, v0, v1
	v_add_co_ci_u32_e64 v1, s0, 0, v10, s0
	v_cmp_gt_i32_e64 s0, v9, v13
	s_delay_alu instid0(VALU_DEP_1) | instskip(NEXT) | instid1(VALU_DEP_4)
	v_cndmask_b32_e64 v10, 0, 1, s0
	v_add_co_u32 v0, s0, v0, v11
	s_delay_alu instid0(VALU_DEP_1) | instskip(SKIP_2) | instid1(VALU_DEP_1)
	v_add_co_ci_u32_e64 v1, s0, 0, v1, s0
	s_waitcnt lgkmcnt(2)
	v_cmp_gt_i32_e64 s0, v9, v14
	v_cndmask_b32_e64 v11, 0, 1, s0
	v_add_co_u32 v0, s0, v0, v10
	s_delay_alu instid0(VALU_DEP_1) | instskip(SKIP_1) | instid1(VALU_DEP_1)
	v_add_co_ci_u32_e64 v1, s0, 0, v1, s0
	v_cmp_gt_i32_e64 s0, v9, v15
	v_cndmask_b32_e64 v10, 0, 1, s0
	s_delay_alu instid0(VALU_DEP_4) | instskip(NEXT) | instid1(VALU_DEP_1)
	v_add_co_u32 v0, s0, v0, v11
	v_add_co_ci_u32_e64 v1, s0, 0, v1, s0
	v_cmp_gt_i32_e64 s0, v9, v16
	s_delay_alu instid0(VALU_DEP_1) | instskip(NEXT) | instid1(VALU_DEP_4)
	v_cndmask_b32_e64 v11, 0, 1, s0
	v_add_co_u32 v0, s0, v0, v10
	s_delay_alu instid0(VALU_DEP_1) | instskip(SKIP_1) | instid1(VALU_DEP_1)
	v_add_co_ci_u32_e64 v1, s0, 0, v1, s0
	v_cmp_gt_i32_e64 s0, v9, v17
	v_cndmask_b32_e64 v10, 0, 1, s0
	s_delay_alu instid0(VALU_DEP_4) | instskip(NEXT) | instid1(VALU_DEP_1)
	v_add_co_u32 v0, s0, v0, v11
	v_add_co_ci_u32_e64 v1, s0, 0, v1, s0
	s_waitcnt lgkmcnt(1)
	v_cmp_gt_i32_e64 s0, v9, v18
	s_delay_alu instid0(VALU_DEP_1) | instskip(SKIP_1) | instid1(VALU_DEP_1)
	v_cndmask_b32_e64 v11, 0, 1, s0
	v_add_co_u32 v0, s0, v0, v10
	v_add_co_ci_u32_e64 v1, s0, 0, v1, s0
	v_cmp_gt_i32_e64 s0, v9, v19
	s_delay_alu instid0(VALU_DEP_1) | instskip(NEXT) | instid1(VALU_DEP_4)
	v_cndmask_b32_e64 v10, 0, 1, s0
	v_add_co_u32 v0, s0, v0, v11
	s_delay_alu instid0(VALU_DEP_1) | instskip(SKIP_1) | instid1(VALU_DEP_1)
	v_add_co_ci_u32_e64 v1, s0, 0, v1, s0
	v_cmp_gt_i32_e64 s0, v9, v20
	v_cndmask_b32_e64 v11, 0, 1, s0
	s_delay_alu instid0(VALU_DEP_4) | instskip(NEXT) | instid1(VALU_DEP_1)
	v_add_co_u32 v0, s0, v0, v10
	v_add_co_ci_u32_e64 v1, s0, 0, v1, s0
	v_cmp_gt_i32_e64 s0, v9, v21
	s_delay_alu instid0(VALU_DEP_1) | instskip(NEXT) | instid1(VALU_DEP_4)
	v_cndmask_b32_e64 v10, 0, 1, s0
	v_add_co_u32 v0, s0, v0, v11
	s_delay_alu instid0(VALU_DEP_1) | instskip(SKIP_2) | instid1(VALU_DEP_1)
	v_add_co_ci_u32_e64 v1, s0, 0, v1, s0
	s_waitcnt lgkmcnt(0)
	v_cmp_gt_i32_e64 s0, v9, v22
	v_cndmask_b32_e64 v11, 0, 1, s0
	v_add_co_u32 v0, s0, v0, v10
	s_delay_alu instid0(VALU_DEP_1) | instskip(SKIP_1) | instid1(VALU_DEP_1)
	v_add_co_ci_u32_e64 v1, s0, 0, v1, s0
	v_cmp_gt_i32_e64 s0, v9, v23
	v_cndmask_b32_e64 v10, 0, 1, s0
	s_delay_alu instid0(VALU_DEP_4) | instskip(NEXT) | instid1(VALU_DEP_1)
	v_add_co_u32 v0, s0, v0, v11
	v_add_co_ci_u32_e64 v1, s0, 0, v1, s0
	v_cmp_gt_i32_e64 s0, v9, v24
	s_delay_alu instid0(VALU_DEP_1) | instskip(NEXT) | instid1(VALU_DEP_4)
	v_cndmask_b32_e64 v11, 0, 1, s0
	v_add_co_u32 v0, s0, v0, v10
	s_delay_alu instid0(VALU_DEP_1) | instskip(SKIP_1) | instid1(VALU_DEP_1)
	v_add_co_ci_u32_e64 v1, s0, 0, v1, s0
	v_cmp_gt_i32_e64 s0, v9, v25
	v_cndmask_b32_e64 v10, 0, 1, s0
	s_delay_alu instid0(VALU_DEP_4) | instskip(NEXT) | instid1(VALU_DEP_1)
	v_add_co_u32 v0, s0, v0, v11
	v_add_co_ci_u32_e64 v1, s0, 0, v1, s0
	s_delay_alu instid0(VALU_DEP_2) | instskip(NEXT) | instid1(VALU_DEP_1)
	v_add_co_u32 v0, s0, v0, v10
	v_add_co_ci_u32_e64 v1, s0, 0, v1, s0
	s_delay_alu instid0(VALU_DEP_1) | instskip(NEXT) | instid1(VALU_DEP_1)
	v_lshlrev_b64 v[10:11], 2, v[0:1]
	v_add_co_u32 v9, s0, s40, v10
	s_delay_alu instid0(VALU_DEP_1)
	v_add_co_ci_u32_e64 v10, s0, s41, v11, s0
	global_store_b32 v[9:10], v12, off
	s_and_b32 exec_lo, exec_lo, vcc_lo
	s_cbranch_execz .LBB235_78
; %bb.81:                               ;   in Loop: Header=BB235_79 Depth=1
	v_mad_u64_u32 v[13:14], null, v0, s2, 0
	ds_load_2addr_b64 v[9:12], v5 offset1:1
	v_mov_b32_e32 v0, v14
	s_delay_alu instid0(VALU_DEP_1) | instskip(NEXT) | instid1(VALU_DEP_1)
	v_mad_u64_u32 v[14:15], null, v1, s2, v[0:1]
	v_lshlrev_b64 v[0:1], 4, v[13:14]
	s_delay_alu instid0(VALU_DEP_1) | instskip(NEXT) | instid1(VALU_DEP_1)
	v_add_co_u32 v0, s0, v3, v0
	v_add_co_ci_u32_e64 v1, s0, v4, v1, s0
	s_waitcnt lgkmcnt(0)
	global_store_b128 v[0:1], v[9:12], off
	s_branch .LBB235_78
.LBB235_82:
	s_nop 0
	s_sendmsg sendmsg(MSG_DEALLOC_VGPRS)
	s_endpgm
	.section	.rodata,"a",@progbits
	.p2align	6, 0x0
	.amdhsa_kernel _ZN9rocsparseL23bsrgemm_fill_wf_per_rowILj256ELj64ELj16ELj137ELj4Eli21rocsparse_complex_numIdEEEv20rocsparse_direction_T5_S4_S4_PKS4_S6_NS_24const_host_device_scalarIT6_EEPKT4_S6_PKS8_SC_S6_SE_S9_SC_S6_SE_SC_PS4_PS8_21rocsparse_index_base_SH_SH_SH_bbb
		.amdhsa_group_segment_fixed_size 18688
		.amdhsa_private_segment_fixed_size 16
		.amdhsa_kernarg_size 180
		.amdhsa_user_sgpr_count 15
		.amdhsa_user_sgpr_dispatch_ptr 1
		.amdhsa_user_sgpr_queue_ptr 0
		.amdhsa_user_sgpr_kernarg_segment_ptr 1
		.amdhsa_user_sgpr_dispatch_id 0
		.amdhsa_user_sgpr_private_segment_size 0
		.amdhsa_wavefront_size32 1
		.amdhsa_uses_dynamic_stack 0
		.amdhsa_enable_private_segment 1
		.amdhsa_system_sgpr_workgroup_id_x 1
		.amdhsa_system_sgpr_workgroup_id_y 0
		.amdhsa_system_sgpr_workgroup_id_z 0
		.amdhsa_system_sgpr_workgroup_info 0
		.amdhsa_system_vgpr_workitem_id 2
		.amdhsa_next_free_vgpr 55
		.amdhsa_next_free_sgpr 49
		.amdhsa_reserve_vcc 1
		.amdhsa_float_round_mode_32 0
		.amdhsa_float_round_mode_16_64 0
		.amdhsa_float_denorm_mode_32 3
		.amdhsa_float_denorm_mode_16_64 3
		.amdhsa_dx10_clamp 1
		.amdhsa_ieee_mode 1
		.amdhsa_fp16_overflow 0
		.amdhsa_workgroup_processor_mode 1
		.amdhsa_memory_ordered 1
		.amdhsa_forward_progress 0
		.amdhsa_shared_vgpr_count 0
		.amdhsa_exception_fp_ieee_invalid_op 0
		.amdhsa_exception_fp_denorm_src 0
		.amdhsa_exception_fp_ieee_div_zero 0
		.amdhsa_exception_fp_ieee_overflow 0
		.amdhsa_exception_fp_ieee_underflow 0
		.amdhsa_exception_fp_ieee_inexact 0
		.amdhsa_exception_int_div_zero 0
	.end_amdhsa_kernel
	.section	.text._ZN9rocsparseL23bsrgemm_fill_wf_per_rowILj256ELj64ELj16ELj137ELj4Eli21rocsparse_complex_numIdEEEv20rocsparse_direction_T5_S4_S4_PKS4_S6_NS_24const_host_device_scalarIT6_EEPKT4_S6_PKS8_SC_S6_SE_S9_SC_S6_SE_SC_PS4_PS8_21rocsparse_index_base_SH_SH_SH_bbb,"axG",@progbits,_ZN9rocsparseL23bsrgemm_fill_wf_per_rowILj256ELj64ELj16ELj137ELj4Eli21rocsparse_complex_numIdEEEv20rocsparse_direction_T5_S4_S4_PKS4_S6_NS_24const_host_device_scalarIT6_EEPKT4_S6_PKS8_SC_S6_SE_S9_SC_S6_SE_SC_PS4_PS8_21rocsparse_index_base_SH_SH_SH_bbb,comdat
.Lfunc_end235:
	.size	_ZN9rocsparseL23bsrgemm_fill_wf_per_rowILj256ELj64ELj16ELj137ELj4Eli21rocsparse_complex_numIdEEEv20rocsparse_direction_T5_S4_S4_PKS4_S6_NS_24const_host_device_scalarIT6_EEPKT4_S6_PKS8_SC_S6_SE_S9_SC_S6_SE_SC_PS4_PS8_21rocsparse_index_base_SH_SH_SH_bbb, .Lfunc_end235-_ZN9rocsparseL23bsrgemm_fill_wf_per_rowILj256ELj64ELj16ELj137ELj4Eli21rocsparse_complex_numIdEEEv20rocsparse_direction_T5_S4_S4_PKS4_S6_NS_24const_host_device_scalarIT6_EEPKT4_S6_PKS8_SC_S6_SE_S9_SC_S6_SE_SC_PS4_PS8_21rocsparse_index_base_SH_SH_SH_bbb
                                        ; -- End function
	.section	.AMDGPU.csdata,"",@progbits
; Kernel info:
; codeLenInByte = 4584
; NumSgprs: 51
; NumVgprs: 55
; ScratchSize: 16
; MemoryBound: 0
; FloatMode: 240
; IeeeMode: 1
; LDSByteSize: 18688 bytes/workgroup (compile time only)
; SGPRBlocks: 6
; VGPRBlocks: 6
; NumSGPRsForWavesPerEU: 51
; NumVGPRsForWavesPerEU: 55
; Occupancy: 14
; WaveLimiterHint : 1
; COMPUTE_PGM_RSRC2:SCRATCH_EN: 1
; COMPUTE_PGM_RSRC2:USER_SGPR: 15
; COMPUTE_PGM_RSRC2:TRAP_HANDLER: 0
; COMPUTE_PGM_RSRC2:TGID_X_EN: 1
; COMPUTE_PGM_RSRC2:TGID_Y_EN: 0
; COMPUTE_PGM_RSRC2:TGID_Z_EN: 0
; COMPUTE_PGM_RSRC2:TIDIG_COMP_CNT: 2
	.section	.text._ZN9rocsparseL38bsrgemm_block_per_row_atomic_multipassILj256ELj32ELj4Eli21rocsparse_complex_numIdEEEv20rocsparse_direction_T3_S4_PKS4_S6_NS_24const_host_device_scalarIT4_EEPKT2_S6_PKS8_SC_S6_SE_S9_SC_S6_SE_SC_PS4_PS8_PSA_21rocsparse_index_base_SI_SI_SI_bbb,"axG",@progbits,_ZN9rocsparseL38bsrgemm_block_per_row_atomic_multipassILj256ELj32ELj4Eli21rocsparse_complex_numIdEEEv20rocsparse_direction_T3_S4_PKS4_S6_NS_24const_host_device_scalarIT4_EEPKT2_S6_PKS8_SC_S6_SE_S9_SC_S6_SE_SC_PS4_PS8_PSA_21rocsparse_index_base_SI_SI_SI_bbb,comdat
	.globl	_ZN9rocsparseL38bsrgemm_block_per_row_atomic_multipassILj256ELj32ELj4Eli21rocsparse_complex_numIdEEEv20rocsparse_direction_T3_S4_PKS4_S6_NS_24const_host_device_scalarIT4_EEPKT2_S6_PKS8_SC_S6_SE_S9_SC_S6_SE_SC_PS4_PS8_PSA_21rocsparse_index_base_SI_SI_SI_bbb ; -- Begin function _ZN9rocsparseL38bsrgemm_block_per_row_atomic_multipassILj256ELj32ELj4Eli21rocsparse_complex_numIdEEEv20rocsparse_direction_T3_S4_PKS4_S6_NS_24const_host_device_scalarIT4_EEPKT2_S6_PKS8_SC_S6_SE_S9_SC_S6_SE_SC_PS4_PS8_PSA_21rocsparse_index_base_SI_SI_SI_bbb
	.p2align	8
	.type	_ZN9rocsparseL38bsrgemm_block_per_row_atomic_multipassILj256ELj32ELj4Eli21rocsparse_complex_numIdEEEv20rocsparse_direction_T3_S4_PKS4_S6_NS_24const_host_device_scalarIT4_EEPKT2_S6_PKS8_SC_S6_SE_S9_SC_S6_SE_SC_PS4_PS8_PSA_21rocsparse_index_base_SI_SI_SI_bbb,@function
_ZN9rocsparseL38bsrgemm_block_per_row_atomic_multipassILj256ELj32ELj4Eli21rocsparse_complex_numIdEEEv20rocsparse_direction_T3_S4_PKS4_S6_NS_24const_host_device_scalarIT4_EEPKT2_S6_PKS8_SC_S6_SE_S9_SC_S6_SE_SC_PS4_PS8_PSA_21rocsparse_index_base_SI_SI_SI_bbb: ; @_ZN9rocsparseL38bsrgemm_block_per_row_atomic_multipassILj256ELj32ELj4Eli21rocsparse_complex_numIdEEEv20rocsparse_direction_T3_S4_PKS4_S6_NS_24const_host_device_scalarIT4_EEPKT2_S6_PKS8_SC_S6_SE_S9_SC_S6_SE_SC_PS4_PS8_PSA_21rocsparse_index_base_SI_SI_SI_bbb
; %bb.0:
	s_mov_b32 s50, s15
	s_load_b32 s12, s[2:3], 0xb8
	s_load_b64 s[14:15], s[0:1], 0x4
	s_clause 0x1
	s_load_b128 s[8:11], s[2:3], 0x20
	s_load_b128 s[4:7], s[2:3], 0x60
	v_dual_mov_b32 v10, 0 :: v_dual_and_b32 v1, 0x3ff, v0
	s_load_b128 s[28:31], s[2:3], 0xa8
	v_bfe_u32 v3, v0, 10, 10
	v_bfe_u32 v0, v0, 20, 10
	v_mov_b32_e32 v11, 0
	s_waitcnt lgkmcnt(0)
	s_bitcmp1_b32 s12, 0
	s_cselect_b32 s54, -1, 0
	s_bitcmp1_b32 s12, 16
	s_cselect_b32 s0, -1, 0
	s_lshr_b32 s1, s14, 16
	s_delay_alu instid0(SALU_CYCLE_1) | instskip(NEXT) | instid1(SALU_CYCLE_1)
	s_mul_i32 s1, s1, s15
	v_mul_lo_u32 v2, s1, v1
	s_xor_b32 s1, s0, -1
	s_bitcmp0_b32 s12, 0
	v_cndmask_b32_e64 v6, 0, 1, s1
	s_delay_alu instid0(VALU_DEP_1) | instskip(NEXT) | instid1(VALU_DEP_3)
	v_cmp_ne_u32_e32 vcc_lo, 1, v6
	v_mad_u32_u24 v4, v3, s15, v2
	v_dual_mov_b32 v2, s8 :: v_dual_mov_b32 v3, s9
	v_dual_mov_b32 v8, v10 :: v_dual_mov_b32 v9, v11
	s_delay_alu instid0(VALU_DEP_3)
	v_add_lshl_u32 v0, v4, v0, 3
	v_dual_mov_b32 v4, s4 :: v_dual_mov_b32 v13, v11
	v_dual_mov_b32 v12, v10 :: v_dual_mov_b32 v5, s5
	ds_store_b64 v0, v[2:3] offset:12424
	scratch_store_b64 off, v[4:5], off
	s_cbranch_scc1 .LBB236_3
; %bb.1:
	s_mov_b64 s[14:15], src_shared_base
	s_and_b32 s13, s0, exec_lo
	s_cselect_b32 s13, s15, s9
	s_delay_alu instid0(SALU_CYCLE_1) | instskip(SKIP_2) | instid1(VALU_DEP_2)
	v_dual_mov_b32 v3, s13 :: v_dual_add_nc_u32 v0, 0x3088, v0
	v_dual_mov_b32 v13, s11 :: v_dual_mov_b32 v12, s10
	s_and_b32 vcc_lo, exec_lo, vcc_lo
	v_cndmask_b32_e64 v2, s8, v0, s0
	flat_load_b64 v[8:9], v[2:3]
	s_cbranch_vccnz .LBB236_3
; %bb.2:
	v_dual_mov_b32 v2, s8 :: v_dual_mov_b32 v3, s9
	flat_load_b64 v[12:13], v[2:3] offset:8
.LBB236_3:
	s_load_b64 s[8:9], s[2:3], 0x18
	s_bitcmp1_b32 s12, 8
	v_dual_mov_b32 v15, v11 :: v_dual_mov_b32 v14, v10
	s_cselect_b32 s33, -1, 0
	s_bfe_u32 s10, s12, 0x10008
	s_delay_alu instid0(SALU_CYCLE_1)
	s_cmp_eq_u32 s10, 0
	s_cbranch_scc1 .LBB236_6
; %bb.4:
	s_mov_b64 s[10:11], src_private_base
	s_and_b32 s10, s0, exec_lo
	s_cselect_b32 s10, s11, s5
	s_delay_alu instid0(SALU_CYCLE_1) | instskip(SKIP_2) | instid1(VALU_DEP_2)
	v_dual_mov_b32 v0, 0 :: v_dual_mov_b32 v3, s10
	v_dual_mov_b32 v11, s7 :: v_dual_mov_b32 v10, s6
	s_and_not1_b32 vcc_lo, exec_lo, s1
	v_cndmask_b32_e64 v2, s4, v0, s0
	flat_load_b64 v[14:15], v[2:3]
	s_cbranch_vccnz .LBB236_6
; %bb.5:
	v_dual_mov_b32 v2, s4 :: v_dual_mov_b32 v3, s5
	flat_load_b64 v[10:11], v[2:3] offset:8
.LBB236_6:
	s_load_b64 s[0:1], s[2:3], 0x30
	s_waitcnt lgkmcnt(0)
	s_cmp_eq_u64 s[8:9], 0
	s_cbranch_scc1 .LBB236_8
; %bb.7:
	s_load_b64 s[4:5], s[2:3], 0x10
	s_waitcnt lgkmcnt(0)
	s_load_b32 s4, s[4:5], 0x0
	s_mov_b32 s5, 0
	s_waitcnt lgkmcnt(0)
	s_add_i32 s4, s4, s50
	s_delay_alu instid0(SALU_CYCLE_1) | instskip(NEXT) | instid1(SALU_CYCLE_1)
	s_lshl_b64 s[4:5], s[4:5], 2
	s_add_u32 s4, s8, s4
	s_addc_u32 s5, s9, s5
	s_load_b32 s50, s[4:5], 0x0
.LBB236_8:
	s_mov_b64 s[34:35], 0
	s_and_not1_b32 vcc_lo, exec_lo, s54
	s_mov_b64 s[44:45], 0
	s_cbranch_vccz .LBB236_11
; %bb.9:
	s_and_not1_b32 vcc_lo, exec_lo, s54
	s_cbranch_vccz .LBB236_12
.LBB236_10:
	s_load_b128 s[36:39], s[2:3], 0x0
	s_waitcnt lgkmcnt(0)
	s_cmp_lt_i32 s37, 1
	s_cbranch_scc0 .LBB236_13
	s_branch .LBB236_100
.LBB236_11:
	s_waitcnt lgkmcnt(0)
	s_ashr_i32 s51, s50, 31
	s_delay_alu instid0(SALU_CYCLE_1) | instskip(NEXT) | instid1(SALU_CYCLE_1)
	s_lshl_b64 s[4:5], s[50:51], 3
	s_add_u32 s4, s0, s4
	s_addc_u32 s5, s1, s5
	s_load_b64 s[4:5], s[4:5], 0x0
	s_waitcnt lgkmcnt(0)
	s_sub_u32 s44, s4, s28
	s_subb_u32 s45, s5, 0
	s_and_not1_b32 vcc_lo, exec_lo, s54
	s_cbranch_vccnz .LBB236_10
.LBB236_12:
	s_waitcnt lgkmcnt(0)
	s_ashr_i32 s51, s50, 31
	s_delay_alu instid0(SALU_CYCLE_1) | instskip(NEXT) | instid1(SALU_CYCLE_1)
	s_lshl_b64 s[4:5], s[50:51], 3
	s_add_u32 s0, s0, s4
	s_addc_u32 s1, s1, s5
	s_load_b64 s[0:1], s[0:1], 0x8
	s_waitcnt lgkmcnt(0)
	s_sub_u32 s34, s0, s28
	s_subb_u32 s35, s1, 0
	s_load_b128 s[36:39], s[2:3], 0x0
	s_waitcnt lgkmcnt(0)
	s_cmp_lt_i32 s37, 1
	s_cbranch_scc1 .LBB236_100
.LBB236_13:
	s_clause 0x4
	s_load_b256 s[12:19], s[2:3], 0x70
	s_load_b64 s[46:47], s[2:3], 0xa0
	s_load_b128 s[40:43], s[2:3], 0x90
	s_load_b64 s[10:11], s[2:3], 0x58
	s_load_b256 s[20:27], s[2:3], 0x38
	v_bfe_u32 v7, v1, 2, 2
	v_dual_mov_b32 v0, 0 :: v_dual_and_b32 v39, 3, v1
	s_ashr_i32 s51, s50, 31
	v_and_b32_e32 v6, 15, v1
	s_delay_alu instid0(VALU_DEP_3)
	v_mul_lo_u32 v2, v7, s38
	s_lshl_b64 s[6:7], s[50:51], 3
	v_mov_b32_e32 v3, v0
	v_mul_lo_u32 v4, v39, s38
	v_dual_mov_b32 v5, v0 :: v_dual_lshlrev_b32 v40, 4, v1
	v_max_i32_e32 v16, v39, v7
	v_lshlrev_b32_e32 v7, 4, v7
	v_lshlrev_b64 v[2:3], 4, v[2:3]
	v_lshrrev_b32_e32 v38, 4, v1
	s_waitcnt lgkmcnt(0)
	s_add_u32 s2, s18, s6
	s_addc_u32 s3, s19, s7
	v_lshlrev_b64 v[4:5], 4, v[4:5]
	s_load_b64 s[4:5], s[2:3], 0x0
	v_cmp_gt_i32_e64 s2, s38, v16
	v_cmp_le_i32_e64 s3, s38, v16
	v_add_co_u32 v16, vcc_lo, s22, v2
	v_add_co_ci_u32_e32 v17, vcc_lo, s23, v3, vcc_lo
	v_add_co_u32 v19, vcc_lo, s16, v4
	v_add_co_ci_u32_e32 v20, vcc_lo, s17, v5, vcc_lo
	;; [unrolled: 2-line block ×3, first 2 shown]
	s_delay_alu instid0(VALU_DEP_4)
	v_add_co_u32 v19, vcc_lo, v19, v7
	v_lshlrev_b32_e32 v18, 4, v39
	v_add_co_ci_u32_e32 v20, vcc_lo, 0, v20, vcc_lo
	s_waitcnt lgkmcnt(0)
	s_sub_u32 s18, s4, s30
	s_subb_u32 s19, s5, 0
	v_add_co_u32 v21, vcc_lo, v21, v18
	s_cmp_eq_u32 s36, 0
	v_add_co_ci_u32_e32 v22, vcc_lo, 0, v22, vcc_lo
	s_cselect_b32 vcc_lo, -1, 0
	v_cmp_gt_u32_e64 s0, 32, v1
	v_cndmask_b32_e32 v55, v19, v21, vcc_lo
	v_add_co_u32 v42, s4, v16, v18
	v_and_b32_e32 v16, 31, v1
	v_add_co_ci_u32_e64 v43, s4, 0, v17, s4
	v_sub_co_u32 v45, s4, v38, s31
	s_delay_alu instid0(VALU_DEP_3) | instskip(SKIP_3) | instid1(VALU_DEP_4)
	v_add_co_u32 v23, s53, v16, -1
	v_sub_co_ci_u32_e64 v46, null, 0, 0, s4
	v_cmp_eq_u32_e64 s4, 15, v6
	v_add_co_u32 v6, s5, s42, v4
	v_lshl_add_u32 v48, v23, 2, 0x3000
	v_add_co_ci_u32_e64 v23, s5, s43, v5, s5
	v_add_co_u32 v2, s5, s42, v2
	s_delay_alu instid0(VALU_DEP_1) | instskip(SKIP_2) | instid1(VALU_DEP_1)
	v_add_co_ci_u32_e64 v3, s5, s43, v3, s5
	v_cndmask_b32_e32 v54, v20, v22, vcc_lo
	v_add_co_u32 v6, s5, v6, v7
	v_add_co_ci_u32_e64 v23, s5, 0, v23, s5
	v_add_co_u32 v2, s5, v2, v18
	s_delay_alu instid0(VALU_DEP_1) | instskip(SKIP_1) | instid1(VALU_DEP_3)
	v_add_co_ci_u32_e64 v3, s5, 0, v3, s5
	v_cmp_eq_u32_e64 s1, 0, v1
	v_dual_cndmask_b32 v57, v6, v2 :: v_dual_and_b32 v44, 12, v1
	v_mov_b32_e32 v21, s19
	v_lshl_or_b32 v49, v1, 2, 0x3000
	v_or_b32_e32 v58, 0xffffff00, v1
	v_dual_mov_b32 v62, 1 :: v_dual_lshlrev_b32 v1, 8, v38
	v_cmp_lt_i64_e64 s8, s[44:45], s[34:35]
	s_cmp_lg_u32 s36, 0
	v_dual_cndmask_b32 v56, v23, v3 :: v_dual_lshlrev_b32 v17, 2, v16
	v_add_co_u32 v2, vcc_lo, v4, s10
	s_cselect_b32 s36, -1, 0
	s_cmp_gt_i32 s38, 0
	v_add_co_ci_u32_e32 v3, vcc_lo, s11, v5, vcc_lo
	v_or3_b32 v59, v1, v7, 0x2000
	v_add_co_u32 v1, s10, v18, s10
	s_cselect_b32 s51, -1, 0
	s_add_u32 s16, s12, s6
	s_addc_u32 s17, s13, s7
	s_and_b32 s42, s54, s8
	v_cmp_ne_u32_e64 s5, 0, v16
	v_cmp_lt_u32_e64 s6, 1, v16
	v_cmp_lt_u32_e64 s7, 3, v16
	;; [unrolled: 1-line block ×4, first 2 shown]
	v_add_co_u32 v16, vcc_lo, v2, 8
	v_add_co_ci_u32_e64 v2, null, 0, s11, s10
	v_or_b32_e32 v47, 0x3000, v17
	v_add_nc_u32_e32 v50, 0x2ff8, v17
	v_dual_mov_b32 v64, 32 :: v_dual_add_nc_u32 v51, 0x2ff0, v17
	v_add_nc_u32_e32 v52, 0x2fe0, v17
	v_dual_mov_b32 v20, s18 :: v_dual_add_nc_u32 v53, 0x2fc0, v17
	v_add_co_ci_u32_e32 v17, vcc_lo, 0, v3, vcc_lo
	s_movk_i32 s10, 0xfc0
	v_add_co_u32 v18, vcc_lo, v1, 8
	s_mov_b32 s49, 0
	v_or_b32_e32 v41, 0x2000, v40
	s_add_u32 s43, s24, 8
	v_add_co_ci_u32_e32 v19, vcc_lo, 0, v2, vcc_lo
	v_and_or_b32 v60, v40, s10, 0x2000
	v_lshl_or_b32 v61, v38, 2, 0x3000
	v_mov_b32_e32 v1, v0
	v_mov_b32_e32 v2, v0
	;; [unrolled: 1-line block ×4, first 2 shown]
	s_mul_i32 s48, s38, s38
	s_addc_u32 s54, s25, 0
	s_mov_b32 s39, s49
	s_add_u32 s55, s40, -4
	s_mov_b32 s50, s29
	s_mov_b32 s52, s31
	s_addc_u32 s56, s41, -1
	s_lshl_b64 s[18:19], s[48:49], 4
	s_lshl_b64 s[22:23], s[38:39], 4
	s_branch .LBB236_15
.LBB236_14:                             ;   in Loop: Header=BB236_15 Depth=1
	s_set_inst_prefetch_distance 0x2
	s_or_b32 exec_lo, exec_lo, s10
	s_waitcnt_vscnt null, 0x0
	s_barrier
	buffer_gl0_inv
	ds_load_b32 v63, v0 offset:12416
	v_ashrrev_i32_e32 v5, 31, v4
	v_add_co_u32 v20, s10, v20, v4
	s_waitcnt lgkmcnt(0)
	s_barrier
	s_delay_alu instid0(VALU_DEP_2)
	v_add_co_ci_u32_e64 v21, s10, v21, v5, s10
	buffer_gl0_inv
	v_cmp_le_i32_e32 vcc_lo, s37, v63
	v_add_nc_u32_e32 v64, 32, v63
	s_cbranch_vccnz .LBB236_100
.LBB236_15:                             ; =>This Loop Header: Depth=1
                                        ;     Child Loop BB236_18 Depth 2
                                        ;     Child Loop BB236_24 Depth 2
                                        ;       Child Loop BB236_37 Depth 3
                                        ;         Child Loop BB236_46 Depth 4
                                        ;         Child Loop BB236_51 Depth 4
	;; [unrolled: 1-line block ×4, first 2 shown]
                                        ;     Child Loop BB236_66 Depth 2
                                        ;       Child Loop BB236_71 Depth 3
                                        ;       Child Loop BB236_73 Depth 3
                                        ;     Child Loop BB236_78 Depth 2
                                        ;     Child Loop BB236_97 Depth 2
	s_and_saveexec_b32 s10, s0
	s_cbranch_execz .LBB236_17
; %bb.16:                               ;   in Loop: Header=BB236_15 Depth=1
	ds_store_b32 v49, v0
.LBB236_17:                             ;   in Loop: Header=BB236_15 Depth=1
	s_or_b32 exec_lo, exec_lo, s10
	v_dual_mov_b32 v4, v40 :: v_dual_mov_b32 v5, v58
	s_mov_b32 s10, 0
.LBB236_18:                             ;   Parent Loop BB236_15 Depth=1
                                        ; =>  This Inner Loop Header: Depth=2
	s_delay_alu instid0(VALU_DEP_1) | instskip(NEXT) | instid1(VALU_DEP_1)
	v_add_co_u32 v5, s11, 0x100, v5
	s_xor_b32 s11, s11, -1
	ds_store_b128 v4, v[0:3]
	v_add_nc_u32_e32 v4, 0x1000, v4
	s_and_b32 s11, exec_lo, s11
	s_delay_alu instid0(SALU_CYCLE_1) | instskip(NEXT) | instid1(SALU_CYCLE_1)
	s_or_b32 s10, s11, s10
	s_and_not1_b32 exec_lo, exec_lo, s10
	s_cbranch_execnz .LBB236_18
; %bb.19:                               ;   in Loop: Header=BB236_15 Depth=1
	s_or_b32 exec_lo, exec_lo, s10
	s_and_saveexec_b32 s10, s1
	s_cbranch_execz .LBB236_21
; %bb.20:                               ;   in Loop: Header=BB236_15 Depth=1
	v_mov_b32_e32 v4, s37
	ds_store_b32 v0, v4 offset:12416
.LBB236_21:                             ;   in Loop: Header=BB236_15 Depth=1
	s_or_b32 exec_lo, exec_lo, s10
	v_mov_b32_e32 v65, s37
	s_and_not1_b32 vcc_lo, exec_lo, s42
	s_waitcnt vmcnt(0) lgkmcnt(0)
	s_waitcnt_vscnt null, 0x0
	s_barrier
	buffer_gl0_inv
	s_cbranch_vccnz .LBB236_61
; %bb.22:                               ;   in Loop: Header=BB236_15 Depth=1
	v_cmp_ne_u32_e64 s10, 0, v63
	v_mov_b32_e32 v65, s37
	s_mov_b64 s[40:41], s[44:45]
	s_branch .LBB236_24
.LBB236_23:                             ;   in Loop: Header=BB236_24 Depth=2
	s_or_b32 exec_lo, exec_lo, s12
	s_add_u32 s40, s40, 16
	s_addc_u32 s41, s41, 0
	s_delay_alu instid0(SALU_CYCLE_1) | instskip(NEXT) | instid1(VALU_DEP_1)
	v_cmp_lt_i64_e64 s11, s[40:41], s[34:35]
	s_and_b32 vcc_lo, exec_lo, s11
	s_cbranch_vccz .LBB236_61
.LBB236_24:                             ;   Parent Loop BB236_15 Depth=1
                                        ; =>  This Loop Header: Depth=2
                                        ;       Child Loop BB236_37 Depth 3
                                        ;         Child Loop BB236_46 Depth 4
                                        ;         Child Loop BB236_51 Depth 4
	;; [unrolled: 1-line block ×4, first 2 shown]
	v_add_co_u32 v4, s11, s40, v38
	s_delay_alu instid0(VALU_DEP_1) | instskip(NEXT) | instid1(VALU_DEP_1)
	v_add_co_ci_u32_e64 v5, null, s41, 0, s11
	s_waitcnt_vscnt null, 0x0
	s_barrier
	buffer_gl0_inv
	v_cmp_gt_i64_e64 s11, s[34:35], v[4:5]
	s_delay_alu instid0(VALU_DEP_1)
	s_and_saveexec_b32 s12, s11
	s_cbranch_execz .LBB236_29
; %bb.25:                               ;   in Loop: Header=BB236_24 Depth=2
	s_and_saveexec_b32 s13, s3
	s_delay_alu instid0(SALU_CYCLE_1)
	s_xor_b32 s13, exec_lo, s13
	s_cbranch_execz .LBB236_27
; %bb.26:                               ;   in Loop: Header=BB236_24 Depth=2
	ds_store_b128 v41, v[0:3]
.LBB236_27:                             ;   in Loop: Header=BB236_24 Depth=2
	s_and_not1_saveexec_b32 s13, s13
	s_cbranch_execz .LBB236_29
; %bb.28:                               ;   in Loop: Header=BB236_24 Depth=2
	v_mad_u64_u32 v[6:7], null, v4, s48, 0
	s_delay_alu instid0(VALU_DEP_1) | instskip(NEXT) | instid1(VALU_DEP_1)
	v_mad_u64_u32 v[22:23], null, v5, s48, v[7:8]
	v_mov_b32_e32 v7, v22
	s_delay_alu instid0(VALU_DEP_1) | instskip(NEXT) | instid1(VALU_DEP_1)
	v_lshlrev_b64 v[6:7], 4, v[6:7]
	v_add_co_u32 v6, vcc_lo, v42, v6
	s_delay_alu instid0(VALU_DEP_2)
	v_add_co_ci_u32_e32 v7, vcc_lo, v43, v7, vcc_lo
	global_load_b128 v[22:25], v[6:7], off
	s_waitcnt vmcnt(0)
	ds_store_2addr_b64 v41, v[22:23], v[24:25] offset1:1
.LBB236_29:                             ;   in Loop: Header=BB236_24 Depth=2
	s_or_b32 exec_lo, exec_lo, s12
	v_mov_b32_e32 v6, 0
	v_mov_b32_e32 v7, 0
	s_waitcnt lgkmcnt(0)
	s_barrier
	buffer_gl0_inv
	s_and_saveexec_b32 s13, s11
	s_cbranch_execz .LBB236_58
; %bb.30:                               ;   in Loop: Header=BB236_24 Depth=2
	v_lshlrev_b64 v[6:7], 2, v[4:5]
	s_delay_alu instid0(VALU_DEP_1) | instskip(NEXT) | instid1(VALU_DEP_2)
	v_add_co_u32 v6, vcc_lo, s20, v6
	v_add_co_ci_u32_e32 v7, vcc_lo, s21, v7, vcc_lo
	s_and_b32 vcc_lo, exec_lo, s10
	global_load_b32 v6, v[6:7], off
	s_waitcnt vmcnt(0)
	v_subrev_nc_u32_e32 v22, s28, v6
	s_delay_alu instid0(VALU_DEP_1)
	v_ashrrev_i32_e32 v23, 31, v22
	s_cbranch_vccz .LBB236_60
; %bb.31:                               ;   in Loop: Header=BB236_24 Depth=2
	v_lshlrev_b64 v[6:7], 3, v[4:5]
	s_delay_alu instid0(VALU_DEP_1) | instskip(NEXT) | instid1(VALU_DEP_2)
	v_add_co_u32 v6, vcc_lo, s46, v6
	v_add_co_ci_u32_e32 v7, vcc_lo, s47, v7, vcc_lo
	global_load_b64 v[6:7], v[6:7], off
	s_cbranch_execnz .LBB236_33
.LBB236_32:                             ;   in Loop: Header=BB236_24 Depth=2
	s_waitcnt vmcnt(0)
	s_delay_alu instid0(VALU_DEP_1) | instskip(NEXT) | instid1(VALU_DEP_1)
	v_lshlrev_b64 v[6:7], 3, v[22:23]
	v_add_co_u32 v6, vcc_lo, s24, v6
	s_delay_alu instid0(VALU_DEP_2)
	v_add_co_ci_u32_e32 v7, vcc_lo, s25, v7, vcc_lo
	global_load_b64 v[6:7], v[6:7], off
	s_waitcnt vmcnt(0)
	v_sub_co_u32 v6, vcc_lo, v6, s50
	v_subrev_co_ci_u32_e32 v7, vcc_lo, 0, v7, vcc_lo
.LBB236_33:                             ;   in Loop: Header=BB236_24 Depth=2
	v_lshlrev_b64 v[22:23], 3, v[22:23]
	s_mov_b32 s39, exec_lo
	s_delay_alu instid0(VALU_DEP_1) | instskip(NEXT) | instid1(VALU_DEP_2)
	v_add_co_u32 v22, vcc_lo, s43, v22
	v_add_co_ci_u32_e32 v23, vcc_lo, s54, v23, vcc_lo
	global_load_b64 v[22:23], v[22:23], off
	s_waitcnt vmcnt(0)
	v_sub_co_u32 v22, vcc_lo, v22, s50
	v_subrev_co_ci_u32_e32 v23, vcc_lo, 0, v23, vcc_lo
	s_delay_alu instid0(VALU_DEP_1)
	v_cmpx_lt_i64_e64 v[6:7], v[22:23]
	s_cbranch_execz .LBB236_57
; %bb.34:                               ;   in Loop: Header=BB236_24 Depth=2
	v_mad_u64_u32 v[24:25], null, s18, v6, v[16:17]
	v_mul_lo_u32 v28, s18, v7
	v_mul_lo_u32 v29, s19, v6
	v_mad_u64_u32 v[26:27], null, s18, v6, v[18:19]
	s_mov_b32 s49, 0
	s_delay_alu instid0(VALU_DEP_2) | instskip(NEXT) | instid1(VALU_DEP_2)
	v_add3_u32 v25, v29, v25, v28
	v_add3_u32 v27, v29, v27, v28
	v_dual_mov_b32 v29, v7 :: v_dual_mov_b32 v28, v6
	s_branch .LBB236_37
.LBB236_35:                             ;   in Loop: Header=BB236_37 Depth=3
	s_or_b32 exec_lo, exec_lo, s59
	s_delay_alu instid0(SALU_CYCLE_1)
	s_or_b32 s57, s57, exec_lo
.LBB236_36:                             ;   in Loop: Header=BB236_37 Depth=3
	s_or_b32 exec_lo, exec_lo, s58
	v_add_co_u32 v28, vcc_lo, v28, 1
	v_add_co_ci_u32_e32 v29, vcc_lo, 0, v29, vcc_lo
	v_add_co_u32 v24, s12, v24, s18
	s_xor_b32 s57, s57, -1
	s_delay_alu instid0(VALU_DEP_2)
	v_cmp_ge_i64_e32 vcc_lo, v[28:29], v[22:23]
	v_add_co_ci_u32_e64 v25, s12, s19, v25, s12
	s_or_b32 s12, s57, vcc_lo
	v_add_co_u32 v26, vcc_lo, v26, s18
	v_add_co_ci_u32_e32 v27, vcc_lo, s19, v27, vcc_lo
	s_and_b32 s12, exec_lo, s12
	s_delay_alu instid0(SALU_CYCLE_1) | instskip(NEXT) | instid1(SALU_CYCLE_1)
	s_or_b32 s49, s12, s49
	s_and_not1_b32 exec_lo, exec_lo, s49
	s_cbranch_execz .LBB236_56
.LBB236_37:                             ;   Parent Loop BB236_15 Depth=1
                                        ;     Parent Loop BB236_24 Depth=2
                                        ; =>    This Loop Header: Depth=3
                                        ;         Child Loop BB236_46 Depth 4
                                        ;         Child Loop BB236_51 Depth 4
                                        ;         Child Loop BB236_53 Depth 4
                                        ;         Child Loop BB236_55 Depth 4
	s_delay_alu instid0(VALU_DEP_1) | instskip(NEXT) | instid1(VALU_DEP_1)
	v_lshlrev_b64 v[30:31], 2, v[28:29]
                                        ; implicit-def: $sgpr57
	v_add_co_u32 v30, vcc_lo, s26, v30
	s_delay_alu instid0(VALU_DEP_2) | instskip(SKIP_3) | instid1(VALU_DEP_1)
	v_add_co_ci_u32_e32 v31, vcc_lo, s27, v31, vcc_lo
	global_load_b32 v30, v[30:31], off
	s_waitcnt vmcnt(0)
	v_subrev_nc_u32_e32 v30, s29, v30
	v_cmp_lt_i32_e64 s12, v30, v63
	v_cmp_ge_i32_e32 vcc_lo, v30, v64
	s_delay_alu instid0(VALU_DEP_2) | instskip(NEXT) | instid1(SALU_CYCLE_1)
	s_or_b32 s12, s12, vcc_lo
	s_and_saveexec_b32 s58, s12
	s_delay_alu instid0(SALU_CYCLE_1)
	s_xor_b32 s12, exec_lo, s58
	s_cbranch_execz .LBB236_41
; %bb.38:                               ;   in Loop: Header=BB236_37 Depth=3
	s_mov_b32 s57, -1
	s_and_saveexec_b32 s58, vcc_lo
; %bb.39:                               ;   in Loop: Header=BB236_37 Depth=3
	v_min_i32_e32 v65, v30, v65
	v_dual_mov_b32 v6, v28 :: v_dual_mov_b32 v7, v29
	s_xor_b32 s57, exec_lo, -1
; %bb.40:                               ;   in Loop: Header=BB236_37 Depth=3
	s_or_b32 exec_lo, exec_lo, s58
	s_delay_alu instid0(SALU_CYCLE_1)
	s_and_b32 s57, s57, exec_lo
                                        ; implicit-def: $vgpr30
.LBB236_41:                             ;   in Loop: Header=BB236_37 Depth=3
	s_and_not1_saveexec_b32 s58, s12
	s_cbranch_execz .LBB236_36
; %bb.42:                               ;   in Loop: Header=BB236_37 Depth=3
	v_sub_nc_u32_e32 v36, v30, v63
	s_delay_alu instid0(VALU_DEP_1)
	v_lshlrev_b32_e32 v30, 2, v36
	ds_store_b32 v30, v62 offset:12288
	s_and_saveexec_b32 s59, s2
	s_cbranch_execz .LBB236_35
; %bb.43:                               ;   in Loop: Header=BB236_37 Depth=3
	v_cndmask_b32_e64 v30, 0, 1, s51
	s_and_not1_b32 vcc_lo, exec_lo, s36
	s_delay_alu instid0(VALU_DEP_1)
	v_cmp_ne_u32_e64 s12, 1, v30
	s_cbranch_vccnz .LBB236_48
; %bb.44:                               ;   in Loop: Header=BB236_37 Depth=3
	v_mov_b32_e32 v30, 0
	v_mov_b32_e32 v31, 0
	s_delay_alu instid0(VALU_DEP_3) | instskip(NEXT) | instid1(VALU_DEP_1)
	s_and_b32 vcc_lo, exec_lo, s12
	v_dual_mov_b32 v33, v31 :: v_dual_mov_b32 v32, v30
	s_cbranch_vccnz .LBB236_47
; %bb.45:                               ;   in Loop: Header=BB236_37 Depth=3
	v_dual_mov_b32 v30, 0 :: v_dual_mov_b32 v35, v25
	v_dual_mov_b32 v31, 0 :: v_dual_mov_b32 v34, v24
	v_mov_b32_e32 v37, v59
	s_mov_b32 s12, s38
	s_delay_alu instid0(VALU_DEP_2)
	v_dual_mov_b32 v33, v31 :: v_dual_mov_b32 v32, v30
	.p2align	6
.LBB236_46:                             ;   Parent Loop BB236_15 Depth=1
                                        ;     Parent Loop BB236_24 Depth=2
                                        ;       Parent Loop BB236_37 Depth=3
                                        ; =>      This Inner Loop Header: Depth=4
	global_load_b128 v[66:69], v[34:35], off offset:-8
	ds_load_b128 v[70:73], v37
	v_add_co_u32 v34, vcc_lo, v34, 16
	v_add_nc_u32_e32 v37, 64, v37
	v_add_co_ci_u32_e32 v35, vcc_lo, 0, v35, vcc_lo
	s_add_i32 s12, s12, -1
	s_delay_alu instid0(SALU_CYCLE_1) | instskip(SKIP_3) | instid1(VALU_DEP_2)
	s_cmp_lg_u32 s12, 0
	s_waitcnt vmcnt(0) lgkmcnt(0)
	v_fma_f64 v[30:31], v[70:71], v[66:67], v[30:31]
	v_fma_f64 v[32:33], v[72:73], v[66:67], v[32:33]
	v_fma_f64 v[30:31], -v[72:73], v[68:69], v[30:31]
	s_delay_alu instid0(VALU_DEP_2)
	v_fma_f64 v[32:33], v[70:71], v[68:69], v[32:33]
	s_cbranch_scc1 .LBB236_46
.LBB236_47:                             ;   in Loop: Header=BB236_37 Depth=3
	s_cbranch_execz .LBB236_49
	s_branch .LBB236_52
.LBB236_48:                             ;   in Loop: Header=BB236_37 Depth=3
                                        ; implicit-def: $vgpr30_vgpr31
                                        ; implicit-def: $vgpr32_vgpr33
.LBB236_49:                             ;   in Loop: Header=BB236_37 Depth=3
	v_mov_b32_e32 v30, 0
	v_mov_b32_e32 v31, 0
	s_and_not1_b32 vcc_lo, exec_lo, s51
	s_delay_alu instid0(VALU_DEP_1)
	v_dual_mov_b32 v33, v31 :: v_dual_mov_b32 v32, v30
	s_cbranch_vccnz .LBB236_52
; %bb.50:                               ;   in Loop: Header=BB236_37 Depth=3
	v_dual_mov_b32 v30, 0 :: v_dual_mov_b32 v37, v60
	v_mov_b32_e32 v31, 0
	v_dual_mov_b32 v35, v27 :: v_dual_mov_b32 v34, v26
	s_mov_b32 s12, s38
	s_delay_alu instid0(VALU_DEP_2)
	v_dual_mov_b32 v33, v31 :: v_dual_mov_b32 v32, v30
	.p2align	6
.LBB236_51:                             ;   Parent Loop BB236_15 Depth=1
                                        ;     Parent Loop BB236_24 Depth=2
                                        ;       Parent Loop BB236_37 Depth=3
                                        ; =>      This Inner Loop Header: Depth=4
	global_load_b128 v[66:69], v[34:35], off offset:-8
	ds_load_b128 v[70:73], v37
	v_add_co_u32 v34, vcc_lo, v34, s22
	v_add_co_ci_u32_e32 v35, vcc_lo, s23, v35, vcc_lo
	v_add_nc_u32_e32 v37, 16, v37
	s_add_i32 s12, s12, -1
	s_delay_alu instid0(SALU_CYCLE_1) | instskip(SKIP_3) | instid1(VALU_DEP_2)
	s_cmp_eq_u32 s12, 0
	s_waitcnt vmcnt(0) lgkmcnt(0)
	v_fma_f64 v[30:31], v[70:71], v[66:67], v[30:31]
	v_fma_f64 v[32:33], v[72:73], v[66:67], v[32:33]
	v_fma_f64 v[30:31], -v[72:73], v[68:69], v[30:31]
	s_delay_alu instid0(VALU_DEP_2)
	v_fma_f64 v[32:33], v[70:71], v[68:69], v[32:33]
	s_cbranch_scc0 .LBB236_51
.LBB236_52:                             ;   in Loop: Header=BB236_37 Depth=3
	s_delay_alu instid0(VALU_DEP_1) | instskip(SKIP_2) | instid1(VALU_DEP_1)
	v_mul_f64 v[34:35], v[32:33], -v[12:13]
	v_lshlrev_b32_e32 v36, 4, v36
	s_mov_b32 s12, 0
	v_or3_b32 v36, v36, v44, v39
	s_delay_alu instid0(VALU_DEP_1)
	v_lshlrev_b32_e32 v66, 4, v36
	ds_load_b64 v[36:37], v66
	v_fma_f64 v[34:35], v[8:9], v[30:31], v[34:35]
.LBB236_53:                             ;   Parent Loop BB236_15 Depth=1
                                        ;     Parent Loop BB236_24 Depth=2
                                        ;       Parent Loop BB236_37 Depth=3
                                        ; =>      This Inner Loop Header: Depth=4
	s_waitcnt lgkmcnt(0)
	s_delay_alu instid0(VALU_DEP_1)
	v_add_f64 v[67:68], v[36:37], v[34:35]
	ds_cmpstore_rtn_b64 v[67:68], v66, v[67:68], v[36:37]
	s_waitcnt lgkmcnt(0)
	v_cmp_eq_u64_e32 vcc_lo, v[67:68], v[36:37]
	v_dual_mov_b32 v36, v67 :: v_dual_mov_b32 v37, v68
	s_or_b32 s12, vcc_lo, s12
	s_delay_alu instid0(SALU_CYCLE_1)
	s_and_not1_b32 exec_lo, exec_lo, s12
	s_cbranch_execnz .LBB236_53
; %bb.54:                               ;   in Loop: Header=BB236_37 Depth=3
	s_or_b32 exec_lo, exec_lo, s12
	v_mul_f64 v[32:33], v[8:9], v[32:33]
	s_mov_b32 s12, 0
	s_delay_alu instid0(VALU_DEP_1)
	v_fma_f64 v[30:31], v[12:13], v[30:31], v[32:33]
	ds_load_b64 v[32:33], v66 offset:8
.LBB236_55:                             ;   Parent Loop BB236_15 Depth=1
                                        ;     Parent Loop BB236_24 Depth=2
                                        ;       Parent Loop BB236_37 Depth=3
                                        ; =>      This Inner Loop Header: Depth=4
	s_waitcnt lgkmcnt(0)
	v_add_f64 v[34:35], v[32:33], v[30:31]
	ds_cmpstore_rtn_b64 v[34:35], v66, v[34:35], v[32:33] offset:8
	s_waitcnt lgkmcnt(0)
	v_cmp_eq_u64_e32 vcc_lo, v[34:35], v[32:33]
	v_dual_mov_b32 v32, v34 :: v_dual_mov_b32 v33, v35
	s_or_b32 s12, vcc_lo, s12
	s_delay_alu instid0(SALU_CYCLE_1)
	s_and_not1_b32 exec_lo, exec_lo, s12
	s_cbranch_execnz .LBB236_55
	s_branch .LBB236_35
.LBB236_56:                             ;   in Loop: Header=BB236_24 Depth=2
	s_or_b32 exec_lo, exec_lo, s49
.LBB236_57:                             ;   in Loop: Header=BB236_24 Depth=2
	s_delay_alu instid0(SALU_CYCLE_1)
	s_or_b32 exec_lo, exec_lo, s39
.LBB236_58:                             ;   in Loop: Header=BB236_24 Depth=2
	s_delay_alu instid0(SALU_CYCLE_1)
	s_or_b32 exec_lo, exec_lo, s13
	s_waitcnt lgkmcnt(0)
	s_barrier
	buffer_gl0_inv
	s_and_saveexec_b32 s12, s11
	s_cbranch_execz .LBB236_23
; %bb.59:                               ;   in Loop: Header=BB236_24 Depth=2
	v_lshlrev_b64 v[4:5], 3, v[4:5]
	s_delay_alu instid0(VALU_DEP_1) | instskip(NEXT) | instid1(VALU_DEP_2)
	v_add_co_u32 v4, vcc_lo, s46, v4
	v_add_co_ci_u32_e32 v5, vcc_lo, s47, v5, vcc_lo
	global_store_b64 v[4:5], v[6:7], off
	s_branch .LBB236_23
.LBB236_60:                             ;   in Loop: Header=BB236_24 Depth=2
                                        ; implicit-def: $vgpr6_vgpr7
	s_branch .LBB236_32
.LBB236_61:                             ;   in Loop: Header=BB236_15 Depth=1
	s_and_not1_b32 vcc_lo, exec_lo, s33
	s_cbranch_vccnz .LBB236_76
; %bb.62:                               ;   in Loop: Header=BB236_15 Depth=1
	s_load_b128 s[60:63], s[16:17], 0x0
	s_mov_b32 s39, exec_lo
	s_waitcnt lgkmcnt(0)
	v_add_co_u32 v22, vcc_lo, s60, v45
	v_add_co_ci_u32_e32 v23, vcc_lo, s61, v46, vcc_lo
	s_sub_u32 s12, s62, s52
	s_subb_u32 s13, s63, 0
	s_delay_alu instid0(VALU_DEP_1) | instid1(SALU_CYCLE_1)
	v_cmpx_gt_i64_e64 s[12:13], v[22:23]
	s_cbranch_execz .LBB236_75
; %bb.63:                               ;   in Loop: Header=BB236_15 Depth=1
	s_mov_b32 s40, 0
	s_branch .LBB236_66
.LBB236_64:                             ;   in Loop: Header=BB236_66 Depth=2
	s_or_b32 exec_lo, exec_lo, s41
	s_delay_alu instid0(SALU_CYCLE_1)
	s_or_b32 s10, s10, exec_lo
.LBB236_65:                             ;   in Loop: Header=BB236_66 Depth=2
	s_or_b32 exec_lo, exec_lo, s11
	v_add_co_u32 v22, vcc_lo, v22, 16
	v_add_co_ci_u32_e32 v23, vcc_lo, 0, v23, vcc_lo
	s_xor_b32 s10, s10, -1
	s_delay_alu instid0(VALU_DEP_1) | instskip(SKIP_1) | instid1(SALU_CYCLE_1)
	v_cmp_le_i64_e32 vcc_lo, s[12:13], v[22:23]
	s_or_b32 s10, s10, vcc_lo
	s_and_b32 s10, exec_lo, s10
	s_delay_alu instid0(SALU_CYCLE_1) | instskip(NEXT) | instid1(SALU_CYCLE_1)
	s_or_b32 s40, s10, s40
	s_and_not1_b32 exec_lo, exec_lo, s40
	s_cbranch_execz .LBB236_74
.LBB236_66:                             ;   Parent Loop BB236_15 Depth=1
                                        ; =>  This Loop Header: Depth=2
                                        ;       Child Loop BB236_71 Depth 3
                                        ;       Child Loop BB236_73 Depth 3
	v_lshlrev_b64 v[4:5], 2, v[22:23]
	s_delay_alu instid0(VALU_DEP_1) | instskip(NEXT) | instid1(VALU_DEP_2)
	v_add_co_u32 v4, vcc_lo, s14, v4
	v_add_co_ci_u32_e32 v5, vcc_lo, s15, v5, vcc_lo
	global_load_b32 v4, v[4:5], off
	s_waitcnt vmcnt(0)
	v_subrev_nc_u32_e32 v4, s31, v4
	s_delay_alu instid0(VALU_DEP_1) | instskip(SKIP_2) | instid1(VALU_DEP_2)
	v_cmp_lt_i32_e64 s10, v4, v63
	v_cmp_ge_i32_e64 s11, v4, v64
	v_cmp_lt_i32_e32 vcc_lo, v4, v64
	s_or_b32 s11, s10, s11
                                        ; implicit-def: $sgpr10
	s_delay_alu instid0(SALU_CYCLE_1) | instskip(NEXT) | instid1(SALU_CYCLE_1)
	s_and_saveexec_b32 s41, s11
	s_xor_b32 s11, exec_lo, s41
; %bb.67:                               ;   in Loop: Header=BB236_66 Depth=2
	v_min_i32_e32 v4, v4, v65
	s_and_b32 s10, vcc_lo, exec_lo
	s_delay_alu instid0(VALU_DEP_1)
	v_cndmask_b32_e32 v65, v4, v65, vcc_lo
                                        ; implicit-def: $vgpr4
; %bb.68:                               ;   in Loop: Header=BB236_66 Depth=2
	s_and_not1_saveexec_b32 s11, s11
	s_cbranch_execz .LBB236_65
; %bb.69:                               ;   in Loop: Header=BB236_66 Depth=2
	v_sub_nc_u32_e32 v26, v4, v63
	s_delay_alu instid0(VALU_DEP_1)
	v_lshlrev_b32_e32 v4, 2, v26
	ds_store_b32 v4, v62 offset:12288
	s_and_saveexec_b32 s41, s2
	s_cbranch_execz .LBB236_64
; %bb.70:                               ;   in Loop: Header=BB236_66 Depth=2
	v_mad_u64_u32 v[4:5], null, v22, s48, 0
	s_mov_b32 s49, 0
	v_lshlrev_b32_e32 v26, 4, v26
	s_delay_alu instid0(VALU_DEP_2) | instskip(NEXT) | instid1(VALU_DEP_2)
	v_mad_u64_u32 v[6:7], null, v23, s48, v[5:6]
	v_or3_b32 v26, v26, v44, v39
	s_delay_alu instid0(VALU_DEP_1) | instskip(SKIP_2) | instid1(VALU_DEP_1)
	v_dual_mov_b32 v5, v6 :: v_dual_lshlrev_b32 v28, 4, v26
	ds_load_b64 v[26:27], v28
	v_lshlrev_b64 v[4:5], 4, v[4:5]
	v_add_co_u32 v4, vcc_lo, v55, v4
	s_delay_alu instid0(VALU_DEP_2) | instskip(SKIP_3) | instid1(VALU_DEP_1)
	v_add_co_ci_u32_e32 v5, vcc_lo, v54, v5, vcc_lo
	global_load_b128 v[4:7], v[4:5], off
	s_waitcnt vmcnt(0)
	v_mul_f64 v[24:25], v[6:7], -v[10:11]
	v_fma_f64 v[24:25], v[14:15], v[4:5], v[24:25]
.LBB236_71:                             ;   Parent Loop BB236_15 Depth=1
                                        ;     Parent Loop BB236_66 Depth=2
                                        ; =>    This Inner Loop Header: Depth=3
	s_waitcnt lgkmcnt(0)
	s_delay_alu instid0(VALU_DEP_1)
	v_add_f64 v[29:30], v[26:27], v[24:25]
	ds_cmpstore_rtn_b64 v[29:30], v28, v[29:30], v[26:27]
	s_waitcnt lgkmcnt(0)
	v_cmp_eq_u64_e32 vcc_lo, v[29:30], v[26:27]
	v_dual_mov_b32 v26, v29 :: v_dual_mov_b32 v27, v30
	s_or_b32 s49, vcc_lo, s49
	s_delay_alu instid0(SALU_CYCLE_1)
	s_and_not1_b32 exec_lo, exec_lo, s49
	s_cbranch_execnz .LBB236_71
; %bb.72:                               ;   in Loop: Header=BB236_66 Depth=2
	s_or_b32 exec_lo, exec_lo, s49
	v_mul_f64 v[6:7], v[14:15], v[6:7]
	s_mov_b32 s49, 0
	s_delay_alu instid0(VALU_DEP_1)
	v_fma_f64 v[4:5], v[10:11], v[4:5], v[6:7]
	ds_load_b64 v[6:7], v28 offset:8
.LBB236_73:                             ;   Parent Loop BB236_15 Depth=1
                                        ;     Parent Loop BB236_66 Depth=2
                                        ; =>    This Inner Loop Header: Depth=3
	s_waitcnt lgkmcnt(0)
	v_add_f64 v[24:25], v[6:7], v[4:5]
	ds_cmpstore_rtn_b64 v[24:25], v28, v[24:25], v[6:7] offset:8
	s_waitcnt lgkmcnt(0)
	v_cmp_eq_u64_e32 vcc_lo, v[24:25], v[6:7]
	v_dual_mov_b32 v6, v24 :: v_dual_mov_b32 v7, v25
	s_or_b32 s49, vcc_lo, s49
	s_delay_alu instid0(SALU_CYCLE_1)
	s_and_not1_b32 exec_lo, exec_lo, s49
	s_cbranch_execnz .LBB236_73
	s_branch .LBB236_64
.LBB236_74:                             ;   in Loop: Header=BB236_15 Depth=1
	s_or_b32 exec_lo, exec_lo, s40
.LBB236_75:                             ;   in Loop: Header=BB236_15 Depth=1
	s_delay_alu instid0(SALU_CYCLE_1)
	s_or_b32 exec_lo, exec_lo, s39
.LBB236_76:                             ;   in Loop: Header=BB236_15 Depth=1
	s_and_saveexec_b32 s10, s4
	s_cbranch_execz .LBB236_81
; %bb.77:                               ;   in Loop: Header=BB236_15 Depth=1
	s_mov_b32 s12, exec_lo
	s_brev_b32 s11, -2
.LBB236_78:                             ;   Parent Loop BB236_15 Depth=1
                                        ; =>  This Inner Loop Header: Depth=2
	s_ctz_i32_b32 s13, s12
	s_delay_alu instid0(SALU_CYCLE_1) | instskip(SKIP_1) | instid1(SALU_CYCLE_1)
	v_readlane_b32 s39, v65, s13
	s_lshl_b32 s13, 1, s13
	s_and_not1_b32 s12, s12, s13
	s_delay_alu instid0(VALU_DEP_1)
	s_min_i32 s11, s11, s39
	s_cmp_lg_u32 s12, 0
	s_cbranch_scc1 .LBB236_78
; %bb.79:                               ;   in Loop: Header=BB236_15 Depth=1
	v_mbcnt_lo_u32_b32 v4, exec_lo, 0
	s_mov_b32 s12, exec_lo
	s_delay_alu instid0(VALU_DEP_1)
	v_cmpx_eq_u32_e32 0, v4
	s_xor_b32 s12, exec_lo, s12
	s_cbranch_execz .LBB236_81
; %bb.80:                               ;   in Loop: Header=BB236_15 Depth=1
	v_mov_b32_e32 v4, s11
	ds_min_i32 v0, v4 offset:12416
.LBB236_81:                             ;   in Loop: Header=BB236_15 Depth=1
	s_or_b32 exec_lo, exec_lo, s10
	s_waitcnt lgkmcnt(0)
	s_waitcnt_vscnt null, 0x0
	s_barrier
	buffer_gl0_inv
	ds_load_b32 v5, v47
	s_waitcnt lgkmcnt(0)
	s_barrier
	buffer_gl0_inv
	s_and_saveexec_b32 s10, s5
	s_cbranch_execz .LBB236_83
; %bb.82:                               ;   in Loop: Header=BB236_15 Depth=1
	ds_load_b32 v4, v48
	s_waitcnt lgkmcnt(0)
	v_add_nc_u32_e32 v5, v4, v5
.LBB236_83:                             ;   in Loop: Header=BB236_15 Depth=1
	s_or_b32 exec_lo, exec_lo, s10
	s_barrier
	buffer_gl0_inv
	ds_store_b32 v47, v5
	s_waitcnt lgkmcnt(0)
	s_barrier
	buffer_gl0_inv
	s_and_saveexec_b32 s10, s6
	s_cbranch_execz .LBB236_85
; %bb.84:                               ;   in Loop: Header=BB236_15 Depth=1
	ds_load_b32 v4, v50
	s_waitcnt lgkmcnt(0)
	v_add_nc_u32_e32 v5, v4, v5
.LBB236_85:                             ;   in Loop: Header=BB236_15 Depth=1
	s_or_b32 exec_lo, exec_lo, s10
	s_barrier
	buffer_gl0_inv
	ds_store_b32 v47, v5
	;; [unrolled: 14-line block ×5, first 2 shown]
	s_waitcnt lgkmcnt(0)
	s_barrier
	buffer_gl0_inv
	ds_load_b32 v4, v0 offset:12412
	v_mov_b32_e32 v6, 0
	s_and_saveexec_b32 s10, s53
	s_cbranch_execz .LBB236_93
; %bb.92:                               ;   in Loop: Header=BB236_15 Depth=1
	ds_load_b32 v6, v48
.LBB236_93:                             ;   in Loop: Header=BB236_15 Depth=1
	s_or_b32 exec_lo, exec_lo, s10
	s_waitcnt lgkmcnt(0)
	v_cmp_eq_u32_e32 vcc_lo, v5, v6
	s_barrier
	buffer_gl0_inv
	s_and_b32 s11, s53, vcc_lo
	s_delay_alu instid0(SALU_CYCLE_1)
	s_and_saveexec_b32 s10, s11
	s_cbranch_execz .LBB236_95
; %bb.94:                               ;   in Loop: Header=BB236_15 Depth=1
	ds_store_b32 v47, v0
.LBB236_95:                             ;   in Loop: Header=BB236_15 Depth=1
	s_or_b32 exec_lo, exec_lo, s10
	v_add_co_u32 v5, vcc_lo, v20, -1
	v_add_co_ci_u32_e32 v6, vcc_lo, -1, v21, vcc_lo
	v_dual_mov_b32 v22, v61 :: v_dual_add_nc_u32 v7, s30, v63
	v_dual_mov_b32 v23, v40 :: v_dual_mov_b32 v24, v38
	s_mov_b32 s10, 0
	s_waitcnt lgkmcnt(0)
	s_barrier
	buffer_gl0_inv
	s_set_inst_prefetch_distance 0x1
	s_branch .LBB236_97
	.p2align	6
.LBB236_96:                             ;   in Loop: Header=BB236_97 Depth=2
	s_or_b32 exec_lo, exec_lo, s11
	v_add_nc_u32_e32 v25, 16, v24
	v_cmp_lt_u32_e32 vcc_lo, 15, v24
	v_add_nc_u32_e32 v23, 0x1000, v23
	v_add_nc_u32_e32 v22, 64, v22
	s_delay_alu instid0(VALU_DEP_4) | instskip(SKIP_1) | instid1(SALU_CYCLE_1)
	v_mov_b32_e32 v24, v25
	s_or_b32 s10, vcc_lo, s10
	s_and_not1_b32 exec_lo, exec_lo, s10
	s_cbranch_execz .LBB236_14
.LBB236_97:                             ;   Parent Loop BB236_15 Depth=1
                                        ; =>  This Inner Loop Header: Depth=2
	ds_load_b32 v25, v22
	s_mov_b32 s11, exec_lo
	s_waitcnt lgkmcnt(0)
	v_cmpx_ne_u32_e32 0, v25
	s_cbranch_execz .LBB236_96
; %bb.98:                               ;   in Loop: Header=BB236_97 Depth=2
	v_ashrrev_i32_e32 v26, 31, v25
	v_add_co_u32 v27, vcc_lo, v20, v25
	v_add_nc_u32_e32 v29, v7, v24
	s_delay_alu instid0(VALU_DEP_3) | instskip(NEXT) | instid1(VALU_DEP_1)
	v_add_co_ci_u32_e32 v28, vcc_lo, v21, v26, vcc_lo
	v_lshlrev_b64 v[27:28], 2, v[27:28]
	s_delay_alu instid0(VALU_DEP_1) | instskip(NEXT) | instid1(VALU_DEP_2)
	v_add_co_u32 v27, vcc_lo, s55, v27
	v_add_co_ci_u32_e32 v28, vcc_lo, s56, v28, vcc_lo
	global_store_b32 v[27:28], v29, off
	s_and_b32 exec_lo, exec_lo, s2
	s_cbranch_execz .LBB236_96
; %bb.99:                               ;   in Loop: Header=BB236_97 Depth=2
	v_add_co_u32 v25, vcc_lo, v5, v25
	v_add_co_ci_u32_e32 v26, vcc_lo, v6, v26, vcc_lo
	s_delay_alu instid0(VALU_DEP_2) | instskip(NEXT) | instid1(VALU_DEP_1)
	v_mad_u64_u32 v[29:30], null, v25, s48, 0
	v_mov_b32_e32 v25, v30
	s_delay_alu instid0(VALU_DEP_1) | instskip(SKIP_2) | instid1(VALU_DEP_1)
	v_mad_u64_u32 v[30:31], null, v26, s48, v[25:26]
	ds_load_2addr_b64 v[25:28], v23 offset1:1
	v_lshlrev_b64 v[29:30], 4, v[29:30]
	v_add_co_u32 v29, vcc_lo, v57, v29
	s_delay_alu instid0(VALU_DEP_2)
	v_add_co_ci_u32_e32 v30, vcc_lo, v56, v30, vcc_lo
	s_waitcnt lgkmcnt(0)
	global_store_b128 v[29:30], v[25:28], off
	s_branch .LBB236_96
.LBB236_100:
	s_endpgm
	.section	.rodata,"a",@progbits
	.p2align	6, 0x0
	.amdhsa_kernel _ZN9rocsparseL38bsrgemm_block_per_row_atomic_multipassILj256ELj32ELj4Eli21rocsparse_complex_numIdEEEv20rocsparse_direction_T3_S4_PKS4_S6_NS_24const_host_device_scalarIT4_EEPKT2_S6_PKS8_SC_S6_SE_S9_SC_S6_SE_SC_PS4_PS8_PSA_21rocsparse_index_base_SI_SI_SI_bbb
		.amdhsa_group_segment_fixed_size 14472
		.amdhsa_private_segment_fixed_size 16
		.amdhsa_kernarg_size 188
		.amdhsa_user_sgpr_count 15
		.amdhsa_user_sgpr_dispatch_ptr 1
		.amdhsa_user_sgpr_queue_ptr 0
		.amdhsa_user_sgpr_kernarg_segment_ptr 1
		.amdhsa_user_sgpr_dispatch_id 0
		.amdhsa_user_sgpr_private_segment_size 0
		.amdhsa_wavefront_size32 1
		.amdhsa_uses_dynamic_stack 0
		.amdhsa_enable_private_segment 1
		.amdhsa_system_sgpr_workgroup_id_x 1
		.amdhsa_system_sgpr_workgroup_id_y 0
		.amdhsa_system_sgpr_workgroup_id_z 0
		.amdhsa_system_sgpr_workgroup_info 0
		.amdhsa_system_vgpr_workitem_id 2
		.amdhsa_next_free_vgpr 74
		.amdhsa_next_free_sgpr 64
		.amdhsa_reserve_vcc 1
		.amdhsa_float_round_mode_32 0
		.amdhsa_float_round_mode_16_64 0
		.amdhsa_float_denorm_mode_32 3
		.amdhsa_float_denorm_mode_16_64 3
		.amdhsa_dx10_clamp 1
		.amdhsa_ieee_mode 1
		.amdhsa_fp16_overflow 0
		.amdhsa_workgroup_processor_mode 1
		.amdhsa_memory_ordered 1
		.amdhsa_forward_progress 0
		.amdhsa_shared_vgpr_count 0
		.amdhsa_exception_fp_ieee_invalid_op 0
		.amdhsa_exception_fp_denorm_src 0
		.amdhsa_exception_fp_ieee_div_zero 0
		.amdhsa_exception_fp_ieee_overflow 0
		.amdhsa_exception_fp_ieee_underflow 0
		.amdhsa_exception_fp_ieee_inexact 0
		.amdhsa_exception_int_div_zero 0
	.end_amdhsa_kernel
	.section	.text._ZN9rocsparseL38bsrgemm_block_per_row_atomic_multipassILj256ELj32ELj4Eli21rocsparse_complex_numIdEEEv20rocsparse_direction_T3_S4_PKS4_S6_NS_24const_host_device_scalarIT4_EEPKT2_S6_PKS8_SC_S6_SE_S9_SC_S6_SE_SC_PS4_PS8_PSA_21rocsparse_index_base_SI_SI_SI_bbb,"axG",@progbits,_ZN9rocsparseL38bsrgemm_block_per_row_atomic_multipassILj256ELj32ELj4Eli21rocsparse_complex_numIdEEEv20rocsparse_direction_T3_S4_PKS4_S6_NS_24const_host_device_scalarIT4_EEPKT2_S6_PKS8_SC_S6_SE_S9_SC_S6_SE_SC_PS4_PS8_PSA_21rocsparse_index_base_SI_SI_SI_bbb,comdat
.Lfunc_end236:
	.size	_ZN9rocsparseL38bsrgemm_block_per_row_atomic_multipassILj256ELj32ELj4Eli21rocsparse_complex_numIdEEEv20rocsparse_direction_T3_S4_PKS4_S6_NS_24const_host_device_scalarIT4_EEPKT2_S6_PKS8_SC_S6_SE_S9_SC_S6_SE_SC_PS4_PS8_PSA_21rocsparse_index_base_SI_SI_SI_bbb, .Lfunc_end236-_ZN9rocsparseL38bsrgemm_block_per_row_atomic_multipassILj256ELj32ELj4Eli21rocsparse_complex_numIdEEEv20rocsparse_direction_T3_S4_PKS4_S6_NS_24const_host_device_scalarIT4_EEPKT2_S6_PKS8_SC_S6_SE_S9_SC_S6_SE_SC_PS4_PS8_PSA_21rocsparse_index_base_SI_SI_SI_bbb
                                        ; -- End function
	.section	.AMDGPU.csdata,"",@progbits
; Kernel info:
; codeLenInByte = 4392
; NumSgprs: 66
; NumVgprs: 74
; ScratchSize: 16
; MemoryBound: 0
; FloatMode: 240
; IeeeMode: 1
; LDSByteSize: 14472 bytes/workgroup (compile time only)
; SGPRBlocks: 8
; VGPRBlocks: 9
; NumSGPRsForWavesPerEU: 66
; NumVGPRsForWavesPerEU: 74
; Occupancy: 16
; WaveLimiterHint : 1
; COMPUTE_PGM_RSRC2:SCRATCH_EN: 1
; COMPUTE_PGM_RSRC2:USER_SGPR: 15
; COMPUTE_PGM_RSRC2:TRAP_HANDLER: 0
; COMPUTE_PGM_RSRC2:TGID_X_EN: 1
; COMPUTE_PGM_RSRC2:TGID_Y_EN: 0
; COMPUTE_PGM_RSRC2:TGID_Z_EN: 0
; COMPUTE_PGM_RSRC2:TIDIG_COMP_CNT: 2
	.section	.text._ZN9rocsparseL38bsrgemm_block_per_row_atomic_multipassILj256ELj64ELj4Eli21rocsparse_complex_numIdEEEv20rocsparse_direction_T3_S4_PKS4_S6_NS_24const_host_device_scalarIT4_EEPKT2_S6_PKS8_SC_S6_SE_S9_SC_S6_SE_SC_PS4_PS8_PSA_21rocsparse_index_base_SI_SI_SI_bbb,"axG",@progbits,_ZN9rocsparseL38bsrgemm_block_per_row_atomic_multipassILj256ELj64ELj4Eli21rocsparse_complex_numIdEEEv20rocsparse_direction_T3_S4_PKS4_S6_NS_24const_host_device_scalarIT4_EEPKT2_S6_PKS8_SC_S6_SE_S9_SC_S6_SE_SC_PS4_PS8_PSA_21rocsparse_index_base_SI_SI_SI_bbb,comdat
	.globl	_ZN9rocsparseL38bsrgemm_block_per_row_atomic_multipassILj256ELj64ELj4Eli21rocsparse_complex_numIdEEEv20rocsparse_direction_T3_S4_PKS4_S6_NS_24const_host_device_scalarIT4_EEPKT2_S6_PKS8_SC_S6_SE_S9_SC_S6_SE_SC_PS4_PS8_PSA_21rocsparse_index_base_SI_SI_SI_bbb ; -- Begin function _ZN9rocsparseL38bsrgemm_block_per_row_atomic_multipassILj256ELj64ELj4Eli21rocsparse_complex_numIdEEEv20rocsparse_direction_T3_S4_PKS4_S6_NS_24const_host_device_scalarIT4_EEPKT2_S6_PKS8_SC_S6_SE_S9_SC_S6_SE_SC_PS4_PS8_PSA_21rocsparse_index_base_SI_SI_SI_bbb
	.p2align	8
	.type	_ZN9rocsparseL38bsrgemm_block_per_row_atomic_multipassILj256ELj64ELj4Eli21rocsparse_complex_numIdEEEv20rocsparse_direction_T3_S4_PKS4_S6_NS_24const_host_device_scalarIT4_EEPKT2_S6_PKS8_SC_S6_SE_S9_SC_S6_SE_SC_PS4_PS8_PSA_21rocsparse_index_base_SI_SI_SI_bbb,@function
_ZN9rocsparseL38bsrgemm_block_per_row_atomic_multipassILj256ELj64ELj4Eli21rocsparse_complex_numIdEEEv20rocsparse_direction_T3_S4_PKS4_S6_NS_24const_host_device_scalarIT4_EEPKT2_S6_PKS8_SC_S6_SE_S9_SC_S6_SE_SC_PS4_PS8_PSA_21rocsparse_index_base_SI_SI_SI_bbb: ; @_ZN9rocsparseL38bsrgemm_block_per_row_atomic_multipassILj256ELj64ELj4Eli21rocsparse_complex_numIdEEEv20rocsparse_direction_T3_S4_PKS4_S6_NS_24const_host_device_scalarIT4_EEPKT2_S6_PKS8_SC_S6_SE_S9_SC_S6_SE_SC_PS4_PS8_PSA_21rocsparse_index_base_SI_SI_SI_bbb
; %bb.0:
	s_clause 0x3
	s_load_b32 s12, s[0:1], 0xb8
	s_load_b128 s[8:11], s[0:1], 0x20
	s_load_b128 s[4:7], s[0:1], 0x60
	;; [unrolled: 1-line block ×3, first 2 shown]
	v_mov_b32_e32 v11, 0
	v_mov_b32_e32 v12, 0
	s_mov_b32 s50, s15
	s_waitcnt lgkmcnt(0)
	s_bitcmp1_b32 s12, 0
	v_mov_b32_e32 v1, s8
	s_cselect_b32 s54, -1, 0
	s_bitcmp1_b32 s12, 16
	v_dual_mov_b32 v9, v11 :: v_dual_mov_b32 v10, v12
	s_cselect_b32 s2, -1, 0
	v_mov_b32_e32 v2, s9
	s_xor_b32 s3, s2, -1
	v_dual_mov_b32 v14, v12 :: v_dual_mov_b32 v13, v11
	v_cndmask_b32_e64 v5, 0, 1, s3
	v_dual_mov_b32 v3, s4 :: v_dual_mov_b32 v4, s5
	s_bitcmp0_b32 s12, 0
	s_clause 0x1
	scratch_store_b64 off, v[1:2], off
	scratch_store_b64 off, v[3:4], off offset:8
	v_cmp_ne_u32_e32 vcc_lo, 1, v5
	s_cbranch_scc1 .LBB237_3
; %bb.1:
	s_mov_b64 s[14:15], src_private_base
	s_and_b32 s13, s2, exec_lo
	s_cselect_b32 s13, s15, s9
	s_delay_alu instid0(SALU_CYCLE_1) | instskip(SKIP_2) | instid1(VALU_DEP_2)
	v_dual_mov_b32 v1, 0 :: v_dual_mov_b32 v2, s13
	v_dual_mov_b32 v14, s11 :: v_dual_mov_b32 v13, s10
	s_and_b32 vcc_lo, exec_lo, vcc_lo
	v_cndmask_b32_e64 v1, s8, v1, s2
	flat_load_b64 v[9:10], v[1:2]
	s_cbranch_vccnz .LBB237_3
; %bb.2:
	v_dual_mov_b32 v1, s8 :: v_dual_mov_b32 v2, s9
	flat_load_b64 v[13:14], v[1:2] offset:8
.LBB237_3:
	s_load_b64 s[8:9], s[0:1], 0x18
	s_bitcmp1_b32 s12, 8
	v_dual_mov_b32 v16, v12 :: v_dual_mov_b32 v15, v11
	s_cselect_b32 s33, -1, 0
	s_bfe_u32 s10, s12, 0x10008
	s_delay_alu instid0(SALU_CYCLE_1)
	s_cmp_eq_u32 s10, 0
	s_cbranch_scc1 .LBB237_6
; %bb.4:
	s_mov_b64 s[10:11], src_private_base
	s_and_b32 s10, s2, exec_lo
	s_cselect_b32 s10, s11, s5
	s_delay_alu instid0(SALU_CYCLE_1) | instskip(SKIP_2) | instid1(VALU_DEP_2)
	v_dual_mov_b32 v1, 8 :: v_dual_mov_b32 v2, s10
	v_dual_mov_b32 v12, s7 :: v_dual_mov_b32 v11, s6
	s_and_not1_b32 vcc_lo, exec_lo, s3
	v_cndmask_b32_e64 v1, s4, v1, s2
	flat_load_b64 v[15:16], v[1:2]
	s_cbranch_vccnz .LBB237_6
; %bb.5:
	v_dual_mov_b32 v1, s4 :: v_dual_mov_b32 v2, s5
	flat_load_b64 v[11:12], v[1:2] offset:8
.LBB237_6:
	s_load_b64 s[2:3], s[0:1], 0x30
	s_waitcnt lgkmcnt(0)
	s_cmp_eq_u64 s[8:9], 0
	s_cbranch_scc1 .LBB237_8
; %bb.7:
	s_load_b64 s[4:5], s[0:1], 0x10
	s_waitcnt lgkmcnt(0)
	s_load_b32 s4, s[4:5], 0x0
	s_mov_b32 s5, 0
	s_waitcnt lgkmcnt(0)
	s_add_i32 s4, s4, s50
	s_delay_alu instid0(SALU_CYCLE_1) | instskip(NEXT) | instid1(SALU_CYCLE_1)
	s_lshl_b64 s[4:5], s[4:5], 2
	s_add_u32 s4, s8, s4
	s_addc_u32 s5, s9, s5
	s_load_b32 s50, s[4:5], 0x0
.LBB237_8:
	s_mov_b64 s[34:35], 0
	s_and_not1_b32 vcc_lo, exec_lo, s54
	s_mov_b64 s[44:45], 0
	s_cbranch_vccz .LBB237_11
; %bb.9:
	s_and_not1_b32 vcc_lo, exec_lo, s54
	s_cbranch_vccz .LBB237_12
.LBB237_10:
	s_load_b128 s[36:39], s[0:1], 0x0
	s_waitcnt lgkmcnt(0)
	s_cmp_lt_i32 s37, 1
	s_cbranch_scc0 .LBB237_13
	s_branch .LBB237_102
.LBB237_11:
	s_waitcnt lgkmcnt(0)
	s_ashr_i32 s51, s50, 31
	s_delay_alu instid0(SALU_CYCLE_1) | instskip(NEXT) | instid1(SALU_CYCLE_1)
	s_lshl_b64 s[4:5], s[50:51], 3
	s_add_u32 s4, s2, s4
	s_addc_u32 s5, s3, s5
	s_load_b64 s[4:5], s[4:5], 0x0
	s_waitcnt lgkmcnt(0)
	s_sub_u32 s44, s4, s28
	s_subb_u32 s45, s5, 0
	s_and_not1_b32 vcc_lo, exec_lo, s54
	s_cbranch_vccnz .LBB237_10
.LBB237_12:
	s_waitcnt lgkmcnt(0)
	s_ashr_i32 s51, s50, 31
	s_delay_alu instid0(SALU_CYCLE_1) | instskip(NEXT) | instid1(SALU_CYCLE_1)
	s_lshl_b64 s[4:5], s[50:51], 3
	s_add_u32 s2, s2, s4
	s_addc_u32 s3, s3, s5
	s_load_b64 s[2:3], s[2:3], 0x8
	s_waitcnt lgkmcnt(0)
	s_sub_u32 s34, s2, s28
	s_subb_u32 s35, s3, 0
	s_load_b128 s[36:39], s[0:1], 0x0
	s_waitcnt lgkmcnt(0)
	s_cmp_lt_i32 s37, 1
	s_cbranch_scc1 .LBB237_102
.LBB237_13:
	s_clause 0x4
	s_load_b256 s[12:19], s[0:1], 0x70
	s_load_b64 s[46:47], s[0:1], 0xa0
	s_load_b128 s[40:43], s[0:1], 0x90
	s_load_b64 s[52:53], s[0:1], 0x58
	s_load_b256 s[20:27], s[0:1], 0x38
	s_ashr_i32 s51, s50, 31
	v_bfe_u32 v7, v0, 2, 2
	s_lshl_b64 s[6:7], s[50:51], 3
	v_dual_mov_b32 v1, 0 :: v_dual_and_b32 v6, 15, v0
	v_and_b32_e32 v40, 3, v0
	s_delay_alu instid0(VALU_DEP_3) | instskip(SKIP_4) | instid1(VALU_DEP_4)
	v_mul_lo_u32 v2, v7, s38
	v_and_b32_e32 v23, 63, v0
	v_lshrrev_b32_e32 v39, 4, v0
	v_mov_b32_e32 v3, v1
	v_mul_lo_u32 v4, v40, s38
	v_dual_mov_b32 v5, v1 :: v_dual_lshlrev_b32 v24, 2, v23
	v_max_i32_e32 v8, v40, v7
	s_delay_alu instid0(VALU_DEP_4)
	v_lshlrev_b64 v[2:3], 4, v[2:3]
	s_waitcnt lgkmcnt(0)
	s_add_u32 s2, s18, s6
	s_addc_u32 s3, s19, s7
	v_lshlrev_b32_e32 v19, 4, v40
	s_load_b64 s[4:5], s[2:3], 0x0
	v_lshlrev_b64 v[4:5], 4, v[4:5]
	v_cmp_gt_i32_e64 s2, s38, v8
	v_cmp_le_i32_e64 s3, s38, v8
	v_add_co_u32 v8, vcc_lo, s22, v2
	v_add_co_ci_u32_e32 v17, vcc_lo, s23, v3, vcc_lo
	v_add_co_u32 v18, vcc_lo, s42, v4
	v_add_co_ci_u32_e32 v20, vcc_lo, s43, v5, vcc_lo
	;; [unrolled: 2-line block ×3, first 2 shown]
	v_cmp_lt_i64_e64 s8, s[44:45], s[34:35]
	s_mov_b32 s49, 0
	v_cmp_gt_u32_e64 s0, 64, v0
	v_cmp_eq_u32_e64 s1, 0, v0
	s_waitcnt lgkmcnt(0)
	s_sub_u32 s22, s4, s30
	s_subb_u32 s23, s5, 0
	v_lshlrev_b32_e32 v7, 4, v7
	v_add_co_u32 v43, s4, v8, v19
	s_delay_alu instid0(VALU_DEP_1) | instskip(NEXT) | instid1(VALU_DEP_3)
	v_add_co_ci_u32_e64 v44, s4, 0, v17, s4
	v_add_co_u32 v18, vcc_lo, v18, v7
	v_add_co_ci_u32_e32 v20, vcc_lo, 0, v20, vcc_lo
	v_add_co_u32 v21, vcc_lo, v21, v19
	v_add_co_ci_u32_e32 v22, vcc_lo, 0, v22, vcc_lo
	s_cmp_eq_u32 s36, 0
	v_add_co_u32 v8, s4, s16, v4
	s_cselect_b32 vcc_lo, -1, 0
	v_add_co_ci_u32_e64 v17, s4, s17, v5, s4
	v_sub_co_u32 v46, s4, v39, s31
	v_dual_cndmask_b32 v56, v20, v22 :: v_dual_lshlrev_b32 v41, 4, v0
	v_dual_cndmask_b32 v57, v18, v21 :: v_dual_add_nc_u32 v52, 0x4ff0, v24
	v_mov_b32_e32 v21, s22
	v_sub_co_ci_u32_e64 v47, null, 0, 0, s4
	v_mov_b32_e32 v22, s23
	v_add_co_u32 v8, s4, v8, v7
	s_delay_alu instid0(VALU_DEP_1) | instskip(SKIP_1) | instid1(VALU_DEP_1)
	v_add_co_ci_u32_e64 v17, s4, 0, v17, s4
	v_add_co_u32 v2, s4, s16, v2
	v_add_co_ci_u32_e64 v3, s4, s17, v3, s4
	v_mov_b32_e32 v65, 64
	s_delay_alu instid0(VALU_DEP_3) | instskip(NEXT) | instid1(VALU_DEP_1)
	v_add_co_u32 v2, s4, v2, v19
	v_add_co_ci_u32_e64 v3, s4, 0, v3, s4
	s_delay_alu instid0(VALU_DEP_2) | instskip(SKIP_1) | instid1(VALU_DEP_3)
	v_dual_cndmask_b32 v59, v8, v2 :: v_dual_add_nc_u32 v54, 0x4fc0, v24
	v_lshlrev_b32_e32 v2, 8, v39
	v_cndmask_b32_e32 v58, v17, v3, vcc_lo
	v_add_co_u32 v3, vcc_lo, v4, s52
	v_add_co_ci_u32_e32 v4, vcc_lo, s53, v5, vcc_lo
	s_delay_alu instid0(VALU_DEP_4) | instskip(NEXT) | instid1(VALU_DEP_3)
	v_or3_b32 v60, v2, v7, 0x4000
	v_add_co_u32 v17, vcc_lo, v3, 8
	v_add_co_u32 v2, s11, v19, s52
	s_cmp_lg_u32 s36, 0
	v_add_co_ci_u32_e32 v18, vcc_lo, 0, v4, vcc_lo
	v_add_co_ci_u32_e64 v3, null, 0, s53, s11
	v_mov_b32_e32 v4, v1
	v_add_co_u32 v25, s51, v23, -1
	s_cselect_b32 s36, -1, 0
	s_cmp_gt_i32 s38, 0
	s_movk_i32 s11, 0xfc0
	s_cselect_b32 s43, -1, 0
	s_add_u32 s18, s12, s6
	v_add_co_u32 v19, vcc_lo, v2, 8
	s_addc_u32 s19, s13, s7
	s_and_b32 s54, s54, s8
	v_or_b32_e32 v42, 0x4000, v41
	v_dual_mov_b32 v2, v1 :: v_dual_and_b32 v45, 12, v0
	v_cmp_eq_u32_e64 s4, 15, v6
	v_or_b32_e32 v48, 0x5000, v24
	v_lshl_add_u32 v49, v25, 2, 0x5000
	v_lshl_or_b32 v50, v0, 2, 0x5000
	v_cmp_ne_u32_e64 s5, 0, v23
	v_cmp_lt_u32_e64 s6, 1, v23
	v_dual_mov_b32 v64, v1 :: v_dual_add_nc_u32 v51, 0x4ff8, v24
	v_cmp_lt_u32_e64 s7, 3, v23
	v_cmp_lt_u32_e64 s8, 7, v23
	v_add_nc_u32_e32 v53, 0x4fe0, v24
	v_cmp_lt_u32_e64 s9, 15, v23
	v_cmp_lt_u32_e64 s10, 31, v23
	v_add_nc_u32_e32 v55, 0x4f80, v24
	s_add_u32 s55, s24, 8
	v_or_b32_e32 v0, 0xffffff00, v0
	v_add_co_ci_u32_e32 v20, vcc_lo, 0, v3, vcc_lo
	v_and_or_b32 v61, v41, s11, 0x4000
	v_lshl_or_b32 v62, v39, 2, 0x5000
	v_mov_b32_e32 v3, v1
	v_mov_b32_e32 v63, 1
	s_mul_i32 s48, s38, s38
	s_addc_u32 s56, s25, 0
	s_mov_b32 s39, s49
	s_add_u32 s57, s40, -4
	s_mov_b32 s42, s29
	s_mov_b32 s50, s31
	s_addc_u32 s58, s41, -1
	s_lshl_b64 s[16:17], s[48:49], 4
	s_lshl_b64 s[22:23], s[38:39], 4
	s_branch .LBB237_15
.LBB237_14:                             ;   in Loop: Header=BB237_15 Depth=1
	s_set_inst_prefetch_distance 0x2
	s_or_b32 exec_lo, exec_lo, s11
	s_waitcnt_vscnt null, 0x0
	s_barrier
	buffer_gl0_inv
	ds_load_b32 v64, v1 offset:20736
	v_ashrrev_i32_e32 v5, 31, v6
	v_add_co_u32 v21, s11, v21, v6
	s_waitcnt lgkmcnt(0)
	s_barrier
	s_delay_alu instid0(VALU_DEP_2)
	v_add_co_ci_u32_e64 v22, s11, v22, v5, s11
	buffer_gl0_inv
	v_cmp_le_i32_e32 vcc_lo, s37, v64
	v_add_nc_u32_e32 v65, 64, v64
	s_cbranch_vccnz .LBB237_102
.LBB237_15:                             ; =>This Loop Header: Depth=1
                                        ;     Child Loop BB237_18 Depth 2
                                        ;     Child Loop BB237_24 Depth 2
                                        ;       Child Loop BB237_37 Depth 3
                                        ;         Child Loop BB237_46 Depth 4
                                        ;         Child Loop BB237_51 Depth 4
	;; [unrolled: 1-line block ×4, first 2 shown]
                                        ;     Child Loop BB237_66 Depth 2
                                        ;       Child Loop BB237_71 Depth 3
                                        ;       Child Loop BB237_73 Depth 3
                                        ;     Child Loop BB237_78 Depth 2
                                        ;     Child Loop BB237_99 Depth 2
	s_and_saveexec_b32 s11, s0
	s_cbranch_execz .LBB237_17
; %bb.16:                               ;   in Loop: Header=BB237_15 Depth=1
	ds_store_b32 v50, v1
.LBB237_17:                             ;   in Loop: Header=BB237_15 Depth=1
	s_or_b32 exec_lo, exec_lo, s11
	v_dual_mov_b32 v5, v41 :: v_dual_mov_b32 v6, v0
	s_mov_b32 s11, 0
.LBB237_18:                             ;   Parent Loop BB237_15 Depth=1
                                        ; =>  This Inner Loop Header: Depth=2
	s_delay_alu instid0(VALU_DEP_1) | instskip(SKIP_4) | instid1(SALU_CYCLE_1)
	v_add_nc_u32_e32 v6, 0x100, v6
	ds_store_b128 v5, v[1:4]
	v_add_nc_u32_e32 v5, 0x1000, v5
	v_cmp_lt_u32_e32 vcc_lo, 0x2ff, v6
	s_or_b32 s11, vcc_lo, s11
	s_and_not1_b32 exec_lo, exec_lo, s11
	s_cbranch_execnz .LBB237_18
; %bb.19:                               ;   in Loop: Header=BB237_15 Depth=1
	s_or_b32 exec_lo, exec_lo, s11
	s_and_saveexec_b32 s11, s1
	s_cbranch_execz .LBB237_21
; %bb.20:                               ;   in Loop: Header=BB237_15 Depth=1
	v_mov_b32_e32 v5, s37
	ds_store_b32 v1, v5 offset:20736
.LBB237_21:                             ;   in Loop: Header=BB237_15 Depth=1
	s_or_b32 exec_lo, exec_lo, s11
	v_mov_b32_e32 v66, s37
	s_and_not1_b32 vcc_lo, exec_lo, s54
	s_waitcnt vmcnt(0) lgkmcnt(0)
	s_waitcnt_vscnt null, 0x0
	s_barrier
	buffer_gl0_inv
	s_cbranch_vccnz .LBB237_61
; %bb.22:                               ;   in Loop: Header=BB237_15 Depth=1
	v_cmp_ne_u32_e64 s11, 0, v64
	v_mov_b32_e32 v66, s37
	s_mov_b64 s[40:41], s[44:45]
	s_branch .LBB237_24
.LBB237_23:                             ;   in Loop: Header=BB237_24 Depth=2
	s_or_b32 exec_lo, exec_lo, s13
	s_add_u32 s40, s40, 16
	s_addc_u32 s41, s41, 0
	s_delay_alu instid0(SALU_CYCLE_1) | instskip(NEXT) | instid1(VALU_DEP_1)
	v_cmp_lt_i64_e64 s12, s[40:41], s[34:35]
	s_and_b32 vcc_lo, exec_lo, s12
	s_cbranch_vccz .LBB237_61
.LBB237_24:                             ;   Parent Loop BB237_15 Depth=1
                                        ; =>  This Loop Header: Depth=2
                                        ;       Child Loop BB237_37 Depth 3
                                        ;         Child Loop BB237_46 Depth 4
                                        ;         Child Loop BB237_51 Depth 4
	;; [unrolled: 1-line block ×4, first 2 shown]
	v_add_co_u32 v5, s12, s40, v39
	s_delay_alu instid0(VALU_DEP_1) | instskip(NEXT) | instid1(VALU_DEP_1)
	v_add_co_ci_u32_e64 v6, null, s41, 0, s12
	s_waitcnt_vscnt null, 0x0
	s_barrier
	buffer_gl0_inv
	v_cmp_gt_i64_e64 s12, s[34:35], v[5:6]
	s_delay_alu instid0(VALU_DEP_1)
	s_and_saveexec_b32 s13, s12
	s_cbranch_execz .LBB237_29
; %bb.25:                               ;   in Loop: Header=BB237_24 Depth=2
	s_and_saveexec_b32 s39, s3
	s_delay_alu instid0(SALU_CYCLE_1)
	s_xor_b32 s39, exec_lo, s39
	s_cbranch_execz .LBB237_27
; %bb.26:                               ;   in Loop: Header=BB237_24 Depth=2
	ds_store_b128 v42, v[1:4]
.LBB237_27:                             ;   in Loop: Header=BB237_24 Depth=2
	s_and_not1_saveexec_b32 s39, s39
	s_cbranch_execz .LBB237_29
; %bb.28:                               ;   in Loop: Header=BB237_24 Depth=2
	v_mad_u64_u32 v[7:8], null, v5, s48, 0
	s_delay_alu instid0(VALU_DEP_1) | instskip(NEXT) | instid1(VALU_DEP_1)
	v_mad_u64_u32 v[23:24], null, v6, s48, v[8:9]
	v_mov_b32_e32 v8, v23
	s_delay_alu instid0(VALU_DEP_1) | instskip(NEXT) | instid1(VALU_DEP_1)
	v_lshlrev_b64 v[7:8], 4, v[7:8]
	v_add_co_u32 v7, vcc_lo, v43, v7
	s_delay_alu instid0(VALU_DEP_2)
	v_add_co_ci_u32_e32 v8, vcc_lo, v44, v8, vcc_lo
	global_load_b128 v[23:26], v[7:8], off
	s_waitcnt vmcnt(0)
	ds_store_2addr_b64 v42, v[23:24], v[25:26] offset1:1
.LBB237_29:                             ;   in Loop: Header=BB237_24 Depth=2
	s_or_b32 exec_lo, exec_lo, s13
	v_mov_b32_e32 v7, 0
	v_mov_b32_e32 v8, 0
	s_waitcnt lgkmcnt(0)
	s_barrier
	buffer_gl0_inv
	s_and_saveexec_b32 s39, s12
	s_cbranch_execz .LBB237_58
; %bb.30:                               ;   in Loop: Header=BB237_24 Depth=2
	v_lshlrev_b64 v[7:8], 2, v[5:6]
	s_delay_alu instid0(VALU_DEP_1) | instskip(NEXT) | instid1(VALU_DEP_2)
	v_add_co_u32 v7, vcc_lo, s20, v7
	v_add_co_ci_u32_e32 v8, vcc_lo, s21, v8, vcc_lo
	s_and_b32 vcc_lo, exec_lo, s11
	global_load_b32 v7, v[7:8], off
	s_waitcnt vmcnt(0)
	v_subrev_nc_u32_e32 v23, s28, v7
	s_delay_alu instid0(VALU_DEP_1)
	v_ashrrev_i32_e32 v24, 31, v23
	s_cbranch_vccz .LBB237_60
; %bb.31:                               ;   in Loop: Header=BB237_24 Depth=2
	v_lshlrev_b64 v[7:8], 3, v[5:6]
	s_delay_alu instid0(VALU_DEP_1) | instskip(NEXT) | instid1(VALU_DEP_2)
	v_add_co_u32 v7, vcc_lo, s46, v7
	v_add_co_ci_u32_e32 v8, vcc_lo, s47, v8, vcc_lo
	global_load_b64 v[7:8], v[7:8], off
	s_cbranch_execnz .LBB237_33
.LBB237_32:                             ;   in Loop: Header=BB237_24 Depth=2
	s_waitcnt vmcnt(0)
	s_delay_alu instid0(VALU_DEP_1) | instskip(NEXT) | instid1(VALU_DEP_1)
	v_lshlrev_b64 v[7:8], 3, v[23:24]
	v_add_co_u32 v7, vcc_lo, s24, v7
	s_delay_alu instid0(VALU_DEP_2)
	v_add_co_ci_u32_e32 v8, vcc_lo, s25, v8, vcc_lo
	global_load_b64 v[7:8], v[7:8], off
	s_waitcnt vmcnt(0)
	v_sub_co_u32 v7, vcc_lo, v7, s42
	v_subrev_co_ci_u32_e32 v8, vcc_lo, 0, v8, vcc_lo
.LBB237_33:                             ;   in Loop: Header=BB237_24 Depth=2
	v_lshlrev_b64 v[23:24], 3, v[23:24]
	s_mov_b32 s49, exec_lo
	s_delay_alu instid0(VALU_DEP_1) | instskip(NEXT) | instid1(VALU_DEP_2)
	v_add_co_u32 v23, vcc_lo, s55, v23
	v_add_co_ci_u32_e32 v24, vcc_lo, s56, v24, vcc_lo
	global_load_b64 v[23:24], v[23:24], off
	s_waitcnt vmcnt(0)
	v_sub_co_u32 v23, vcc_lo, v23, s42
	v_subrev_co_ci_u32_e32 v24, vcc_lo, 0, v24, vcc_lo
	s_delay_alu instid0(VALU_DEP_1)
	v_cmpx_lt_i64_e64 v[7:8], v[23:24]
	s_cbranch_execz .LBB237_57
; %bb.34:                               ;   in Loop: Header=BB237_24 Depth=2
	v_mad_u64_u32 v[25:26], null, s16, v7, v[17:18]
	v_mul_lo_u32 v29, s16, v8
	v_mul_lo_u32 v30, s17, v7
	v_mad_u64_u32 v[27:28], null, s16, v7, v[19:20]
	s_mov_b32 s52, 0
	s_delay_alu instid0(VALU_DEP_2) | instskip(NEXT) | instid1(VALU_DEP_2)
	v_add3_u32 v26, v30, v26, v29
	v_add3_u32 v28, v30, v28, v29
	v_dual_mov_b32 v30, v8 :: v_dual_mov_b32 v29, v7
	s_branch .LBB237_37
.LBB237_35:                             ;   in Loop: Header=BB237_37 Depth=3
	s_or_b32 exec_lo, exec_lo, s60
	s_delay_alu instid0(SALU_CYCLE_1)
	s_or_b32 s53, s53, exec_lo
.LBB237_36:                             ;   in Loop: Header=BB237_37 Depth=3
	s_or_b32 exec_lo, exec_lo, s59
	v_add_co_u32 v29, vcc_lo, v29, 1
	v_add_co_ci_u32_e32 v30, vcc_lo, 0, v30, vcc_lo
	v_add_co_u32 v25, s13, v25, s16
	s_xor_b32 s53, s53, -1
	s_delay_alu instid0(VALU_DEP_2)
	v_cmp_ge_i64_e32 vcc_lo, v[29:30], v[23:24]
	v_add_co_ci_u32_e64 v26, s13, s17, v26, s13
	s_or_b32 s13, s53, vcc_lo
	v_add_co_u32 v27, vcc_lo, v27, s16
	v_add_co_ci_u32_e32 v28, vcc_lo, s17, v28, vcc_lo
	s_and_b32 s13, exec_lo, s13
	s_delay_alu instid0(SALU_CYCLE_1) | instskip(NEXT) | instid1(SALU_CYCLE_1)
	s_or_b32 s52, s13, s52
	s_and_not1_b32 exec_lo, exec_lo, s52
	s_cbranch_execz .LBB237_56
.LBB237_37:                             ;   Parent Loop BB237_15 Depth=1
                                        ;     Parent Loop BB237_24 Depth=2
                                        ; =>    This Loop Header: Depth=3
                                        ;         Child Loop BB237_46 Depth 4
                                        ;         Child Loop BB237_51 Depth 4
                                        ;         Child Loop BB237_53 Depth 4
                                        ;         Child Loop BB237_55 Depth 4
	s_delay_alu instid0(VALU_DEP_1) | instskip(NEXT) | instid1(VALU_DEP_1)
	v_lshlrev_b64 v[31:32], 2, v[29:30]
                                        ; implicit-def: $sgpr53
	v_add_co_u32 v31, vcc_lo, s26, v31
	s_delay_alu instid0(VALU_DEP_2) | instskip(SKIP_3) | instid1(VALU_DEP_1)
	v_add_co_ci_u32_e32 v32, vcc_lo, s27, v32, vcc_lo
	global_load_b32 v31, v[31:32], off
	s_waitcnt vmcnt(0)
	v_subrev_nc_u32_e32 v31, s29, v31
	v_cmp_lt_i32_e64 s13, v31, v64
	v_cmp_ge_i32_e32 vcc_lo, v31, v65
	s_delay_alu instid0(VALU_DEP_2) | instskip(NEXT) | instid1(SALU_CYCLE_1)
	s_or_b32 s13, s13, vcc_lo
	s_and_saveexec_b32 s59, s13
	s_delay_alu instid0(SALU_CYCLE_1)
	s_xor_b32 s13, exec_lo, s59
	s_cbranch_execz .LBB237_41
; %bb.38:                               ;   in Loop: Header=BB237_37 Depth=3
	s_mov_b32 s53, -1
	s_and_saveexec_b32 s59, vcc_lo
; %bb.39:                               ;   in Loop: Header=BB237_37 Depth=3
	v_min_i32_e32 v66, v31, v66
	v_dual_mov_b32 v7, v29 :: v_dual_mov_b32 v8, v30
	s_xor_b32 s53, exec_lo, -1
; %bb.40:                               ;   in Loop: Header=BB237_37 Depth=3
	s_or_b32 exec_lo, exec_lo, s59
	s_delay_alu instid0(SALU_CYCLE_1)
	s_and_b32 s53, s53, exec_lo
                                        ; implicit-def: $vgpr31
.LBB237_41:                             ;   in Loop: Header=BB237_37 Depth=3
	s_and_not1_saveexec_b32 s59, s13
	s_cbranch_execz .LBB237_36
; %bb.42:                               ;   in Loop: Header=BB237_37 Depth=3
	v_sub_nc_u32_e32 v37, v31, v64
	s_delay_alu instid0(VALU_DEP_1)
	v_lshlrev_b32_e32 v31, 2, v37
	ds_store_b32 v31, v63 offset:20480
	s_and_saveexec_b32 s60, s2
	s_cbranch_execz .LBB237_35
; %bb.43:                               ;   in Loop: Header=BB237_37 Depth=3
	v_cndmask_b32_e64 v31, 0, 1, s43
	s_and_not1_b32 vcc_lo, exec_lo, s36
	s_delay_alu instid0(VALU_DEP_1)
	v_cmp_ne_u32_e64 s13, 1, v31
	s_cbranch_vccnz .LBB237_48
; %bb.44:                               ;   in Loop: Header=BB237_37 Depth=3
	v_mov_b32_e32 v31, 0
	v_mov_b32_e32 v32, 0
	s_delay_alu instid0(VALU_DEP_3) | instskip(NEXT) | instid1(VALU_DEP_1)
	s_and_b32 vcc_lo, exec_lo, s13
	v_dual_mov_b32 v34, v32 :: v_dual_mov_b32 v33, v31
	s_cbranch_vccnz .LBB237_47
; %bb.45:                               ;   in Loop: Header=BB237_37 Depth=3
	v_dual_mov_b32 v31, 0 :: v_dual_mov_b32 v36, v26
	v_dual_mov_b32 v32, 0 :: v_dual_mov_b32 v35, v25
	v_mov_b32_e32 v38, v60
	s_mov_b32 s13, s38
	s_delay_alu instid0(VALU_DEP_2)
	v_dual_mov_b32 v34, v32 :: v_dual_mov_b32 v33, v31
	.p2align	6
.LBB237_46:                             ;   Parent Loop BB237_15 Depth=1
                                        ;     Parent Loop BB237_24 Depth=2
                                        ;       Parent Loop BB237_37 Depth=3
                                        ; =>      This Inner Loop Header: Depth=4
	global_load_b128 v[67:70], v[35:36], off offset:-8
	ds_load_b128 v[71:74], v38
	v_add_co_u32 v35, vcc_lo, v35, 16
	v_add_nc_u32_e32 v38, 64, v38
	v_add_co_ci_u32_e32 v36, vcc_lo, 0, v36, vcc_lo
	s_add_i32 s13, s13, -1
	s_delay_alu instid0(SALU_CYCLE_1) | instskip(SKIP_3) | instid1(VALU_DEP_2)
	s_cmp_lg_u32 s13, 0
	s_waitcnt vmcnt(0) lgkmcnt(0)
	v_fma_f64 v[31:32], v[71:72], v[67:68], v[31:32]
	v_fma_f64 v[33:34], v[73:74], v[67:68], v[33:34]
	v_fma_f64 v[31:32], -v[73:74], v[69:70], v[31:32]
	s_delay_alu instid0(VALU_DEP_2)
	v_fma_f64 v[33:34], v[71:72], v[69:70], v[33:34]
	s_cbranch_scc1 .LBB237_46
.LBB237_47:                             ;   in Loop: Header=BB237_37 Depth=3
	s_cbranch_execz .LBB237_49
	s_branch .LBB237_52
.LBB237_48:                             ;   in Loop: Header=BB237_37 Depth=3
                                        ; implicit-def: $vgpr31_vgpr32
                                        ; implicit-def: $vgpr33_vgpr34
.LBB237_49:                             ;   in Loop: Header=BB237_37 Depth=3
	v_mov_b32_e32 v31, 0
	v_mov_b32_e32 v32, 0
	s_and_not1_b32 vcc_lo, exec_lo, s43
	s_delay_alu instid0(VALU_DEP_1)
	v_dual_mov_b32 v34, v32 :: v_dual_mov_b32 v33, v31
	s_cbranch_vccnz .LBB237_52
; %bb.50:                               ;   in Loop: Header=BB237_37 Depth=3
	v_dual_mov_b32 v31, 0 :: v_dual_mov_b32 v38, v61
	v_mov_b32_e32 v32, 0
	v_dual_mov_b32 v36, v28 :: v_dual_mov_b32 v35, v27
	s_mov_b32 s13, s38
	s_delay_alu instid0(VALU_DEP_2)
	v_dual_mov_b32 v34, v32 :: v_dual_mov_b32 v33, v31
	.p2align	6
.LBB237_51:                             ;   Parent Loop BB237_15 Depth=1
                                        ;     Parent Loop BB237_24 Depth=2
                                        ;       Parent Loop BB237_37 Depth=3
                                        ; =>      This Inner Loop Header: Depth=4
	global_load_b128 v[67:70], v[35:36], off offset:-8
	ds_load_b128 v[71:74], v38
	v_add_co_u32 v35, vcc_lo, v35, s22
	v_add_co_ci_u32_e32 v36, vcc_lo, s23, v36, vcc_lo
	v_add_nc_u32_e32 v38, 16, v38
	s_add_i32 s13, s13, -1
	s_delay_alu instid0(SALU_CYCLE_1) | instskip(SKIP_3) | instid1(VALU_DEP_2)
	s_cmp_eq_u32 s13, 0
	s_waitcnt vmcnt(0) lgkmcnt(0)
	v_fma_f64 v[31:32], v[71:72], v[67:68], v[31:32]
	v_fma_f64 v[33:34], v[73:74], v[67:68], v[33:34]
	v_fma_f64 v[31:32], -v[73:74], v[69:70], v[31:32]
	s_delay_alu instid0(VALU_DEP_2)
	v_fma_f64 v[33:34], v[71:72], v[69:70], v[33:34]
	s_cbranch_scc0 .LBB237_51
.LBB237_52:                             ;   in Loop: Header=BB237_37 Depth=3
	s_delay_alu instid0(VALU_DEP_1) | instskip(SKIP_2) | instid1(VALU_DEP_1)
	v_mul_f64 v[35:36], v[33:34], -v[13:14]
	v_lshlrev_b32_e32 v37, 4, v37
	s_mov_b32 s13, 0
	v_or3_b32 v37, v37, v45, v40
	s_delay_alu instid0(VALU_DEP_1)
	v_lshlrev_b32_e32 v67, 4, v37
	ds_load_b64 v[37:38], v67
	v_fma_f64 v[35:36], v[9:10], v[31:32], v[35:36]
.LBB237_53:                             ;   Parent Loop BB237_15 Depth=1
                                        ;     Parent Loop BB237_24 Depth=2
                                        ;       Parent Loop BB237_37 Depth=3
                                        ; =>      This Inner Loop Header: Depth=4
	s_waitcnt lgkmcnt(0)
	s_delay_alu instid0(VALU_DEP_1)
	v_add_f64 v[68:69], v[37:38], v[35:36]
	ds_cmpstore_rtn_b64 v[68:69], v67, v[68:69], v[37:38]
	s_waitcnt lgkmcnt(0)
	v_cmp_eq_u64_e32 vcc_lo, v[68:69], v[37:38]
	v_dual_mov_b32 v37, v68 :: v_dual_mov_b32 v38, v69
	s_or_b32 s13, vcc_lo, s13
	s_delay_alu instid0(SALU_CYCLE_1)
	s_and_not1_b32 exec_lo, exec_lo, s13
	s_cbranch_execnz .LBB237_53
; %bb.54:                               ;   in Loop: Header=BB237_37 Depth=3
	s_or_b32 exec_lo, exec_lo, s13
	v_mul_f64 v[33:34], v[9:10], v[33:34]
	s_mov_b32 s13, 0
	s_delay_alu instid0(VALU_DEP_1)
	v_fma_f64 v[31:32], v[13:14], v[31:32], v[33:34]
	ds_load_b64 v[33:34], v67 offset:8
.LBB237_55:                             ;   Parent Loop BB237_15 Depth=1
                                        ;     Parent Loop BB237_24 Depth=2
                                        ;       Parent Loop BB237_37 Depth=3
                                        ; =>      This Inner Loop Header: Depth=4
	s_waitcnt lgkmcnt(0)
	v_add_f64 v[35:36], v[33:34], v[31:32]
	ds_cmpstore_rtn_b64 v[35:36], v67, v[35:36], v[33:34] offset:8
	s_waitcnt lgkmcnt(0)
	v_cmp_eq_u64_e32 vcc_lo, v[35:36], v[33:34]
	v_dual_mov_b32 v33, v35 :: v_dual_mov_b32 v34, v36
	s_or_b32 s13, vcc_lo, s13
	s_delay_alu instid0(SALU_CYCLE_1)
	s_and_not1_b32 exec_lo, exec_lo, s13
	s_cbranch_execnz .LBB237_55
	s_branch .LBB237_35
.LBB237_56:                             ;   in Loop: Header=BB237_24 Depth=2
	s_or_b32 exec_lo, exec_lo, s52
.LBB237_57:                             ;   in Loop: Header=BB237_24 Depth=2
	s_delay_alu instid0(SALU_CYCLE_1)
	s_or_b32 exec_lo, exec_lo, s49
.LBB237_58:                             ;   in Loop: Header=BB237_24 Depth=2
	s_delay_alu instid0(SALU_CYCLE_1)
	s_or_b32 exec_lo, exec_lo, s39
	s_waitcnt lgkmcnt(0)
	s_barrier
	buffer_gl0_inv
	s_and_saveexec_b32 s13, s12
	s_cbranch_execz .LBB237_23
; %bb.59:                               ;   in Loop: Header=BB237_24 Depth=2
	v_lshlrev_b64 v[5:6], 3, v[5:6]
	s_delay_alu instid0(VALU_DEP_1) | instskip(NEXT) | instid1(VALU_DEP_2)
	v_add_co_u32 v5, vcc_lo, s46, v5
	v_add_co_ci_u32_e32 v6, vcc_lo, s47, v6, vcc_lo
	global_store_b64 v[5:6], v[7:8], off
	s_branch .LBB237_23
.LBB237_60:                             ;   in Loop: Header=BB237_24 Depth=2
                                        ; implicit-def: $vgpr7_vgpr8
	s_branch .LBB237_32
.LBB237_61:                             ;   in Loop: Header=BB237_15 Depth=1
	s_and_not1_b32 vcc_lo, exec_lo, s33
	s_cbranch_vccnz .LBB237_76
; %bb.62:                               ;   in Loop: Header=BB237_15 Depth=1
	s_load_b128 s[60:63], s[18:19], 0x0
	s_mov_b32 s13, exec_lo
	s_waitcnt lgkmcnt(0)
	v_add_co_u32 v23, vcc_lo, s60, v46
	v_add_co_ci_u32_e32 v24, vcc_lo, s61, v47, vcc_lo
	s_sub_u32 s40, s62, s50
	s_subb_u32 s41, s63, 0
	s_delay_alu instid0(VALU_DEP_1) | instid1(SALU_CYCLE_1)
	v_cmpx_gt_i64_e64 s[40:41], v[23:24]
	s_cbranch_execz .LBB237_75
; %bb.63:                               ;   in Loop: Header=BB237_15 Depth=1
	s_mov_b32 s39, 0
	s_branch .LBB237_66
.LBB237_64:                             ;   in Loop: Header=BB237_66 Depth=2
	s_or_b32 exec_lo, exec_lo, s49
	s_delay_alu instid0(SALU_CYCLE_1)
	s_or_b32 s11, s11, exec_lo
.LBB237_65:                             ;   in Loop: Header=BB237_66 Depth=2
	s_or_b32 exec_lo, exec_lo, s12
	v_add_co_u32 v23, vcc_lo, v23, 16
	v_add_co_ci_u32_e32 v24, vcc_lo, 0, v24, vcc_lo
	s_xor_b32 s11, s11, -1
	s_delay_alu instid0(VALU_DEP_1) | instskip(SKIP_1) | instid1(SALU_CYCLE_1)
	v_cmp_le_i64_e32 vcc_lo, s[40:41], v[23:24]
	s_or_b32 s11, s11, vcc_lo
	s_and_b32 s11, exec_lo, s11
	s_delay_alu instid0(SALU_CYCLE_1) | instskip(NEXT) | instid1(SALU_CYCLE_1)
	s_or_b32 s39, s11, s39
	s_and_not1_b32 exec_lo, exec_lo, s39
	s_cbranch_execz .LBB237_74
.LBB237_66:                             ;   Parent Loop BB237_15 Depth=1
                                        ; =>  This Loop Header: Depth=2
                                        ;       Child Loop BB237_71 Depth 3
                                        ;       Child Loop BB237_73 Depth 3
	v_lshlrev_b64 v[5:6], 2, v[23:24]
	s_delay_alu instid0(VALU_DEP_1) | instskip(NEXT) | instid1(VALU_DEP_2)
	v_add_co_u32 v5, vcc_lo, s14, v5
	v_add_co_ci_u32_e32 v6, vcc_lo, s15, v6, vcc_lo
	global_load_b32 v5, v[5:6], off
	s_waitcnt vmcnt(0)
	v_subrev_nc_u32_e32 v5, s31, v5
	s_delay_alu instid0(VALU_DEP_1) | instskip(SKIP_2) | instid1(VALU_DEP_2)
	v_cmp_lt_i32_e64 s11, v5, v64
	v_cmp_ge_i32_e64 s12, v5, v65
	v_cmp_lt_i32_e32 vcc_lo, v5, v65
	s_or_b32 s12, s11, s12
                                        ; implicit-def: $sgpr11
	s_delay_alu instid0(SALU_CYCLE_1) | instskip(NEXT) | instid1(SALU_CYCLE_1)
	s_and_saveexec_b32 s49, s12
	s_xor_b32 s12, exec_lo, s49
; %bb.67:                               ;   in Loop: Header=BB237_66 Depth=2
	v_min_i32_e32 v5, v5, v66
	s_and_b32 s11, vcc_lo, exec_lo
	s_delay_alu instid0(VALU_DEP_1)
	v_cndmask_b32_e32 v66, v5, v66, vcc_lo
                                        ; implicit-def: $vgpr5
; %bb.68:                               ;   in Loop: Header=BB237_66 Depth=2
	s_and_not1_saveexec_b32 s12, s12
	s_cbranch_execz .LBB237_65
; %bb.69:                               ;   in Loop: Header=BB237_66 Depth=2
	v_sub_nc_u32_e32 v27, v5, v64
	s_delay_alu instid0(VALU_DEP_1)
	v_lshlrev_b32_e32 v5, 2, v27
	ds_store_b32 v5, v63 offset:20480
	s_and_saveexec_b32 s49, s2
	s_cbranch_execz .LBB237_64
; %bb.70:                               ;   in Loop: Header=BB237_66 Depth=2
	v_mad_u64_u32 v[5:6], null, v23, s48, 0
	s_mov_b32 s52, 0
	v_lshlrev_b32_e32 v27, 4, v27
	s_delay_alu instid0(VALU_DEP_2) | instskip(NEXT) | instid1(VALU_DEP_2)
	v_mad_u64_u32 v[7:8], null, v24, s48, v[6:7]
	v_or3_b32 v27, v27, v45, v40
	s_delay_alu instid0(VALU_DEP_1) | instskip(SKIP_2) | instid1(VALU_DEP_1)
	v_dual_mov_b32 v6, v7 :: v_dual_lshlrev_b32 v29, 4, v27
	ds_load_b64 v[27:28], v29
	v_lshlrev_b64 v[5:6], 4, v[5:6]
	v_add_co_u32 v5, vcc_lo, v59, v5
	s_delay_alu instid0(VALU_DEP_2) | instskip(SKIP_3) | instid1(VALU_DEP_1)
	v_add_co_ci_u32_e32 v6, vcc_lo, v58, v6, vcc_lo
	global_load_b128 v[5:8], v[5:6], off
	s_waitcnt vmcnt(0)
	v_mul_f64 v[25:26], v[7:8], -v[11:12]
	v_fma_f64 v[25:26], v[15:16], v[5:6], v[25:26]
.LBB237_71:                             ;   Parent Loop BB237_15 Depth=1
                                        ;     Parent Loop BB237_66 Depth=2
                                        ; =>    This Inner Loop Header: Depth=3
	s_waitcnt lgkmcnt(0)
	s_delay_alu instid0(VALU_DEP_1)
	v_add_f64 v[30:31], v[27:28], v[25:26]
	ds_cmpstore_rtn_b64 v[30:31], v29, v[30:31], v[27:28]
	s_waitcnt lgkmcnt(0)
	v_cmp_eq_u64_e32 vcc_lo, v[30:31], v[27:28]
	v_dual_mov_b32 v27, v30 :: v_dual_mov_b32 v28, v31
	s_or_b32 s52, vcc_lo, s52
	s_delay_alu instid0(SALU_CYCLE_1)
	s_and_not1_b32 exec_lo, exec_lo, s52
	s_cbranch_execnz .LBB237_71
; %bb.72:                               ;   in Loop: Header=BB237_66 Depth=2
	s_or_b32 exec_lo, exec_lo, s52
	v_mul_f64 v[7:8], v[15:16], v[7:8]
	s_mov_b32 s52, 0
	s_delay_alu instid0(VALU_DEP_1)
	v_fma_f64 v[5:6], v[11:12], v[5:6], v[7:8]
	ds_load_b64 v[7:8], v29 offset:8
.LBB237_73:                             ;   Parent Loop BB237_15 Depth=1
                                        ;     Parent Loop BB237_66 Depth=2
                                        ; =>    This Inner Loop Header: Depth=3
	s_waitcnt lgkmcnt(0)
	v_add_f64 v[25:26], v[7:8], v[5:6]
	ds_cmpstore_rtn_b64 v[25:26], v29, v[25:26], v[7:8] offset:8
	s_waitcnt lgkmcnt(0)
	v_cmp_eq_u64_e32 vcc_lo, v[25:26], v[7:8]
	v_dual_mov_b32 v7, v25 :: v_dual_mov_b32 v8, v26
	s_or_b32 s52, vcc_lo, s52
	s_delay_alu instid0(SALU_CYCLE_1)
	s_and_not1_b32 exec_lo, exec_lo, s52
	s_cbranch_execnz .LBB237_73
	s_branch .LBB237_64
.LBB237_74:                             ;   in Loop: Header=BB237_15 Depth=1
	s_or_b32 exec_lo, exec_lo, s39
.LBB237_75:                             ;   in Loop: Header=BB237_15 Depth=1
	s_delay_alu instid0(SALU_CYCLE_1)
	s_or_b32 exec_lo, exec_lo, s13
.LBB237_76:                             ;   in Loop: Header=BB237_15 Depth=1
	s_and_saveexec_b32 s11, s4
	s_cbranch_execz .LBB237_81
; %bb.77:                               ;   in Loop: Header=BB237_15 Depth=1
	s_mov_b32 s13, exec_lo
	s_brev_b32 s12, -2
.LBB237_78:                             ;   Parent Loop BB237_15 Depth=1
                                        ; =>  This Inner Loop Header: Depth=2
	s_ctz_i32_b32 s39, s13
	s_delay_alu instid0(SALU_CYCLE_1) | instskip(SKIP_1) | instid1(SALU_CYCLE_1)
	v_readlane_b32 s40, v66, s39
	s_lshl_b32 s39, 1, s39
	s_and_not1_b32 s13, s13, s39
	s_delay_alu instid0(VALU_DEP_1)
	s_min_i32 s12, s12, s40
	s_cmp_lg_u32 s13, 0
	s_cbranch_scc1 .LBB237_78
; %bb.79:                               ;   in Loop: Header=BB237_15 Depth=1
	v_mbcnt_lo_u32_b32 v5, exec_lo, 0
	s_mov_b32 s13, exec_lo
	s_delay_alu instid0(VALU_DEP_1)
	v_cmpx_eq_u32_e32 0, v5
	s_xor_b32 s13, exec_lo, s13
	s_cbranch_execz .LBB237_81
; %bb.80:                               ;   in Loop: Header=BB237_15 Depth=1
	v_mov_b32_e32 v5, s12
	ds_min_i32 v1, v5 offset:20736
.LBB237_81:                             ;   in Loop: Header=BB237_15 Depth=1
	s_or_b32 exec_lo, exec_lo, s11
	s_waitcnt lgkmcnt(0)
	s_waitcnt_vscnt null, 0x0
	s_barrier
	buffer_gl0_inv
	ds_load_b32 v5, v48
	s_waitcnt lgkmcnt(0)
	s_barrier
	buffer_gl0_inv
	s_and_saveexec_b32 s11, s5
	s_cbranch_execz .LBB237_83
; %bb.82:                               ;   in Loop: Header=BB237_15 Depth=1
	ds_load_b32 v6, v49
	s_waitcnt lgkmcnt(0)
	v_add_nc_u32_e32 v5, v6, v5
.LBB237_83:                             ;   in Loop: Header=BB237_15 Depth=1
	s_or_b32 exec_lo, exec_lo, s11
	s_barrier
	buffer_gl0_inv
	ds_store_b32 v48, v5
	s_waitcnt lgkmcnt(0)
	s_barrier
	buffer_gl0_inv
	s_and_saveexec_b32 s11, s6
	s_cbranch_execz .LBB237_85
; %bb.84:                               ;   in Loop: Header=BB237_15 Depth=1
	ds_load_b32 v6, v51
	s_waitcnt lgkmcnt(0)
	v_add_nc_u32_e32 v5, v6, v5
.LBB237_85:                             ;   in Loop: Header=BB237_15 Depth=1
	s_or_b32 exec_lo, exec_lo, s11
	s_barrier
	buffer_gl0_inv
	ds_store_b32 v48, v5
	;; [unrolled: 14-line block ×6, first 2 shown]
	s_waitcnt lgkmcnt(0)
	s_barrier
	buffer_gl0_inv
	ds_load_b32 v6, v1 offset:20732
	v_mov_b32_e32 v7, 0
	s_and_saveexec_b32 s11, s51
	s_cbranch_execz .LBB237_95
; %bb.94:                               ;   in Loop: Header=BB237_15 Depth=1
	ds_load_b32 v7, v49
.LBB237_95:                             ;   in Loop: Header=BB237_15 Depth=1
	s_or_b32 exec_lo, exec_lo, s11
	s_waitcnt lgkmcnt(0)
	v_cmp_eq_u32_e32 vcc_lo, v5, v7
	s_barrier
	buffer_gl0_inv
	s_and_b32 s12, s51, vcc_lo
	s_delay_alu instid0(SALU_CYCLE_1)
	s_and_saveexec_b32 s11, s12
	s_cbranch_execz .LBB237_97
; %bb.96:                               ;   in Loop: Header=BB237_15 Depth=1
	ds_store_b32 v48, v1
.LBB237_97:                             ;   in Loop: Header=BB237_15 Depth=1
	s_or_b32 exec_lo, exec_lo, s11
	v_add_co_u32 v5, vcc_lo, v21, -1
	v_add_co_ci_u32_e32 v7, vcc_lo, -1, v22, vcc_lo
	v_dual_mov_b32 v23, v62 :: v_dual_add_nc_u32 v8, s30, v64
	v_dual_mov_b32 v24, v41 :: v_dual_mov_b32 v25, v39
	s_mov_b32 s11, 0
	s_waitcnt lgkmcnt(0)
	s_barrier
	buffer_gl0_inv
	s_set_inst_prefetch_distance 0x1
	s_branch .LBB237_99
	.p2align	6
.LBB237_98:                             ;   in Loop: Header=BB237_99 Depth=2
	s_or_b32 exec_lo, exec_lo, s12
	v_add_nc_u32_e32 v26, 16, v25
	v_cmp_lt_u32_e32 vcc_lo, 47, v25
	v_add_nc_u32_e32 v24, 0x1000, v24
	v_add_nc_u32_e32 v23, 64, v23
	s_delay_alu instid0(VALU_DEP_4) | instskip(SKIP_1) | instid1(SALU_CYCLE_1)
	v_mov_b32_e32 v25, v26
	s_or_b32 s11, vcc_lo, s11
	s_and_not1_b32 exec_lo, exec_lo, s11
	s_cbranch_execz .LBB237_14
.LBB237_99:                             ;   Parent Loop BB237_15 Depth=1
                                        ; =>  This Inner Loop Header: Depth=2
	ds_load_b32 v26, v23
	s_mov_b32 s12, exec_lo
	s_waitcnt lgkmcnt(0)
	v_cmpx_ne_u32_e32 0, v26
	s_cbranch_execz .LBB237_98
; %bb.100:                              ;   in Loop: Header=BB237_99 Depth=2
	v_ashrrev_i32_e32 v27, 31, v26
	v_add_co_u32 v28, vcc_lo, v21, v26
	v_add_nc_u32_e32 v30, v8, v25
	s_delay_alu instid0(VALU_DEP_3) | instskip(NEXT) | instid1(VALU_DEP_1)
	v_add_co_ci_u32_e32 v29, vcc_lo, v22, v27, vcc_lo
	v_lshlrev_b64 v[28:29], 2, v[28:29]
	s_delay_alu instid0(VALU_DEP_1) | instskip(NEXT) | instid1(VALU_DEP_2)
	v_add_co_u32 v28, vcc_lo, s57, v28
	v_add_co_ci_u32_e32 v29, vcc_lo, s58, v29, vcc_lo
	global_store_b32 v[28:29], v30, off
	s_and_b32 exec_lo, exec_lo, s2
	s_cbranch_execz .LBB237_98
; %bb.101:                              ;   in Loop: Header=BB237_99 Depth=2
	v_add_co_u32 v26, vcc_lo, v5, v26
	v_add_co_ci_u32_e32 v27, vcc_lo, v7, v27, vcc_lo
	s_delay_alu instid0(VALU_DEP_2) | instskip(NEXT) | instid1(VALU_DEP_1)
	v_mad_u64_u32 v[30:31], null, v26, s48, 0
	v_mov_b32_e32 v26, v31
	s_delay_alu instid0(VALU_DEP_1) | instskip(SKIP_2) | instid1(VALU_DEP_1)
	v_mad_u64_u32 v[31:32], null, v27, s48, v[26:27]
	ds_load_2addr_b64 v[26:29], v24 offset1:1
	v_lshlrev_b64 v[30:31], 4, v[30:31]
	v_add_co_u32 v30, vcc_lo, v57, v30
	s_delay_alu instid0(VALU_DEP_2)
	v_add_co_ci_u32_e32 v31, vcc_lo, v56, v31, vcc_lo
	s_waitcnt lgkmcnt(0)
	global_store_b128 v[30:31], v[26:29], off
	s_branch .LBB237_98
.LBB237_102:
	s_endpgm
	.section	.rodata,"a",@progbits
	.p2align	6, 0x0
	.amdhsa_kernel _ZN9rocsparseL38bsrgemm_block_per_row_atomic_multipassILj256ELj64ELj4Eli21rocsparse_complex_numIdEEEv20rocsparse_direction_T3_S4_PKS4_S6_NS_24const_host_device_scalarIT4_EEPKT2_S6_PKS8_SC_S6_SE_S9_SC_S6_SE_SC_PS4_PS8_PSA_21rocsparse_index_base_SI_SI_SI_bbb
		.amdhsa_group_segment_fixed_size 20744
		.amdhsa_private_segment_fixed_size 24
		.amdhsa_kernarg_size 188
		.amdhsa_user_sgpr_count 15
		.amdhsa_user_sgpr_dispatch_ptr 0
		.amdhsa_user_sgpr_queue_ptr 0
		.amdhsa_user_sgpr_kernarg_segment_ptr 1
		.amdhsa_user_sgpr_dispatch_id 0
		.amdhsa_user_sgpr_private_segment_size 0
		.amdhsa_wavefront_size32 1
		.amdhsa_uses_dynamic_stack 0
		.amdhsa_enable_private_segment 1
		.amdhsa_system_sgpr_workgroup_id_x 1
		.amdhsa_system_sgpr_workgroup_id_y 0
		.amdhsa_system_sgpr_workgroup_id_z 0
		.amdhsa_system_sgpr_workgroup_info 0
		.amdhsa_system_vgpr_workitem_id 0
		.amdhsa_next_free_vgpr 75
		.amdhsa_next_free_sgpr 64
		.amdhsa_reserve_vcc 1
		.amdhsa_float_round_mode_32 0
		.amdhsa_float_round_mode_16_64 0
		.amdhsa_float_denorm_mode_32 3
		.amdhsa_float_denorm_mode_16_64 3
		.amdhsa_dx10_clamp 1
		.amdhsa_ieee_mode 1
		.amdhsa_fp16_overflow 0
		.amdhsa_workgroup_processor_mode 1
		.amdhsa_memory_ordered 1
		.amdhsa_forward_progress 0
		.amdhsa_shared_vgpr_count 0
		.amdhsa_exception_fp_ieee_invalid_op 0
		.amdhsa_exception_fp_denorm_src 0
		.amdhsa_exception_fp_ieee_div_zero 0
		.amdhsa_exception_fp_ieee_overflow 0
		.amdhsa_exception_fp_ieee_underflow 0
		.amdhsa_exception_fp_ieee_inexact 0
		.amdhsa_exception_int_div_zero 0
	.end_amdhsa_kernel
	.section	.text._ZN9rocsparseL38bsrgemm_block_per_row_atomic_multipassILj256ELj64ELj4Eli21rocsparse_complex_numIdEEEv20rocsparse_direction_T3_S4_PKS4_S6_NS_24const_host_device_scalarIT4_EEPKT2_S6_PKS8_SC_S6_SE_S9_SC_S6_SE_SC_PS4_PS8_PSA_21rocsparse_index_base_SI_SI_SI_bbb,"axG",@progbits,_ZN9rocsparseL38bsrgemm_block_per_row_atomic_multipassILj256ELj64ELj4Eli21rocsparse_complex_numIdEEEv20rocsparse_direction_T3_S4_PKS4_S6_NS_24const_host_device_scalarIT4_EEPKT2_S6_PKS8_SC_S6_SE_S9_SC_S6_SE_SC_PS4_PS8_PSA_21rocsparse_index_base_SI_SI_SI_bbb,comdat
.Lfunc_end237:
	.size	_ZN9rocsparseL38bsrgemm_block_per_row_atomic_multipassILj256ELj64ELj4Eli21rocsparse_complex_numIdEEEv20rocsparse_direction_T3_S4_PKS4_S6_NS_24const_host_device_scalarIT4_EEPKT2_S6_PKS8_SC_S6_SE_S9_SC_S6_SE_SC_PS4_PS8_PSA_21rocsparse_index_base_SI_SI_SI_bbb, .Lfunc_end237-_ZN9rocsparseL38bsrgemm_block_per_row_atomic_multipassILj256ELj64ELj4Eli21rocsparse_complex_numIdEEEv20rocsparse_direction_T3_S4_PKS4_S6_NS_24const_host_device_scalarIT4_EEPKT2_S6_PKS8_SC_S6_SE_S9_SC_S6_SE_SC_PS4_PS8_PSA_21rocsparse_index_base_SI_SI_SI_bbb
                                        ; -- End function
	.section	.AMDGPU.csdata,"",@progbits
; Kernel info:
; codeLenInByte = 4396
; NumSgprs: 66
; NumVgprs: 75
; ScratchSize: 24
; MemoryBound: 0
; FloatMode: 240
; IeeeMode: 1
; LDSByteSize: 20744 bytes/workgroup (compile time only)
; SGPRBlocks: 8
; VGPRBlocks: 9
; NumSGPRsForWavesPerEU: 66
; NumVGPRsForWavesPerEU: 75
; Occupancy: 12
; WaveLimiterHint : 1
; COMPUTE_PGM_RSRC2:SCRATCH_EN: 1
; COMPUTE_PGM_RSRC2:USER_SGPR: 15
; COMPUTE_PGM_RSRC2:TRAP_HANDLER: 0
; COMPUTE_PGM_RSRC2:TGID_X_EN: 1
; COMPUTE_PGM_RSRC2:TGID_Y_EN: 0
; COMPUTE_PGM_RSRC2:TGID_Z_EN: 0
; COMPUTE_PGM_RSRC2:TIDIG_COMP_CNT: 0
	.section	.text._ZN9rocsparseL38bsrgemm_block_per_row_atomic_multipassILj256ELj128ELj4Eli21rocsparse_complex_numIdEEEv20rocsparse_direction_T3_S4_PKS4_S6_NS_24const_host_device_scalarIT4_EEPKT2_S6_PKS8_SC_S6_SE_S9_SC_S6_SE_SC_PS4_PS8_PSA_21rocsparse_index_base_SI_SI_SI_bbb,"axG",@progbits,_ZN9rocsparseL38bsrgemm_block_per_row_atomic_multipassILj256ELj128ELj4Eli21rocsparse_complex_numIdEEEv20rocsparse_direction_T3_S4_PKS4_S6_NS_24const_host_device_scalarIT4_EEPKT2_S6_PKS8_SC_S6_SE_S9_SC_S6_SE_SC_PS4_PS8_PSA_21rocsparse_index_base_SI_SI_SI_bbb,comdat
	.globl	_ZN9rocsparseL38bsrgemm_block_per_row_atomic_multipassILj256ELj128ELj4Eli21rocsparse_complex_numIdEEEv20rocsparse_direction_T3_S4_PKS4_S6_NS_24const_host_device_scalarIT4_EEPKT2_S6_PKS8_SC_S6_SE_S9_SC_S6_SE_SC_PS4_PS8_PSA_21rocsparse_index_base_SI_SI_SI_bbb ; -- Begin function _ZN9rocsparseL38bsrgemm_block_per_row_atomic_multipassILj256ELj128ELj4Eli21rocsparse_complex_numIdEEEv20rocsparse_direction_T3_S4_PKS4_S6_NS_24const_host_device_scalarIT4_EEPKT2_S6_PKS8_SC_S6_SE_S9_SC_S6_SE_SC_PS4_PS8_PSA_21rocsparse_index_base_SI_SI_SI_bbb
	.p2align	8
	.type	_ZN9rocsparseL38bsrgemm_block_per_row_atomic_multipassILj256ELj128ELj4Eli21rocsparse_complex_numIdEEEv20rocsparse_direction_T3_S4_PKS4_S6_NS_24const_host_device_scalarIT4_EEPKT2_S6_PKS8_SC_S6_SE_S9_SC_S6_SE_SC_PS4_PS8_PSA_21rocsparse_index_base_SI_SI_SI_bbb,@function
_ZN9rocsparseL38bsrgemm_block_per_row_atomic_multipassILj256ELj128ELj4Eli21rocsparse_complex_numIdEEEv20rocsparse_direction_T3_S4_PKS4_S6_NS_24const_host_device_scalarIT4_EEPKT2_S6_PKS8_SC_S6_SE_S9_SC_S6_SE_SC_PS4_PS8_PSA_21rocsparse_index_base_SI_SI_SI_bbb: ; @_ZN9rocsparseL38bsrgemm_block_per_row_atomic_multipassILj256ELj128ELj4Eli21rocsparse_complex_numIdEEEv20rocsparse_direction_T3_S4_PKS4_S6_NS_24const_host_device_scalarIT4_EEPKT2_S6_PKS8_SC_S6_SE_S9_SC_S6_SE_SC_PS4_PS8_PSA_21rocsparse_index_base_SI_SI_SI_bbb
; %bb.0:
	s_mov_b32 s12, s15
	s_load_b32 s13, s[2:3], 0xb8
	s_load_b64 s[14:15], s[0:1], 0x4
	v_dual_mov_b32 v12, 0 :: v_dual_and_b32 v1, 0x3ff, v0
	s_clause 0x1
	s_load_b128 s[8:11], s[2:3], 0x20
	s_load_b128 s[4:7], s[2:3], 0x60
	v_bfe_u32 v3, v0, 10, 10
	s_load_b128 s[36:39], s[2:3], 0xa8
	v_bfe_u32 v0, v0, 20, 10
	v_mov_b32_e32 v13, 0
	s_waitcnt lgkmcnt(0)
	s_bitcmp1_b32 s13, 0
	s_cselect_b32 s56, -1, 0
	s_bitcmp1_b32 s13, 16
	v_mov_b32_e32 v4, s4
	s_cselect_b32 s0, -1, 0
	s_lshr_b32 s1, s14, 16
	s_delay_alu instid0(SALU_CYCLE_1) | instskip(NEXT) | instid1(SALU_CYCLE_1)
	s_mul_i32 s1, s1, s15
	v_mul_lo_u32 v2, s1, v1
	s_xor_b32 s1, s0, -1
	s_bitcmp0_b32 s13, 0
	v_cndmask_b32_e64 v6, 0, 1, s1
	s_delay_alu instid0(VALU_DEP_2) | instskip(NEXT) | instid1(VALU_DEP_2)
	v_mad_u32_u24 v2, v3, s15, v2
	v_cmp_ne_u32_e32 vcc_lo, 1, v6
	s_delay_alu instid0(VALU_DEP_2) | instskip(SKIP_3) | instid1(VALU_DEP_4)
	v_add_lshl_u32 v0, v2, v0, 3
	v_dual_mov_b32 v2, s8 :: v_dual_mov_b32 v3, s9
	v_mov_b32_e32 v5, s5
	v_dual_mov_b32 v15, v13 :: v_dual_mov_b32 v14, v12
	v_dual_mov_b32 v17, v13 :: v_dual_add_nc_u32 v6, 8, v0
	v_mov_b32_e32 v16, v12
	ds_store_2addr_stride64_b64 v6, v[4:5], v[2:3] offset0:73 offset1:77
	s_cbranch_scc1 .LBB238_3
; %bb.1:
	s_mov_b64 s[14:15], src_shared_base
	s_and_b32 s14, s0, exec_lo
	s_cselect_b32 s14, s15, s9
	s_delay_alu instid0(SALU_CYCLE_1) | instskip(SKIP_2) | instid1(VALU_DEP_2)
	v_dual_mov_b32 v3, s14 :: v_dual_add_nc_u32 v2, 0x9a08, v0
	v_dual_mov_b32 v17, s11 :: v_dual_mov_b32 v16, s10
	s_and_b32 vcc_lo, exec_lo, vcc_lo
	v_cndmask_b32_e64 v2, s8, v2, s0
	flat_load_b64 v[14:15], v[2:3]
	s_cbranch_vccnz .LBB238_3
; %bb.2:
	v_dual_mov_b32 v2, s8 :: v_dual_mov_b32 v3, s9
	flat_load_b64 v[16:17], v[2:3] offset:8
.LBB238_3:
	s_load_b64 s[8:9], s[2:3], 0x18
	s_bitcmp1_b32 s13, 8
	v_dual_mov_b32 v19, v13 :: v_dual_mov_b32 v18, v12
	s_cselect_b32 s33, -1, 0
	s_bfe_u32 s10, s13, 0x10008
	s_delay_alu instid0(SALU_CYCLE_1)
	s_cmp_eq_u32 s10, 0
	s_cbranch_scc1 .LBB238_6
; %bb.4:
	s_mov_b64 s[10:11], src_shared_base
	s_and_b32 s10, s0, exec_lo
	s_cselect_b32 s10, s11, s5
	s_delay_alu instid0(SALU_CYCLE_1) | instskip(SKIP_2) | instid1(VALU_DEP_2)
	v_dual_mov_b32 v3, s10 :: v_dual_add_nc_u32 v0, 0x9208, v0
	v_dual_mov_b32 v13, s7 :: v_dual_mov_b32 v12, s6
	s_and_not1_b32 vcc_lo, exec_lo, s1
	v_cndmask_b32_e64 v2, s4, v0, s0
	flat_load_b64 v[18:19], v[2:3]
	s_cbranch_vccnz .LBB238_6
; %bb.5:
	v_dual_mov_b32 v2, s4 :: v_dual_mov_b32 v3, s5
	flat_load_b64 v[12:13], v[2:3] offset:8
.LBB238_6:
	s_load_b64 s[0:1], s[2:3], 0x30
	s_waitcnt lgkmcnt(0)
	s_cmp_eq_u64 s[8:9], 0
	s_cbranch_scc1 .LBB238_8
; %bb.7:
	s_load_b64 s[4:5], s[2:3], 0x10
	s_waitcnt lgkmcnt(0)
	s_load_b32 s4, s[4:5], 0x0
	s_mov_b32 s5, 0
	s_waitcnt lgkmcnt(0)
	s_add_i32 s4, s4, s12
	s_delay_alu instid0(SALU_CYCLE_1) | instskip(NEXT) | instid1(SALU_CYCLE_1)
	s_lshl_b64 s[4:5], s[4:5], 2
	s_add_u32 s4, s8, s4
	s_addc_u32 s5, s9, s5
	s_load_b32 s12, s[4:5], 0x0
.LBB238_8:
	s_mov_b64 s[34:35], 0
	s_and_not1_b32 vcc_lo, exec_lo, s56
	s_mov_b64 s[48:49], 0
	s_cbranch_vccz .LBB238_11
; %bb.9:
	s_and_not1_b32 vcc_lo, exec_lo, s56
	s_cbranch_vccz .LBB238_12
.LBB238_10:
	s_load_b128 s[40:43], s[2:3], 0x0
	s_waitcnt lgkmcnt(0)
	s_cmp_lt_i32 s41, 1
	s_cbranch_scc0 .LBB238_13
	s_branch .LBB238_104
.LBB238_11:
	s_waitcnt lgkmcnt(0)
	s_ashr_i32 s13, s12, 31
	s_delay_alu instid0(SALU_CYCLE_1) | instskip(NEXT) | instid1(SALU_CYCLE_1)
	s_lshl_b64 s[4:5], s[12:13], 3
	s_add_u32 s4, s0, s4
	s_addc_u32 s5, s1, s5
	s_load_b64 s[4:5], s[4:5], 0x0
	s_waitcnt lgkmcnt(0)
	s_sub_u32 s48, s4, s36
	s_subb_u32 s49, s5, 0
	s_and_not1_b32 vcc_lo, exec_lo, s56
	s_cbranch_vccnz .LBB238_10
.LBB238_12:
	s_waitcnt lgkmcnt(0)
	s_ashr_i32 s13, s12, 31
	s_delay_alu instid0(SALU_CYCLE_1) | instskip(NEXT) | instid1(SALU_CYCLE_1)
	s_lshl_b64 s[4:5], s[12:13], 3
	s_add_u32 s0, s0, s4
	s_addc_u32 s1, s1, s5
	s_load_b64 s[0:1], s[0:1], 0x8
	s_waitcnt lgkmcnt(0)
	s_sub_u32 s34, s0, s36
	s_subb_u32 s35, s1, 0
	s_load_b128 s[40:43], s[2:3], 0x0
	s_waitcnt lgkmcnt(0)
	s_cmp_lt_i32 s41, 1
	s_cbranch_scc1 .LBB238_104
.LBB238_13:
	s_clause 0x4
	s_load_b256 s[16:23], s[2:3], 0x70
	s_load_b64 s[50:51], s[2:3], 0xa0
	s_load_b128 s[44:47], s[2:3], 0x90
	s_load_b64 s[14:15], s[2:3], 0x58
	s_load_b256 s[24:31], s[2:3], 0x38
	v_bfe_u32 v7, v1, 2, 2
	v_dual_mov_b32 v0, 0 :: v_dual_and_b32 v41, 3, v1
	v_and_b32_e32 v6, 15, v1
	s_ashr_i32 s13, s12, 31
	s_delay_alu instid0(VALU_DEP_3) | instskip(NEXT) | instid1(VALU_DEP_3)
	v_mul_lo_u32 v2, v7, s42
	v_mul_lo_u32 v4, v41, s42
	v_dual_mov_b32 v3, v0 :: v_dual_lshlrev_b32 v42, 4, v1
	v_mov_b32_e32 v5, v0
	s_lshl_b64 s[6:7], s[12:13], 3
	v_max_i32_e32 v8, v41, v7
	v_dual_mov_b32 v68, 0x80 :: v_dual_lshlrev_b32 v7, 4, v7
	v_lshlrev_b64 v[2:3], 4, v[2:3]
	s_waitcnt lgkmcnt(0)
	s_add_u32 s2, s22, s6
	s_addc_u32 s3, s23, s7
	v_lshlrev_b64 v[4:5], 4, v[4:5]
	s_load_b64 s[4:5], s[2:3], 0x0
	v_cmp_gt_i32_e64 s2, s42, v8
	v_cmp_le_i32_e64 s3, s42, v8
	v_add_co_u32 v8, vcc_lo, s26, v2
	v_add_co_ci_u32_e32 v10, vcc_lo, s27, v3, vcc_lo
	v_add_co_u32 v11, vcc_lo, s46, v4
	v_add_co_ci_u32_e32 v20, vcc_lo, s47, v5, vcc_lo
	;; [unrolled: 2-line block ×3, first 2 shown]
	s_delay_alu instid0(VALU_DEP_4) | instskip(NEXT) | instid1(VALU_DEP_4)
	v_add_co_u32 v11, vcc_lo, v11, v7
	v_add_co_ci_u32_e32 v20, vcc_lo, 0, v20, vcc_lo
	v_lshlrev_b32_e32 v9, 4, v41
	s_waitcnt lgkmcnt(0)
	s_sub_u32 s26, s4, s38
	s_subb_u32 s27, s5, 0
	s_cmp_eq_u32 s40, 0
	v_lshrrev_b32_e32 v40, 4, v1
	v_add_co_u32 v21, vcc_lo, v21, v9
	v_add_co_ci_u32_e32 v22, vcc_lo, 0, v22, vcc_lo
	s_cselect_b32 vcc_lo, -1, 0
	v_cmp_gt_u32_e64 s0, 0x80, v1
	v_cmp_eq_u32_e64 s1, 0, v1
	s_delay_alu instid0(VALU_DEP_3) | instskip(SKIP_1) | instid1(VALU_DEP_1)
	v_cndmask_b32_e32 v58, v20, v22, vcc_lo
	v_add_co_u32 v44, s4, v8, v9
	v_add_co_ci_u32_e64 v45, s4, 0, v10, s4
	v_add_co_u32 v8, s4, s20, v4
	s_delay_alu instid0(VALU_DEP_1) | instskip(SKIP_1) | instid1(VALU_DEP_1)
	v_add_co_ci_u32_e64 v10, s4, s21, v5, s4
	v_sub_co_u32 v47, s4, v40, s39
	v_sub_co_ci_u32_e64 v48, null, 0, 0, s4
	s_delay_alu instid0(VALU_DEP_4) | instskip(NEXT) | instid1(VALU_DEP_1)
	v_add_co_u32 v8, s4, v8, v7
	v_add_co_ci_u32_e64 v10, s4, 0, v10, s4
	v_add_co_u32 v2, s4, s20, v2
	s_delay_alu instid0(VALU_DEP_1) | instskip(SKIP_1) | instid1(VALU_DEP_3)
	v_add_co_ci_u32_e64 v3, s4, s21, v3, s4
	v_lshl_or_b32 v51, v1, 2, 0x9000
	v_add_co_u32 v2, s4, v2, v9
	v_and_b32_e32 v46, 12, v1
	s_delay_alu instid0(VALU_DEP_4) | instskip(NEXT) | instid1(VALU_DEP_3)
	v_add_co_ci_u32_e64 v3, s4, 0, v3, s4
	v_cndmask_b32_e32 v61, v8, v2, vcc_lo
	v_and_b32_e32 v23, 0x7f, v1
	v_or_b32_e32 v1, 0x400, v1
	s_delay_alu instid0(VALU_DEP_4) | instskip(SKIP_1) | instid1(VALU_DEP_3)
	v_dual_cndmask_b32 v60, v10, v3 :: v_dual_cndmask_b32 v59, v11, v21
	v_add_co_u32 v2, vcc_lo, v4, s14
	v_cmp_gt_u32_e64 s12, 0x700, v1
	v_lshlrev_b32_e32 v1, 8, v40
	v_lshlrev_b32_e32 v24, 2, v23
	v_add_co_ci_u32_e32 v3, vcc_lo, s15, v5, vcc_lo
	v_cmp_lt_i64_e64 s8, s[48:49], s[34:35]
	s_delay_alu instid0(VALU_DEP_4)
	v_or3_b32 v62, v1, v7, 0x8000
	v_add_co_u32 v1, s13, v9, s14
	s_cmp_lg_u32 s40, 0
	v_add_co_u32 v25, s55, v23, -1
	s_mov_b32 s53, 0
	v_add_co_u32 v20, vcc_lo, v2, 8
	v_add_co_ci_u32_e64 v2, null, 0, s15, s13
	s_cselect_b32 s40, -1, 0
	s_cmp_gt_i32 s42, 0
	v_add_co_ci_u32_e32 v21, vcc_lo, 0, v3, vcc_lo
	s_mov_b32 s20, s53
	s_cselect_b32 s47, -1, 0
	s_add_u32 s16, s16, s6
	s_movk_i32 s13, 0xfc0
	v_add_co_u32 v22, vcc_lo, v1, 8
	s_mov_b32 s21, s53
	s_mov_b32 s22, s53
	;; [unrolled: 1-line block ×3, first 2 shown]
	s_addc_u32 s17, s17, s7
	v_cmp_eq_u32_e64 s4, 15, v6
	v_or_b32_e32 v49, 0x9000, v24
	v_lshl_add_u32 v50, v25, 2, 0x9000
	s_and_b32 s56, s56, s8
	v_add_nc_u32_e32 v52, 0x8ff8, v24
	v_add_nc_u32_e32 v53, 0x8ff0, v24
	;; [unrolled: 1-line block ×3, first 2 shown]
	v_dual_mov_b32 v4, s20 :: v_dual_add_nc_u32 v55, 0x8fc0, v24
	v_dual_mov_b32 v7, s23 :: v_dual_add_nc_u32 v56, 0x8f80, v24
	;; [unrolled: 1-line block ×3, first 2 shown]
	v_mov_b32_e32 v24, s26
	v_or_b32_e32 v43, 0x8000, v42
	v_cmp_ne_u32_e64 s5, 0, v23
	v_cmp_lt_u32_e64 s6, 1, v23
	v_cmp_lt_u32_e64 s7, 3, v23
	;; [unrolled: 1-line block ×6, first 2 shown]
	s_add_u32 s57, s28, 8
	v_add_co_ci_u32_e32 v23, vcc_lo, 0, v2, vcc_lo
	v_and_or_b32 v63, v42, s13, 0x8000
	v_lshl_or_b32 v64, v40, 2, 0x9000
	v_mov_b32_e32 v25, s27
	v_mov_b32_e32 v5, s21
	;; [unrolled: 1-line block ×3, first 2 shown]
	v_cndmask_b32_e64 v66, 0, 1, s47
	v_mov_b32_e32 v67, 0
	s_mul_i32 s52, s42, s42
	s_addc_u32 s58, s29, 0
	s_mov_b32 s43, s53
	s_add_u32 s44, s44, -4
	s_mov_b32 s46, s37
	s_mov_b32 s54, s39
	s_addc_u32 s45, s45, -1
	s_lshl_b64 s[20:21], s[52:53], 4
	s_lshl_b64 s[22:23], s[42:43], 4
	s_branch .LBB238_15
.LBB238_14:                             ;   in Loop: Header=BB238_15 Depth=1
	s_set_inst_prefetch_distance 0x2
	s_or_b32 exec_lo, exec_lo, s13
	s_waitcnt_vscnt null, 0x0
	s_barrier
	buffer_gl0_inv
	ds_load_b32 v67, v0 offset:37376
	v_ashrrev_i32_e32 v1, 31, v2
	v_add_co_u32 v24, s13, v24, v2
	s_waitcnt lgkmcnt(0)
	s_barrier
	s_delay_alu instid0(VALU_DEP_2)
	v_add_co_ci_u32_e64 v25, s13, v25, v1, s13
	buffer_gl0_inv
	v_cmp_le_i32_e32 vcc_lo, s41, v67
	v_add_nc_u32_e32 v68, 0x80, v67
	s_cbranch_vccnz .LBB238_104
.LBB238_15:                             ; =>This Loop Header: Depth=1
                                        ;     Child Loop BB238_24 Depth 2
                                        ;       Child Loop BB238_37 Depth 3
                                        ;         Child Loop BB238_46 Depth 4
                                        ;         Child Loop BB238_51 Depth 4
	;; [unrolled: 1-line block ×4, first 2 shown]
                                        ;     Child Loop BB238_66 Depth 2
                                        ;       Child Loop BB238_71 Depth 3
                                        ;       Child Loop BB238_73 Depth 3
                                        ;     Child Loop BB238_78 Depth 2
                                        ;     Child Loop BB238_101 Depth 2
	s_and_saveexec_b32 s13, s0
	s_cbranch_execz .LBB238_17
; %bb.16:                               ;   in Loop: Header=BB238_15 Depth=1
	ds_store_b32 v51, v0
.LBB238_17:                             ;   in Loop: Header=BB238_15 Depth=1
	s_or_b32 exec_lo, exec_lo, s13
	ds_store_b128 v42, v[4:7]
	ds_store_b128 v42, v[4:7] offset:4096
	ds_store_b128 v42, v[4:7] offset:8192
	;; [unrolled: 1-line block ×4, first 2 shown]
	s_and_saveexec_b32 s13, s12
	s_delay_alu instid0(SALU_CYCLE_1)
	s_xor_b32 s13, exec_lo, s13
	s_cbranch_execz .LBB238_19
; %bb.18:                               ;   in Loop: Header=BB238_15 Depth=1
	ds_store_b128 v42, v[4:7] offset:20480
	ds_store_b128 v42, v[4:7] offset:24576
	;; [unrolled: 1-line block ×3, first 2 shown]
.LBB238_19:                             ;   in Loop: Header=BB238_15 Depth=1
	s_or_b32 exec_lo, exec_lo, s13
	s_and_saveexec_b32 s13, s1
	s_cbranch_execz .LBB238_21
; %bb.20:                               ;   in Loop: Header=BB238_15 Depth=1
	v_mov_b32_e32 v1, s41
	ds_store_b32 v0, v1 offset:37376
.LBB238_21:                             ;   in Loop: Header=BB238_15 Depth=1
	s_or_b32 exec_lo, exec_lo, s13
	v_mov_b32_e32 v69, s41
	s_and_not1_b32 vcc_lo, exec_lo, s56
	s_waitcnt vmcnt(0) lgkmcnt(0)
	s_barrier
	buffer_gl0_inv
	s_cbranch_vccnz .LBB238_61
; %bb.22:                               ;   in Loop: Header=BB238_15 Depth=1
	v_cmp_ne_u32_e64 s13, 0, v67
	v_mov_b32_e32 v69, s41
	s_mov_b64 s[26:27], s[48:49]
	s_branch .LBB238_24
.LBB238_23:                             ;   in Loop: Header=BB238_24 Depth=2
	s_or_b32 exec_lo, exec_lo, s15
	s_add_u32 s26, s26, 16
	s_addc_u32 s27, s27, 0
	s_delay_alu instid0(SALU_CYCLE_1) | instskip(NEXT) | instid1(VALU_DEP_1)
	v_cmp_lt_i64_e64 s14, s[26:27], s[34:35]
	s_and_b32 vcc_lo, exec_lo, s14
	s_cbranch_vccz .LBB238_61
.LBB238_24:                             ;   Parent Loop BB238_15 Depth=1
                                        ; =>  This Loop Header: Depth=2
                                        ;       Child Loop BB238_37 Depth 3
                                        ;         Child Loop BB238_46 Depth 4
                                        ;         Child Loop BB238_51 Depth 4
	;; [unrolled: 1-line block ×4, first 2 shown]
	v_add_co_u32 v8, s14, s26, v40
	s_delay_alu instid0(VALU_DEP_1) | instskip(NEXT) | instid1(VALU_DEP_1)
	v_add_co_ci_u32_e64 v9, null, s27, 0, s14
	s_waitcnt_vscnt null, 0x0
	s_barrier
	buffer_gl0_inv
	v_cmp_gt_i64_e64 s14, s[34:35], v[8:9]
	s_delay_alu instid0(VALU_DEP_1)
	s_and_saveexec_b32 s15, s14
	s_cbranch_execz .LBB238_29
; %bb.25:                               ;   in Loop: Header=BB238_24 Depth=2
	s_and_saveexec_b32 s43, s3
	s_delay_alu instid0(SALU_CYCLE_1)
	s_xor_b32 s43, exec_lo, s43
	s_cbranch_execz .LBB238_27
; %bb.26:                               ;   in Loop: Header=BB238_24 Depth=2
	v_mov_b32_e32 v1, v0
	v_mov_b32_e32 v2, v0
	;; [unrolled: 1-line block ×3, first 2 shown]
	ds_store_b128 v43, v[0:3]
.LBB238_27:                             ;   in Loop: Header=BB238_24 Depth=2
	s_and_not1_saveexec_b32 s43, s43
	s_cbranch_execz .LBB238_29
; %bb.28:                               ;   in Loop: Header=BB238_24 Depth=2
	v_mad_u64_u32 v[1:2], null, v8, s52, 0
	s_delay_alu instid0(VALU_DEP_1) | instskip(NEXT) | instid1(VALU_DEP_1)
	v_mad_u64_u32 v[10:11], null, v9, s52, v[2:3]
	v_mov_b32_e32 v2, v10
	s_delay_alu instid0(VALU_DEP_1) | instskip(NEXT) | instid1(VALU_DEP_1)
	v_lshlrev_b64 v[1:2], 4, v[1:2]
	v_add_co_u32 v1, vcc_lo, v44, v1
	s_delay_alu instid0(VALU_DEP_2)
	v_add_co_ci_u32_e32 v2, vcc_lo, v45, v2, vcc_lo
	global_load_b128 v[26:29], v[1:2], off
	s_waitcnt vmcnt(0)
	ds_store_2addr_b64 v43, v[26:27], v[28:29] offset1:1
.LBB238_29:                             ;   in Loop: Header=BB238_24 Depth=2
	s_or_b32 exec_lo, exec_lo, s15
	v_mov_b32_e32 v1, 0
	v_mov_b32_e32 v2, 0
	s_waitcnt lgkmcnt(0)
	s_barrier
	buffer_gl0_inv
	s_and_saveexec_b32 s43, s14
	s_cbranch_execz .LBB238_58
; %bb.30:                               ;   in Loop: Header=BB238_24 Depth=2
	v_lshlrev_b64 v[1:2], 2, v[8:9]
	s_delay_alu instid0(VALU_DEP_1) | instskip(NEXT) | instid1(VALU_DEP_2)
	v_add_co_u32 v1, vcc_lo, s24, v1
	v_add_co_ci_u32_e32 v2, vcc_lo, s25, v2, vcc_lo
	s_and_b32 vcc_lo, exec_lo, s13
	global_load_b32 v1, v[1:2], off
	s_waitcnt vmcnt(0)
	v_subrev_nc_u32_e32 v10, s36, v1
	s_delay_alu instid0(VALU_DEP_1)
	v_ashrrev_i32_e32 v11, 31, v10
	s_cbranch_vccz .LBB238_60
; %bb.31:                               ;   in Loop: Header=BB238_24 Depth=2
	v_lshlrev_b64 v[1:2], 3, v[8:9]
	s_delay_alu instid0(VALU_DEP_1) | instskip(NEXT) | instid1(VALU_DEP_2)
	v_add_co_u32 v1, vcc_lo, s50, v1
	v_add_co_ci_u32_e32 v2, vcc_lo, s51, v2, vcc_lo
	global_load_b64 v[1:2], v[1:2], off
	s_cbranch_execnz .LBB238_33
.LBB238_32:                             ;   in Loop: Header=BB238_24 Depth=2
	s_waitcnt vmcnt(0)
	s_delay_alu instid0(VALU_DEP_1) | instskip(NEXT) | instid1(VALU_DEP_1)
	v_lshlrev_b64 v[1:2], 3, v[10:11]
	v_add_co_u32 v1, vcc_lo, s28, v1
	s_delay_alu instid0(VALU_DEP_2)
	v_add_co_ci_u32_e32 v2, vcc_lo, s29, v2, vcc_lo
	global_load_b64 v[1:2], v[1:2], off
	s_waitcnt vmcnt(0)
	v_sub_co_u32 v1, vcc_lo, v1, s46
	v_subrev_co_ci_u32_e32 v2, vcc_lo, 0, v2, vcc_lo
.LBB238_33:                             ;   in Loop: Header=BB238_24 Depth=2
	v_lshlrev_b64 v[10:11], 3, v[10:11]
	s_mov_b32 s53, exec_lo
	s_delay_alu instid0(VALU_DEP_1) | instskip(NEXT) | instid1(VALU_DEP_2)
	v_add_co_u32 v10, vcc_lo, s57, v10
	v_add_co_ci_u32_e32 v11, vcc_lo, s58, v11, vcc_lo
	global_load_b64 v[10:11], v[10:11], off
	s_waitcnt vmcnt(0)
	v_sub_co_u32 v10, vcc_lo, v10, s46
	v_subrev_co_ci_u32_e32 v11, vcc_lo, 0, v11, vcc_lo
	s_delay_alu instid0(VALU_DEP_1)
	v_cmpx_lt_i64_e64 v[1:2], v[10:11]
	s_cbranch_execz .LBB238_57
; %bb.34:                               ;   in Loop: Header=BB238_24 Depth=2
	v_mad_u64_u32 v[26:27], null, s20, v1, v[20:21]
	v_mul_lo_u32 v3, s20, v2
	v_mul_lo_u32 v30, s21, v1
	v_mad_u64_u32 v[28:29], null, s20, v1, v[22:23]
	s_mov_b32 s59, 0
	s_delay_alu instid0(VALU_DEP_2) | instskip(NEXT) | instid1(VALU_DEP_2)
	v_add3_u32 v27, v30, v27, v3
	v_add3_u32 v29, v30, v29, v3
	v_dual_mov_b32 v31, v2 :: v_dual_mov_b32 v30, v1
	s_branch .LBB238_37
.LBB238_35:                             ;   in Loop: Header=BB238_37 Depth=3
	s_or_b32 exec_lo, exec_lo, s62
	s_delay_alu instid0(SALU_CYCLE_1)
	s_or_b32 s60, s60, exec_lo
.LBB238_36:                             ;   in Loop: Header=BB238_37 Depth=3
	s_or_b32 exec_lo, exec_lo, s61
	v_add_co_u32 v30, vcc_lo, v30, 1
	v_add_co_ci_u32_e32 v31, vcc_lo, 0, v31, vcc_lo
	v_add_co_u32 v26, s15, v26, s20
	s_xor_b32 s60, s60, -1
	s_delay_alu instid0(VALU_DEP_2)
	v_cmp_ge_i64_e32 vcc_lo, v[30:31], v[10:11]
	v_add_co_ci_u32_e64 v27, s15, s21, v27, s15
	s_or_b32 s15, s60, vcc_lo
	v_add_co_u32 v28, vcc_lo, v28, s20
	v_add_co_ci_u32_e32 v29, vcc_lo, s21, v29, vcc_lo
	s_and_b32 s15, exec_lo, s15
	s_delay_alu instid0(SALU_CYCLE_1) | instskip(NEXT) | instid1(SALU_CYCLE_1)
	s_or_b32 s59, s15, s59
	s_and_not1_b32 exec_lo, exec_lo, s59
	s_cbranch_execz .LBB238_56
.LBB238_37:                             ;   Parent Loop BB238_15 Depth=1
                                        ;     Parent Loop BB238_24 Depth=2
                                        ; =>    This Loop Header: Depth=3
                                        ;         Child Loop BB238_46 Depth 4
                                        ;         Child Loop BB238_51 Depth 4
	;; [unrolled: 1-line block ×4, first 2 shown]
	s_delay_alu instid0(VALU_DEP_1) | instskip(NEXT) | instid1(VALU_DEP_1)
	v_lshlrev_b64 v[32:33], 2, v[30:31]
                                        ; implicit-def: $sgpr60
	v_add_co_u32 v32, vcc_lo, s30, v32
	s_delay_alu instid0(VALU_DEP_2) | instskip(SKIP_3) | instid1(VALU_DEP_1)
	v_add_co_ci_u32_e32 v33, vcc_lo, s31, v33, vcc_lo
	global_load_b32 v3, v[32:33], off
	s_waitcnt vmcnt(0)
	v_subrev_nc_u32_e32 v3, s37, v3
	v_cmp_lt_i32_e64 s15, v3, v67
	v_cmp_ge_i32_e32 vcc_lo, v3, v68
	s_delay_alu instid0(VALU_DEP_2) | instskip(NEXT) | instid1(SALU_CYCLE_1)
	s_or_b32 s15, s15, vcc_lo
	s_and_saveexec_b32 s61, s15
	s_delay_alu instid0(SALU_CYCLE_1)
	s_xor_b32 s15, exec_lo, s61
	s_cbranch_execz .LBB238_41
; %bb.38:                               ;   in Loop: Header=BB238_37 Depth=3
	s_mov_b32 s60, -1
	s_and_saveexec_b32 s61, vcc_lo
; %bb.39:                               ;   in Loop: Header=BB238_37 Depth=3
	v_min_i32_e32 v69, v3, v69
	v_dual_mov_b32 v1, v30 :: v_dual_mov_b32 v2, v31
	s_xor_b32 s60, exec_lo, -1
; %bb.40:                               ;   in Loop: Header=BB238_37 Depth=3
	s_or_b32 exec_lo, exec_lo, s61
	s_delay_alu instid0(SALU_CYCLE_1)
	s_and_b32 s60, s60, exec_lo
                                        ; implicit-def: $vgpr3
.LBB238_41:                             ;   in Loop: Header=BB238_37 Depth=3
	s_and_not1_saveexec_b32 s61, s15
	s_cbranch_execz .LBB238_36
; %bb.42:                               ;   in Loop: Header=BB238_37 Depth=3
	v_sub_nc_u32_e32 v3, v3, v67
	s_delay_alu instid0(VALU_DEP_1)
	v_lshlrev_b32_e32 v32, 2, v3
	ds_store_b32 v32, v65 offset:36864
	s_and_saveexec_b32 s62, s2
	s_cbranch_execz .LBB238_35
; %bb.43:                               ;   in Loop: Header=BB238_37 Depth=3
	v_cmp_ne_u32_e64 s15, 1, v66
	s_and_not1_b32 vcc_lo, exec_lo, s40
	s_cbranch_vccnz .LBB238_48
; %bb.44:                               ;   in Loop: Header=BB238_37 Depth=3
	v_mov_b32_e32 v32, 0
	v_mov_b32_e32 v33, 0
	s_and_b32 vcc_lo, exec_lo, s15
	s_delay_alu instid0(VALU_DEP_1)
	v_dual_mov_b32 v35, v33 :: v_dual_mov_b32 v34, v32
	s_cbranch_vccnz .LBB238_47
; %bb.45:                               ;   in Loop: Header=BB238_37 Depth=3
	v_dual_mov_b32 v32, 0 :: v_dual_mov_b32 v37, v27
	v_dual_mov_b32 v33, 0 :: v_dual_mov_b32 v36, v26
	v_mov_b32_e32 v38, v62
	s_mov_b32 s15, s42
	s_delay_alu instid0(VALU_DEP_2)
	v_dual_mov_b32 v35, v33 :: v_dual_mov_b32 v34, v32
	.p2align	6
.LBB238_46:                             ;   Parent Loop BB238_15 Depth=1
                                        ;     Parent Loop BB238_24 Depth=2
                                        ;       Parent Loop BB238_37 Depth=3
                                        ; =>      This Inner Loop Header: Depth=4
	global_load_b128 v[70:73], v[36:37], off offset:-8
	ds_load_b128 v[74:77], v38
	v_add_co_u32 v36, vcc_lo, v36, 16
	v_add_nc_u32_e32 v38, 64, v38
	v_add_co_ci_u32_e32 v37, vcc_lo, 0, v37, vcc_lo
	s_add_i32 s15, s15, -1
	s_delay_alu instid0(SALU_CYCLE_1) | instskip(SKIP_3) | instid1(VALU_DEP_2)
	s_cmp_lg_u32 s15, 0
	s_waitcnt vmcnt(0) lgkmcnt(0)
	v_fma_f64 v[32:33], v[74:75], v[70:71], v[32:33]
	v_fma_f64 v[34:35], v[76:77], v[70:71], v[34:35]
	v_fma_f64 v[32:33], -v[76:77], v[72:73], v[32:33]
	s_delay_alu instid0(VALU_DEP_2)
	v_fma_f64 v[34:35], v[74:75], v[72:73], v[34:35]
	s_cbranch_scc1 .LBB238_46
.LBB238_47:                             ;   in Loop: Header=BB238_37 Depth=3
	s_cbranch_execz .LBB238_49
	s_branch .LBB238_52
.LBB238_48:                             ;   in Loop: Header=BB238_37 Depth=3
                                        ; implicit-def: $vgpr32_vgpr33
                                        ; implicit-def: $vgpr34_vgpr35
.LBB238_49:                             ;   in Loop: Header=BB238_37 Depth=3
	v_mov_b32_e32 v32, 0
	v_mov_b32_e32 v33, 0
	s_and_not1_b32 vcc_lo, exec_lo, s47
	s_delay_alu instid0(VALU_DEP_1)
	v_dual_mov_b32 v35, v33 :: v_dual_mov_b32 v34, v32
	s_cbranch_vccnz .LBB238_52
; %bb.50:                               ;   in Loop: Header=BB238_37 Depth=3
	v_dual_mov_b32 v32, 0 :: v_dual_mov_b32 v37, v29
	v_dual_mov_b32 v33, 0 :: v_dual_mov_b32 v38, v63
	v_mov_b32_e32 v36, v28
	s_mov_b32 s15, s42
	s_delay_alu instid0(VALU_DEP_2)
	v_dual_mov_b32 v35, v33 :: v_dual_mov_b32 v34, v32
	.p2align	6
.LBB238_51:                             ;   Parent Loop BB238_15 Depth=1
                                        ;     Parent Loop BB238_24 Depth=2
                                        ;       Parent Loop BB238_37 Depth=3
                                        ; =>      This Inner Loop Header: Depth=4
	global_load_b128 v[70:73], v[36:37], off offset:-8
	ds_load_b128 v[74:77], v38
	v_add_co_u32 v36, vcc_lo, v36, s22
	v_add_co_ci_u32_e32 v37, vcc_lo, s23, v37, vcc_lo
	v_add_nc_u32_e32 v38, 16, v38
	s_add_i32 s15, s15, -1
	s_delay_alu instid0(SALU_CYCLE_1) | instskip(SKIP_3) | instid1(VALU_DEP_2)
	s_cmp_eq_u32 s15, 0
	s_waitcnt vmcnt(0) lgkmcnt(0)
	v_fma_f64 v[32:33], v[74:75], v[70:71], v[32:33]
	v_fma_f64 v[34:35], v[76:77], v[70:71], v[34:35]
	v_fma_f64 v[32:33], -v[76:77], v[72:73], v[32:33]
	s_delay_alu instid0(VALU_DEP_2)
	v_fma_f64 v[34:35], v[74:75], v[72:73], v[34:35]
	s_cbranch_scc0 .LBB238_51
.LBB238_52:                             ;   in Loop: Header=BB238_37 Depth=3
	s_delay_alu instid0(VALU_DEP_1) | instskip(SKIP_2) | instid1(VALU_DEP_1)
	v_mul_f64 v[36:37], v[34:35], -v[16:17]
	v_lshlrev_b32_e32 v3, 4, v3
	s_mov_b32 s15, 0
	v_or3_b32 v3, v3, v46, v41
	s_delay_alu instid0(VALU_DEP_1)
	v_lshlrev_b32_e32 v3, 4, v3
	ds_load_b64 v[38:39], v3
	v_fma_f64 v[36:37], v[14:15], v[32:33], v[36:37]
.LBB238_53:                             ;   Parent Loop BB238_15 Depth=1
                                        ;     Parent Loop BB238_24 Depth=2
                                        ;       Parent Loop BB238_37 Depth=3
                                        ; =>      This Inner Loop Header: Depth=4
	s_waitcnt lgkmcnt(0)
	s_delay_alu instid0(VALU_DEP_1)
	v_add_f64 v[70:71], v[38:39], v[36:37]
	ds_cmpstore_rtn_b64 v[70:71], v3, v[70:71], v[38:39]
	s_waitcnt lgkmcnt(0)
	v_cmp_eq_u64_e32 vcc_lo, v[70:71], v[38:39]
	v_dual_mov_b32 v38, v70 :: v_dual_mov_b32 v39, v71
	s_or_b32 s15, vcc_lo, s15
	s_delay_alu instid0(SALU_CYCLE_1)
	s_and_not1_b32 exec_lo, exec_lo, s15
	s_cbranch_execnz .LBB238_53
; %bb.54:                               ;   in Loop: Header=BB238_37 Depth=3
	s_or_b32 exec_lo, exec_lo, s15
	v_mul_f64 v[34:35], v[14:15], v[34:35]
	s_mov_b32 s15, 0
	s_delay_alu instid0(VALU_DEP_1)
	v_fma_f64 v[32:33], v[16:17], v[32:33], v[34:35]
	ds_load_b64 v[34:35], v3 offset:8
.LBB238_55:                             ;   Parent Loop BB238_15 Depth=1
                                        ;     Parent Loop BB238_24 Depth=2
                                        ;       Parent Loop BB238_37 Depth=3
                                        ; =>      This Inner Loop Header: Depth=4
	s_waitcnt lgkmcnt(0)
	v_add_f64 v[36:37], v[34:35], v[32:33]
	ds_cmpstore_rtn_b64 v[36:37], v3, v[36:37], v[34:35] offset:8
	s_waitcnt lgkmcnt(0)
	v_cmp_eq_u64_e32 vcc_lo, v[36:37], v[34:35]
	v_dual_mov_b32 v34, v36 :: v_dual_mov_b32 v35, v37
	s_or_b32 s15, vcc_lo, s15
	s_delay_alu instid0(SALU_CYCLE_1)
	s_and_not1_b32 exec_lo, exec_lo, s15
	s_cbranch_execnz .LBB238_55
	s_branch .LBB238_35
.LBB238_56:                             ;   in Loop: Header=BB238_24 Depth=2
	s_or_b32 exec_lo, exec_lo, s59
.LBB238_57:                             ;   in Loop: Header=BB238_24 Depth=2
	s_delay_alu instid0(SALU_CYCLE_1)
	s_or_b32 exec_lo, exec_lo, s53
.LBB238_58:                             ;   in Loop: Header=BB238_24 Depth=2
	s_delay_alu instid0(SALU_CYCLE_1)
	s_or_b32 exec_lo, exec_lo, s43
	s_waitcnt lgkmcnt(0)
	s_barrier
	buffer_gl0_inv
	s_and_saveexec_b32 s15, s14
	s_cbranch_execz .LBB238_23
; %bb.59:                               ;   in Loop: Header=BB238_24 Depth=2
	v_lshlrev_b64 v[8:9], 3, v[8:9]
	s_delay_alu instid0(VALU_DEP_1) | instskip(NEXT) | instid1(VALU_DEP_2)
	v_add_co_u32 v8, vcc_lo, s50, v8
	v_add_co_ci_u32_e32 v9, vcc_lo, s51, v9, vcc_lo
	global_store_b64 v[8:9], v[1:2], off
	s_branch .LBB238_23
.LBB238_60:                             ;   in Loop: Header=BB238_24 Depth=2
                                        ; implicit-def: $vgpr1_vgpr2
	s_branch .LBB238_32
.LBB238_61:                             ;   in Loop: Header=BB238_15 Depth=1
	s_and_not1_b32 vcc_lo, exec_lo, s33
	s_cbranch_vccnz .LBB238_76
; %bb.62:                               ;   in Loop: Header=BB238_15 Depth=1
	s_load_b128 s[60:63], s[16:17], 0x0
	s_mov_b32 s15, exec_lo
	s_waitcnt lgkmcnt(0)
	v_add_co_u32 v1, vcc_lo, s60, v47
	v_add_co_ci_u32_e32 v2, vcc_lo, s61, v48, vcc_lo
	s_sub_u32 s26, s62, s54
	s_subb_u32 s27, s63, 0
	s_delay_alu instid0(VALU_DEP_1) | instid1(SALU_CYCLE_1)
	v_cmpx_gt_i64_e64 s[26:27], v[1:2]
	s_cbranch_execz .LBB238_75
; %bb.63:                               ;   in Loop: Header=BB238_15 Depth=1
	s_mov_b32 s43, 0
	s_branch .LBB238_66
.LBB238_64:                             ;   in Loop: Header=BB238_66 Depth=2
	s_or_b32 exec_lo, exec_lo, s53
	s_delay_alu instid0(SALU_CYCLE_1)
	s_or_b32 s13, s13, exec_lo
.LBB238_65:                             ;   in Loop: Header=BB238_66 Depth=2
	s_or_b32 exec_lo, exec_lo, s14
	v_add_co_u32 v1, vcc_lo, v1, 16
	v_add_co_ci_u32_e32 v2, vcc_lo, 0, v2, vcc_lo
	s_xor_b32 s13, s13, -1
	s_delay_alu instid0(VALU_DEP_1) | instskip(SKIP_1) | instid1(SALU_CYCLE_1)
	v_cmp_le_i64_e32 vcc_lo, s[26:27], v[1:2]
	s_or_b32 s13, s13, vcc_lo
	s_and_b32 s13, exec_lo, s13
	s_delay_alu instid0(SALU_CYCLE_1) | instskip(NEXT) | instid1(SALU_CYCLE_1)
	s_or_b32 s43, s13, s43
	s_and_not1_b32 exec_lo, exec_lo, s43
	s_cbranch_execz .LBB238_74
.LBB238_66:                             ;   Parent Loop BB238_15 Depth=1
                                        ; =>  This Loop Header: Depth=2
                                        ;       Child Loop BB238_71 Depth 3
                                        ;       Child Loop BB238_73 Depth 3
	v_lshlrev_b64 v[8:9], 2, v[1:2]
	s_delay_alu instid0(VALU_DEP_1) | instskip(NEXT) | instid1(VALU_DEP_2)
	v_add_co_u32 v8, vcc_lo, s18, v8
	v_add_co_ci_u32_e32 v9, vcc_lo, s19, v9, vcc_lo
	global_load_b32 v3, v[8:9], off
	s_waitcnt vmcnt(0)
	v_subrev_nc_u32_e32 v3, s39, v3
	s_delay_alu instid0(VALU_DEP_1) | instskip(SKIP_2) | instid1(VALU_DEP_2)
	v_cmp_lt_i32_e64 s13, v3, v67
	v_cmp_ge_i32_e64 s14, v3, v68
	v_cmp_lt_i32_e32 vcc_lo, v3, v68
	s_or_b32 s14, s13, s14
                                        ; implicit-def: $sgpr13
	s_delay_alu instid0(SALU_CYCLE_1) | instskip(NEXT) | instid1(SALU_CYCLE_1)
	s_and_saveexec_b32 s53, s14
	s_xor_b32 s14, exec_lo, s53
; %bb.67:                               ;   in Loop: Header=BB238_66 Depth=2
	v_min_i32_e32 v3, v3, v69
	s_and_b32 s13, vcc_lo, exec_lo
	s_delay_alu instid0(VALU_DEP_1)
	v_cndmask_b32_e32 v69, v3, v69, vcc_lo
                                        ; implicit-def: $vgpr3
; %bb.68:                               ;   in Loop: Header=BB238_66 Depth=2
	s_and_not1_saveexec_b32 s14, s14
	s_cbranch_execz .LBB238_65
; %bb.69:                               ;   in Loop: Header=BB238_66 Depth=2
	v_sub_nc_u32_e32 v3, v3, v67
	s_delay_alu instid0(VALU_DEP_1)
	v_lshlrev_b32_e32 v8, 2, v3
	ds_store_b32 v8, v65 offset:36864
	s_and_saveexec_b32 s53, s2
	s_cbranch_execz .LBB238_64
; %bb.70:                               ;   in Loop: Header=BB238_66 Depth=2
	v_mad_u64_u32 v[8:9], null, v1, s52, 0
	v_lshlrev_b32_e32 v3, 4, v3
	s_mov_b32 s59, 0
	s_delay_alu instid0(VALU_DEP_1) | instskip(NEXT) | instid1(VALU_DEP_3)
	v_or3_b32 v3, v3, v46, v41
	v_mad_u64_u32 v[10:11], null, v2, s52, v[9:10]
	s_delay_alu instid0(VALU_DEP_2) | instskip(NEXT) | instid1(VALU_DEP_2)
	v_lshlrev_b32_e32 v3, 4, v3
	v_mov_b32_e32 v9, v10
	ds_load_b64 v[28:29], v3
	v_lshlrev_b64 v[8:9], 4, v[8:9]
	s_delay_alu instid0(VALU_DEP_1) | instskip(NEXT) | instid1(VALU_DEP_2)
	v_add_co_u32 v8, vcc_lo, v61, v8
	v_add_co_ci_u32_e32 v9, vcc_lo, v60, v9, vcc_lo
	global_load_b128 v[8:11], v[8:9], off
	s_waitcnt vmcnt(0)
	v_mul_f64 v[26:27], v[10:11], -v[12:13]
	s_delay_alu instid0(VALU_DEP_1)
	v_fma_f64 v[26:27], v[18:19], v[8:9], v[26:27]
.LBB238_71:                             ;   Parent Loop BB238_15 Depth=1
                                        ;     Parent Loop BB238_66 Depth=2
                                        ; =>    This Inner Loop Header: Depth=3
	s_waitcnt lgkmcnt(0)
	s_delay_alu instid0(VALU_DEP_1)
	v_add_f64 v[30:31], v[28:29], v[26:27]
	ds_cmpstore_rtn_b64 v[30:31], v3, v[30:31], v[28:29]
	s_waitcnt lgkmcnt(0)
	v_cmp_eq_u64_e32 vcc_lo, v[30:31], v[28:29]
	v_dual_mov_b32 v28, v30 :: v_dual_mov_b32 v29, v31
	s_or_b32 s59, vcc_lo, s59
	s_delay_alu instid0(SALU_CYCLE_1)
	s_and_not1_b32 exec_lo, exec_lo, s59
	s_cbranch_execnz .LBB238_71
; %bb.72:                               ;   in Loop: Header=BB238_66 Depth=2
	s_or_b32 exec_lo, exec_lo, s59
	v_mul_f64 v[10:11], v[18:19], v[10:11]
	s_mov_b32 s59, 0
	s_delay_alu instid0(VALU_DEP_1)
	v_fma_f64 v[8:9], v[12:13], v[8:9], v[10:11]
	ds_load_b64 v[10:11], v3 offset:8
.LBB238_73:                             ;   Parent Loop BB238_15 Depth=1
                                        ;     Parent Loop BB238_66 Depth=2
                                        ; =>    This Inner Loop Header: Depth=3
	s_waitcnt lgkmcnt(0)
	v_add_f64 v[26:27], v[10:11], v[8:9]
	ds_cmpstore_rtn_b64 v[26:27], v3, v[26:27], v[10:11] offset:8
	s_waitcnt lgkmcnt(0)
	v_cmp_eq_u64_e32 vcc_lo, v[26:27], v[10:11]
	v_dual_mov_b32 v10, v26 :: v_dual_mov_b32 v11, v27
	s_or_b32 s59, vcc_lo, s59
	s_delay_alu instid0(SALU_CYCLE_1)
	s_and_not1_b32 exec_lo, exec_lo, s59
	s_cbranch_execnz .LBB238_73
	s_branch .LBB238_64
.LBB238_74:                             ;   in Loop: Header=BB238_15 Depth=1
	s_or_b32 exec_lo, exec_lo, s43
.LBB238_75:                             ;   in Loop: Header=BB238_15 Depth=1
	s_delay_alu instid0(SALU_CYCLE_1)
	s_or_b32 exec_lo, exec_lo, s15
.LBB238_76:                             ;   in Loop: Header=BB238_15 Depth=1
	s_and_saveexec_b32 s13, s4
	s_cbranch_execz .LBB238_81
; %bb.77:                               ;   in Loop: Header=BB238_15 Depth=1
	s_mov_b32 s15, exec_lo
	s_brev_b32 s14, -2
.LBB238_78:                             ;   Parent Loop BB238_15 Depth=1
                                        ; =>  This Inner Loop Header: Depth=2
	s_ctz_i32_b32 s26, s15
	s_delay_alu instid0(SALU_CYCLE_1) | instskip(SKIP_1) | instid1(SALU_CYCLE_1)
	v_readlane_b32 s27, v69, s26
	s_lshl_b32 s26, 1, s26
	s_and_not1_b32 s15, s15, s26
	s_delay_alu instid0(VALU_DEP_1)
	s_min_i32 s14, s14, s27
	s_cmp_lg_u32 s15, 0
	s_cbranch_scc1 .LBB238_78
; %bb.79:                               ;   in Loop: Header=BB238_15 Depth=1
	v_mbcnt_lo_u32_b32 v1, exec_lo, 0
	s_mov_b32 s15, exec_lo
	s_delay_alu instid0(VALU_DEP_1)
	v_cmpx_eq_u32_e32 0, v1
	s_xor_b32 s15, exec_lo, s15
	s_cbranch_execz .LBB238_81
; %bb.80:                               ;   in Loop: Header=BB238_15 Depth=1
	v_mov_b32_e32 v1, s14
	ds_min_i32 v0, v1 offset:37376
.LBB238_81:                             ;   in Loop: Header=BB238_15 Depth=1
	s_or_b32 exec_lo, exec_lo, s13
	s_waitcnt lgkmcnt(0)
	s_waitcnt_vscnt null, 0x0
	s_barrier
	buffer_gl0_inv
	ds_load_b32 v1, v49
	s_waitcnt lgkmcnt(0)
	s_barrier
	buffer_gl0_inv
	s_and_saveexec_b32 s13, s5
	s_cbranch_execz .LBB238_83
; %bb.82:                               ;   in Loop: Header=BB238_15 Depth=1
	ds_load_b32 v2, v50
	s_waitcnt lgkmcnt(0)
	v_add_nc_u32_e32 v1, v2, v1
.LBB238_83:                             ;   in Loop: Header=BB238_15 Depth=1
	s_or_b32 exec_lo, exec_lo, s13
	s_barrier
	buffer_gl0_inv
	ds_store_b32 v49, v1
	s_waitcnt lgkmcnt(0)
	s_barrier
	buffer_gl0_inv
	s_and_saveexec_b32 s13, s6
	s_cbranch_execz .LBB238_85
; %bb.84:                               ;   in Loop: Header=BB238_15 Depth=1
	ds_load_b32 v2, v52
	s_waitcnt lgkmcnt(0)
	v_add_nc_u32_e32 v1, v2, v1
.LBB238_85:                             ;   in Loop: Header=BB238_15 Depth=1
	s_or_b32 exec_lo, exec_lo, s13
	s_barrier
	buffer_gl0_inv
	ds_store_b32 v49, v1
	;; [unrolled: 14-line block ×7, first 2 shown]
	s_waitcnt lgkmcnt(0)
	s_barrier
	buffer_gl0_inv
	ds_load_b32 v2, v0 offset:37372
	v_mov_b32_e32 v3, 0
	s_and_saveexec_b32 s13, s55
	s_cbranch_execz .LBB238_97
; %bb.96:                               ;   in Loop: Header=BB238_15 Depth=1
	ds_load_b32 v3, v50
.LBB238_97:                             ;   in Loop: Header=BB238_15 Depth=1
	s_or_b32 exec_lo, exec_lo, s13
	s_waitcnt lgkmcnt(0)
	v_cmp_eq_u32_e32 vcc_lo, v1, v3
	s_barrier
	buffer_gl0_inv
	s_and_b32 s14, s55, vcc_lo
	s_delay_alu instid0(SALU_CYCLE_1)
	s_and_saveexec_b32 s13, s14
	s_cbranch_execz .LBB238_99
; %bb.98:                               ;   in Loop: Header=BB238_15 Depth=1
	ds_store_b32 v49, v0
.LBB238_99:                             ;   in Loop: Header=BB238_15 Depth=1
	s_or_b32 exec_lo, exec_lo, s13
	v_add_co_u32 v1, vcc_lo, v24, -1
	v_add_co_ci_u32_e32 v3, vcc_lo, -1, v25, vcc_lo
	v_dual_mov_b32 v9, v64 :: v_dual_add_nc_u32 v8, s38, v67
	v_dual_mov_b32 v10, v42 :: v_dual_mov_b32 v11, v40
	s_mov_b32 s13, 0
	s_waitcnt lgkmcnt(0)
	s_barrier
	buffer_gl0_inv
	s_set_inst_prefetch_distance 0x1
	s_branch .LBB238_101
	.p2align	6
.LBB238_100:                            ;   in Loop: Header=BB238_101 Depth=2
	s_or_b32 exec_lo, exec_lo, s14
	v_add_nc_u32_e32 v26, 16, v11
	v_cmp_lt_u32_e32 vcc_lo, 0x6f, v11
	v_add_nc_u32_e32 v10, 0x1000, v10
	v_add_nc_u32_e32 v9, 64, v9
	s_delay_alu instid0(VALU_DEP_4) | instskip(SKIP_1) | instid1(SALU_CYCLE_1)
	v_mov_b32_e32 v11, v26
	s_or_b32 s13, vcc_lo, s13
	s_and_not1_b32 exec_lo, exec_lo, s13
	s_cbranch_execz .LBB238_14
.LBB238_101:                            ;   Parent Loop BB238_15 Depth=1
                                        ; =>  This Inner Loop Header: Depth=2
	ds_load_b32 v26, v9
	s_mov_b32 s14, exec_lo
	s_waitcnt lgkmcnt(0)
	v_cmpx_ne_u32_e32 0, v26
	s_cbranch_execz .LBB238_100
; %bb.102:                              ;   in Loop: Header=BB238_101 Depth=2
	v_ashrrev_i32_e32 v27, 31, v26
	v_add_co_u32 v28, vcc_lo, v24, v26
	v_add_nc_u32_e32 v30, v8, v11
	s_delay_alu instid0(VALU_DEP_3) | instskip(NEXT) | instid1(VALU_DEP_1)
	v_add_co_ci_u32_e32 v29, vcc_lo, v25, v27, vcc_lo
	v_lshlrev_b64 v[28:29], 2, v[28:29]
	s_delay_alu instid0(VALU_DEP_1) | instskip(NEXT) | instid1(VALU_DEP_2)
	v_add_co_u32 v28, vcc_lo, s44, v28
	v_add_co_ci_u32_e32 v29, vcc_lo, s45, v29, vcc_lo
	global_store_b32 v[28:29], v30, off
	s_and_b32 exec_lo, exec_lo, s2
	s_cbranch_execz .LBB238_100
; %bb.103:                              ;   in Loop: Header=BB238_101 Depth=2
	v_add_co_u32 v26, vcc_lo, v1, v26
	v_add_co_ci_u32_e32 v27, vcc_lo, v3, v27, vcc_lo
	s_delay_alu instid0(VALU_DEP_2) | instskip(NEXT) | instid1(VALU_DEP_1)
	v_mad_u64_u32 v[30:31], null, v26, s52, 0
	v_mov_b32_e32 v26, v31
	s_delay_alu instid0(VALU_DEP_1) | instskip(SKIP_2) | instid1(VALU_DEP_1)
	v_mad_u64_u32 v[31:32], null, v27, s52, v[26:27]
	ds_load_2addr_b64 v[26:29], v10 offset1:1
	v_lshlrev_b64 v[30:31], 4, v[30:31]
	v_add_co_u32 v30, vcc_lo, v59, v30
	s_delay_alu instid0(VALU_DEP_2)
	v_add_co_ci_u32_e32 v31, vcc_lo, v58, v31, vcc_lo
	s_waitcnt lgkmcnt(0)
	global_store_b128 v[30:31], v[26:29], off
	s_branch .LBB238_100
.LBB238_104:
	s_endpgm
	.section	.rodata,"a",@progbits
	.p2align	6, 0x0
	.amdhsa_kernel _ZN9rocsparseL38bsrgemm_block_per_row_atomic_multipassILj256ELj128ELj4Eli21rocsparse_complex_numIdEEEv20rocsparse_direction_T3_S4_PKS4_S6_NS_24const_host_device_scalarIT4_EEPKT2_S6_PKS8_SC_S6_SE_S9_SC_S6_SE_SC_PS4_PS8_PSA_21rocsparse_index_base_SI_SI_SI_bbb
		.amdhsa_group_segment_fixed_size 41480
		.amdhsa_private_segment_fixed_size 0
		.amdhsa_kernarg_size 188
		.amdhsa_user_sgpr_count 15
		.amdhsa_user_sgpr_dispatch_ptr 1
		.amdhsa_user_sgpr_queue_ptr 0
		.amdhsa_user_sgpr_kernarg_segment_ptr 1
		.amdhsa_user_sgpr_dispatch_id 0
		.amdhsa_user_sgpr_private_segment_size 0
		.amdhsa_wavefront_size32 1
		.amdhsa_uses_dynamic_stack 0
		.amdhsa_enable_private_segment 0
		.amdhsa_system_sgpr_workgroup_id_x 1
		.amdhsa_system_sgpr_workgroup_id_y 0
		.amdhsa_system_sgpr_workgroup_id_z 0
		.amdhsa_system_sgpr_workgroup_info 0
		.amdhsa_system_vgpr_workitem_id 2
		.amdhsa_next_free_vgpr 78
		.amdhsa_next_free_sgpr 64
		.amdhsa_reserve_vcc 1
		.amdhsa_float_round_mode_32 0
		.amdhsa_float_round_mode_16_64 0
		.amdhsa_float_denorm_mode_32 3
		.amdhsa_float_denorm_mode_16_64 3
		.amdhsa_dx10_clamp 1
		.amdhsa_ieee_mode 1
		.amdhsa_fp16_overflow 0
		.amdhsa_workgroup_processor_mode 1
		.amdhsa_memory_ordered 1
		.amdhsa_forward_progress 0
		.amdhsa_shared_vgpr_count 0
		.amdhsa_exception_fp_ieee_invalid_op 0
		.amdhsa_exception_fp_denorm_src 0
		.amdhsa_exception_fp_ieee_div_zero 0
		.amdhsa_exception_fp_ieee_overflow 0
		.amdhsa_exception_fp_ieee_underflow 0
		.amdhsa_exception_fp_ieee_inexact 0
		.amdhsa_exception_int_div_zero 0
	.end_amdhsa_kernel
	.section	.text._ZN9rocsparseL38bsrgemm_block_per_row_atomic_multipassILj256ELj128ELj4Eli21rocsparse_complex_numIdEEEv20rocsparse_direction_T3_S4_PKS4_S6_NS_24const_host_device_scalarIT4_EEPKT2_S6_PKS8_SC_S6_SE_S9_SC_S6_SE_SC_PS4_PS8_PSA_21rocsparse_index_base_SI_SI_SI_bbb,"axG",@progbits,_ZN9rocsparseL38bsrgemm_block_per_row_atomic_multipassILj256ELj128ELj4Eli21rocsparse_complex_numIdEEEv20rocsparse_direction_T3_S4_PKS4_S6_NS_24const_host_device_scalarIT4_EEPKT2_S6_PKS8_SC_S6_SE_S9_SC_S6_SE_SC_PS4_PS8_PSA_21rocsparse_index_base_SI_SI_SI_bbb,comdat
.Lfunc_end238:
	.size	_ZN9rocsparseL38bsrgemm_block_per_row_atomic_multipassILj256ELj128ELj4Eli21rocsparse_complex_numIdEEEv20rocsparse_direction_T3_S4_PKS4_S6_NS_24const_host_device_scalarIT4_EEPKT2_S6_PKS8_SC_S6_SE_S9_SC_S6_SE_SC_PS4_PS8_PSA_21rocsparse_index_base_SI_SI_SI_bbb, .Lfunc_end238-_ZN9rocsparseL38bsrgemm_block_per_row_atomic_multipassILj256ELj128ELj4Eli21rocsparse_complex_numIdEEEv20rocsparse_direction_T3_S4_PKS4_S6_NS_24const_host_device_scalarIT4_EEPKT2_S6_PKS8_SC_S6_SE_S9_SC_S6_SE_SC_PS4_PS8_PSA_21rocsparse_index_base_SI_SI_SI_bbb
                                        ; -- End function
	.section	.AMDGPU.csdata,"",@progbits
; Kernel info:
; codeLenInByte = 4640
; NumSgprs: 66
; NumVgprs: 78
; ScratchSize: 0
; MemoryBound: 0
; FloatMode: 240
; IeeeMode: 1
; LDSByteSize: 41480 bytes/workgroup (compile time only)
; SGPRBlocks: 8
; VGPRBlocks: 9
; NumSGPRsForWavesPerEU: 66
; NumVGPRsForWavesPerEU: 78
; Occupancy: 6
; WaveLimiterHint : 1
; COMPUTE_PGM_RSRC2:SCRATCH_EN: 0
; COMPUTE_PGM_RSRC2:USER_SGPR: 15
; COMPUTE_PGM_RSRC2:TRAP_HANDLER: 0
; COMPUTE_PGM_RSRC2:TGID_X_EN: 1
; COMPUTE_PGM_RSRC2:TGID_Y_EN: 0
; COMPUTE_PGM_RSRC2:TGID_Z_EN: 0
; COMPUTE_PGM_RSRC2:TIDIG_COMP_CNT: 2
	.section	.text._ZN9rocsparseL23bsrgemm_fill_wf_per_rowILj256ELj64ELj8ELj137ELj8Eli21rocsparse_complex_numIdEEEv20rocsparse_direction_T5_S4_S4_PKS4_S6_NS_24const_host_device_scalarIT6_EEPKT4_S6_PKS8_SC_S6_SE_S9_SC_S6_SE_SC_PS4_PS8_21rocsparse_index_base_SH_SH_SH_bbb,"axG",@progbits,_ZN9rocsparseL23bsrgemm_fill_wf_per_rowILj256ELj64ELj8ELj137ELj8Eli21rocsparse_complex_numIdEEEv20rocsparse_direction_T5_S4_S4_PKS4_S6_NS_24const_host_device_scalarIT6_EEPKT4_S6_PKS8_SC_S6_SE_S9_SC_S6_SE_SC_PS4_PS8_21rocsparse_index_base_SH_SH_SH_bbb,comdat
	.globl	_ZN9rocsparseL23bsrgemm_fill_wf_per_rowILj256ELj64ELj8ELj137ELj8Eli21rocsparse_complex_numIdEEEv20rocsparse_direction_T5_S4_S4_PKS4_S6_NS_24const_host_device_scalarIT6_EEPKT4_S6_PKS8_SC_S6_SE_S9_SC_S6_SE_SC_PS4_PS8_21rocsparse_index_base_SH_SH_SH_bbb ; -- Begin function _ZN9rocsparseL23bsrgemm_fill_wf_per_rowILj256ELj64ELj8ELj137ELj8Eli21rocsparse_complex_numIdEEEv20rocsparse_direction_T5_S4_S4_PKS4_S6_NS_24const_host_device_scalarIT6_EEPKT4_S6_PKS8_SC_S6_SE_S9_SC_S6_SE_SC_PS4_PS8_21rocsparse_index_base_SH_SH_SH_bbb
	.p2align	8
	.type	_ZN9rocsparseL23bsrgemm_fill_wf_per_rowILj256ELj64ELj8ELj137ELj8Eli21rocsparse_complex_numIdEEEv20rocsparse_direction_T5_S4_S4_PKS4_S6_NS_24const_host_device_scalarIT6_EEPKT4_S6_PKS8_SC_S6_SE_S9_SC_S6_SE_SC_PS4_PS8_21rocsparse_index_base_SH_SH_SH_bbb,@function
_ZN9rocsparseL23bsrgemm_fill_wf_per_rowILj256ELj64ELj8ELj137ELj8Eli21rocsparse_complex_numIdEEEv20rocsparse_direction_T5_S4_S4_PKS4_S6_NS_24const_host_device_scalarIT6_EEPKT4_S6_PKS8_SC_S6_SE_S9_SC_S6_SE_SC_PS4_PS8_21rocsparse_index_base_SH_SH_SH_bbb: ; @_ZN9rocsparseL23bsrgemm_fill_wf_per_rowILj256ELj64ELj8ELj137ELj8Eli21rocsparse_complex_numIdEEEv20rocsparse_direction_T5_S4_S4_PKS4_S6_NS_24const_host_device_scalarIT6_EEPKT4_S6_PKS8_SC_S6_SE_S9_SC_S6_SE_SC_PS4_PS8_21rocsparse_index_base_SH_SH_SH_bbb
; %bb.0:
	s_load_b32 s13, s[2:3], 0xb0
	s_load_b64 s[16:17], s[0:1], 0x4
	v_and_b32_e32 v38, 0x3ff, v0
	s_clause 0x1
	s_load_b128 s[8:11], s[2:3], 0x20
	s_load_b128 s[4:7], s[2:3], 0x60
	v_mov_b32_e32 v4, 0
	v_mov_b32_e32 v5, 0
	v_bfe_u32 v2, v0, 10, 10
	v_bfe_u32 v0, v0, 20, 10
	s_delay_alu instid0(VALU_DEP_3)
	v_dual_mov_b32 v11, v5 :: v_dual_mov_b32 v10, v4
	v_dual_mov_b32 v13, v5 :: v_dual_mov_b32 v12, v4
	s_waitcnt lgkmcnt(0)
	s_bitcmp1_b32 s13, 0
	s_cselect_b32 s1, -1, 0
	s_bitcmp1_b32 s13, 16
	v_mov_b32_e32 v7, s5
	s_cselect_b32 s0, -1, 0
	s_lshr_b32 s12, s16, 16
	s_xor_b32 s14, s0, -1
	s_mul_i32 s12, s12, s17
	v_cndmask_b32_e64 v3, 0, 1, s14
	v_mul_lo_u32 v1, s12, v38
	s_bitcmp0_b32 s13, 0
	s_delay_alu instid0(VALU_DEP_2) | instskip(NEXT) | instid1(VALU_DEP_2)
	v_cmp_ne_u32_e32 vcc_lo, 1, v3
	v_mad_u32_u24 v1, v2, s17, v1
	s_delay_alu instid0(VALU_DEP_1) | instskip(SKIP_1) | instid1(VALU_DEP_2)
	v_add_lshl_u32 v0, v1, v0, 3
	v_dual_mov_b32 v1, s8 :: v_dual_mov_b32 v2, s9
	v_dual_mov_b32 v6, s4 :: v_dual_add_nc_u32 v3, 0x80, v0
	ds_store_2addr_stride64_b64 v3, v[6:7], v[1:2] offset0:64 offset1:68
	s_cbranch_scc1 .LBB239_3
; %bb.1:
	s_mov_b64 s[16:17], src_shared_base
	s_and_b32 s12, s0, exec_lo
	s_cselect_b32 s12, s17, s9
	s_delay_alu instid0(SALU_CYCLE_1) | instskip(SKIP_2) | instid1(VALU_DEP_2)
	v_dual_mov_b32 v2, s12 :: v_dual_add_nc_u32 v1, 0x8880, v0
	v_dual_mov_b32 v13, s11 :: v_dual_mov_b32 v12, s10
	s_and_b32 vcc_lo, exec_lo, vcc_lo
	v_cndmask_b32_e64 v1, s8, v1, s0
	flat_load_b64 v[10:11], v[1:2]
	s_cbranch_vccnz .LBB239_3
; %bb.2:
	v_dual_mov_b32 v1, s8 :: v_dual_mov_b32 v2, s9
	flat_load_b64 v[12:13], v[1:2] offset:8
.LBB239_3:
	s_load_b128 s[36:39], s[2:3], 0xa0
	s_bitcmp1_b32 s13, 8
	v_dual_mov_b32 v7, v5 :: v_dual_mov_b32 v6, v4
	s_cselect_b32 s12, -1, 0
	s_bfe_u32 s8, s13, 0x10008
	s_delay_alu instid0(SALU_CYCLE_1)
	s_cmp_eq_u32 s8, 0
	s_cbranch_scc1 .LBB239_6
; %bb.4:
	s_mov_b64 s[8:9], src_shared_base
	s_and_b32 s8, s0, exec_lo
	s_cselect_b32 s8, s9, s5
	s_delay_alu instid0(SALU_CYCLE_1) | instskip(SKIP_2) | instid1(VALU_DEP_2)
	v_dual_mov_b32 v1, s8 :: v_dual_add_nc_u32 v0, 0x8080, v0
	v_dual_mov_b32 v4, s6 :: v_dual_mov_b32 v5, s7
	s_and_not1_b32 vcc_lo, exec_lo, s14
	v_cndmask_b32_e64 v0, s4, v0, s0
	flat_load_b64 v[6:7], v[0:1]
	s_cbranch_vccnz .LBB239_6
; %bb.5:
	v_dual_mov_b32 v0, s4 :: v_dual_mov_b32 v1, s5
	flat_load_b64 v[4:5], v[0:1] offset:8
.LBB239_6:
	s_clause 0x4
	s_load_b128 s[40:43], s[2:3], 0x90
	s_load_b256 s[16:23], s[2:3], 0x70
	s_load_b128 s[44:47], s[2:3], 0x50
	s_load_b256 s[4:11], s[2:3], 0x0
	s_load_b256 s[24:31], s[2:3], 0x30
	v_lshrrev_b32_e32 v8, 6, v38
	v_and_b32_e32 v44, 63, v38
	s_mov_b32 s0, exec_lo
	s_delay_alu instid0(VALU_DEP_2) | instskip(NEXT) | instid1(VALU_DEP_2)
	v_lshl_or_b32 v39, v8, 5, 0x8000
	v_cmpx_gt_u32_e32 8, v44
	s_cbranch_execz .LBB239_8
; %bb.7:
	s_delay_alu instid0(VALU_DEP_2)
	v_lshl_add_u32 v0, v44, 2, v39
	s_waitcnt lgkmcnt(0)
	v_mov_b32_e32 v1, s6
	ds_store_b32 v0, v1
.LBB239_8:
	s_or_b32 exec_lo, exec_lo, s0
	v_mov_b32_e32 v0, 0
	v_lshlrev_b32_e32 v40, 13, v8
	v_or_b32_e32 v9, 0xffffffc0, v44
	s_mov_b32 s0, 0
	s_delay_alu instid0(VALU_DEP_3) | instskip(NEXT) | instid1(VALU_DEP_3)
	v_mov_b32_e32 v1, v0
	v_lshl_or_b32 v14, v44, 4, v40
	v_mov_b32_e32 v2, v0
	v_mov_b32_e32 v3, v0
.LBB239_9:                              ; =>This Inner Loop Header: Depth=1
	v_add_nc_u32_e32 v9, 64, v9
	ds_store_b128 v14, v[0:3]
	v_add_nc_u32_e32 v14, 0x400, v14
	v_cmp_lt_u32_e32 vcc_lo, 0x1bf, v9
	s_or_b32 s0, vcc_lo, s0
	s_delay_alu instid0(SALU_CYCLE_1)
	s_and_not1_b32 exec_lo, exec_lo, s0
	s_cbranch_execnz .LBB239_9
; %bb.10:
	s_or_b32 exec_lo, exec_lo, s0
	v_lshl_or_b32 v0, s15, 2, v8
	s_waitcnt vmcnt(0) lgkmcnt(0)
	s_barrier
	buffer_gl0_inv
	s_mov_b32 s0, exec_lo
	v_cmpx_gt_i32_e64 s5, v0
	s_cbranch_execz .LBB239_82
; %bb.11:
	s_cmp_eq_u64 s[10:11], 0
	s_cbranch_scc1 .LBB239_13
; %bb.12:
	s_load_b32 s0, s[8:9], 0x0
	s_waitcnt lgkmcnt(0)
	v_add_nc_u32_e32 v0, s0, v0
	s_delay_alu instid0(VALU_DEP_1) | instskip(NEXT) | instid1(VALU_DEP_1)
	v_ashrrev_i32_e32 v1, 31, v0
	v_lshlrev_b64 v[0:1], 2, v[0:1]
	s_delay_alu instid0(VALU_DEP_1) | instskip(NEXT) | instid1(VALU_DEP_2)
	v_add_co_u32 v0, vcc_lo, s10, v0
	v_add_co_ci_u32_e32 v1, vcc_lo, s11, v1, vcc_lo
	global_load_b32 v0, v[0:1], off
.LBB239_13:
	s_waitcnt vmcnt(0)
	v_ashrrev_i32_e32 v1, 31, v0
	v_lshlrev_b32_e32 v2, 7, v38
	v_and_b32_e32 v41, 7, v38
	v_lshrrev_b32_e32 v42, 3, v44
	s_and_not1_b32 vcc_lo, exec_lo, s1
	v_lshlrev_b64 v[8:9], 3, v[0:1]
	v_and_b32_e32 v43, 0x6000, v2
	s_mul_i32 s2, s7, s7
	s_cbranch_vccnz .LBB239_51
; %bb.14:
	s_delay_alu instid0(VALU_DEP_2) | instskip(NEXT) | instid1(VALU_DEP_3)
	v_add_co_u32 v0, vcc_lo, s24, v8
	v_add_co_ci_u32_e32 v1, vcc_lo, s25, v9, vcc_lo
	s_mov_b32 s5, exec_lo
	global_load_b128 v[0:3], v[0:1], off
	s_waitcnt vmcnt(0)
	v_cmpx_lt_i64_e64 v[0:1], v[2:3]
	s_cbranch_execz .LBB239_50
; %bb.15:
	v_sub_co_u32 v14, vcc_lo, v0, s36
	v_subrev_co_ci_u32_e32 v15, vcc_lo, 0, v1, vcc_lo
	v_sub_co_u32 v16, vcc_lo, v2, s36
	s_delay_alu instid0(VALU_DEP_3) | instskip(SKIP_4) | instid1(VALU_DEP_3)
	v_mad_u64_u32 v[0:1], null, v14, s2, 0
	v_subrev_co_ci_u32_e32 v17, vcc_lo, 0, v3, vcc_lo
	v_dual_mov_b32 v3, 0 :: v_dual_lshlrev_b32 v20, 4, v42
	s_cmp_lg_u32 s4, 0
	s_mov_b32 s3, 0
	v_mad_u64_u32 v[18:19], null, v15, s2, v[1:2]
	v_mul_lo_u32 v2, v41, s7
	v_max_i32_e32 v19, v41, v42
	s_cselect_b32 s14, -1, 0
	v_lshlrev_b32_e32 v46, 4, v44
	s_cmp_gt_i32 s7, 0
	s_mov_b32 s10, s7
	s_delay_alu instid0(VALU_DEP_4)
	v_mov_b32_e32 v1, v18
	v_mul_lo_u32 v18, v42, s7
	v_cmp_gt_i32_e64 s0, s7, v19
	v_mov_b32_e32 v19, v3
	v_lshlrev_b64 v[2:3], 4, v[2:3]
	v_lshlrev_b64 v[0:1], 4, v[0:1]
	s_cselect_b32 s15, -1, 0
	s_mov_b32 s11, s3
	v_cndmask_b32_e64 v45, 0, 1, s15
	v_lshlrev_b64 v[22:23], 4, v[18:19]
	s_mov_b32 s13, s37
	v_add_co_u32 v20, vcc_lo, v0, v20
	v_add_co_ci_u32_e32 v21, vcc_lo, 0, v1, vcc_lo
	s_lshl_b64 s[8:9], s[2:3], 4
	s_delay_alu instid0(VALU_DEP_2) | instskip(NEXT) | instid1(VALU_DEP_2)
	v_add_co_u32 v18, vcc_lo, v20, s28
	v_add_co_ci_u32_e32 v19, vcc_lo, s29, v21, vcc_lo
	v_add_co_u32 v2, vcc_lo, v2, s46
	v_add_co_ci_u32_e32 v3, vcc_lo, s47, v3, vcc_lo
	s_delay_alu instid0(VALU_DEP_4) | instskip(NEXT) | instid1(VALU_DEP_4)
	v_add_co_u32 v18, vcc_lo, v18, 8
	v_add_co_ci_u32_e32 v19, vcc_lo, 0, v19, vcc_lo
	s_delay_alu instid0(VALU_DEP_4) | instskip(NEXT) | instid1(VALU_DEP_4)
	v_add_co_u32 v20, vcc_lo, v2, 8
	v_add_co_ci_u32_e32 v21, vcc_lo, 0, v3, vcc_lo
	v_add_co_u32 v0, vcc_lo, v0, v22
	v_add_co_ci_u32_e32 v1, vcc_lo, v1, v23, vcc_lo
	v_lshlrev_b32_e32 v2, 4, v41
	s_delay_alu instid0(VALU_DEP_3) | instskip(NEXT) | instid1(VALU_DEP_3)
	v_add_co_u32 v0, vcc_lo, v0, s28
	v_add_co_ci_u32_e32 v1, vcc_lo, s29, v1, vcc_lo
	s_delay_alu instid0(VALU_DEP_3) | instskip(NEXT) | instid1(VALU_DEP_1)
	v_add_co_u32 v2, s1, v2, s46
	v_add_co_ci_u32_e64 v3, null, 0, s47, s1
	s_delay_alu instid0(VALU_DEP_4) | instskip(NEXT) | instid1(VALU_DEP_4)
	v_add_co_u32 v22, vcc_lo, v0, 8
	v_add_co_ci_u32_e32 v23, vcc_lo, 0, v1, vcc_lo
	s_delay_alu instid0(VALU_DEP_4) | instskip(NEXT) | instid1(VALU_DEP_4)
	v_add_co_u32 v24, vcc_lo, v2, 8
	v_add_co_ci_u32_e32 v25, vcc_lo, 0, v3, vcc_lo
	s_lshl_b64 s[10:11], s[10:11], 4
	s_branch .LBB239_17
.LBB239_16:                             ;   in Loop: Header=BB239_17 Depth=1
	s_or_b32 exec_lo, exec_lo, s24
	v_add_co_u32 v14, vcc_lo, v14, 1
	v_add_co_ci_u32_e32 v15, vcc_lo, 0, v15, vcc_lo
	v_add_co_u32 v18, vcc_lo, v18, s8
	v_add_co_ci_u32_e32 v19, vcc_lo, s9, v19, vcc_lo
	s_delay_alu instid0(VALU_DEP_3) | instskip(SKIP_1) | instid1(VALU_DEP_1)
	v_cmp_ge_i64_e32 vcc_lo, v[14:15], v[16:17]
	v_add_co_u32 v22, s1, v22, s8
	v_add_co_ci_u32_e64 v23, s1, s9, v23, s1
	s_or_b32 s3, vcc_lo, s3
	s_delay_alu instid0(SALU_CYCLE_1)
	s_and_not1_b32 exec_lo, exec_lo, s3
	s_cbranch_execz .LBB239_50
.LBB239_17:                             ; =>This Loop Header: Depth=1
                                        ;     Child Loop BB239_20 Depth 2
                                        ;       Child Loop BB239_24 Depth 3
                                        ;       Child Loop BB239_29 Depth 3
                                        ;       Child Loop BB239_32 Depth 3
                                        ;         Child Loop BB239_38 Depth 4
                                        ;         Child Loop BB239_40 Depth 4
	;; [unrolled: 1-line block ×4, first 2 shown]
	v_lshlrev_b64 v[0:1], 2, v[14:15]
	s_mov_b32 s24, exec_lo
	s_delay_alu instid0(VALU_DEP_1) | instskip(NEXT) | instid1(VALU_DEP_2)
	v_add_co_u32 v0, vcc_lo, s26, v0
	v_add_co_ci_u32_e32 v1, vcc_lo, s27, v1, vcc_lo
	global_load_b32 v0, v[0:1], off
	s_waitcnt vmcnt(0)
	v_subrev_nc_u32_e32 v0, s36, v0
	s_delay_alu instid0(VALU_DEP_1) | instskip(NEXT) | instid1(VALU_DEP_1)
	v_ashrrev_i32_e32 v1, 31, v0
	v_lshlrev_b64 v[0:1], 3, v[0:1]
	s_delay_alu instid0(VALU_DEP_1) | instskip(NEXT) | instid1(VALU_DEP_2)
	v_add_co_u32 v0, vcc_lo, s30, v0
	v_add_co_ci_u32_e32 v1, vcc_lo, s31, v1, vcc_lo
	global_load_b128 v[0:3], v[0:1], off
	s_waitcnt vmcnt(0)
	v_cmpx_lt_i64_e64 v[0:1], v[2:3]
	s_cbranch_execz .LBB239_16
; %bb.18:                               ;   in Loop: Header=BB239_17 Depth=1
	v_sub_co_u32 v0, vcc_lo, v0, s13
	v_subrev_co_ci_u32_e32 v1, vcc_lo, 0, v1, vcc_lo
	v_sub_co_u32 v2, vcc_lo, v2, s13
	s_delay_alu instid0(VALU_DEP_3) | instskip(NEXT) | instid1(VALU_DEP_3)
	v_mad_u64_u32 v[26:27], null, s8, v0, v[20:21]
	v_mul_lo_u32 v30, s8, v1
	v_mul_lo_u32 v31, s9, v0
	v_mad_u64_u32 v[28:29], null, s8, v0, v[24:25]
	v_subrev_co_ci_u32_e32 v3, vcc_lo, 0, v3, vcc_lo
	s_mov_b32 s25, 0
	s_delay_alu instid0(VALU_DEP_3) | instskip(NEXT) | instid1(VALU_DEP_3)
	v_add3_u32 v27, v31, v27, v30
	v_add3_u32 v29, v31, v29, v30
	s_branch .LBB239_20
.LBB239_19:                             ;   in Loop: Header=BB239_20 Depth=2
	s_or_b32 exec_lo, exec_lo, s28
	v_add_co_u32 v0, vcc_lo, v0, 1
	v_add_co_ci_u32_e32 v1, vcc_lo, 0, v1, vcc_lo
	v_add_co_u32 v26, vcc_lo, v26, s8
	v_add_co_ci_u32_e32 v27, vcc_lo, s9, v27, vcc_lo
	s_delay_alu instid0(VALU_DEP_3) | instskip(SKIP_1) | instid1(VALU_DEP_1)
	v_cmp_ge_i64_e32 vcc_lo, v[0:1], v[2:3]
	v_add_co_u32 v28, s1, v28, s8
	v_add_co_ci_u32_e64 v29, s1, s9, v29, s1
	s_or_b32 s25, vcc_lo, s25
	s_delay_alu instid0(SALU_CYCLE_1)
	s_and_not1_b32 exec_lo, exec_lo, s25
	s_cbranch_execz .LBB239_16
.LBB239_20:                             ;   Parent Loop BB239_17 Depth=1
                                        ; =>  This Loop Header: Depth=2
                                        ;       Child Loop BB239_24 Depth 3
                                        ;       Child Loop BB239_29 Depth 3
	;; [unrolled: 1-line block ×3, first 2 shown]
                                        ;         Child Loop BB239_38 Depth 4
                                        ;         Child Loop BB239_40 Depth 4
	;; [unrolled: 1-line block ×4, first 2 shown]
	s_and_saveexec_b32 s28, s0
	s_cbranch_execz .LBB239_19
; %bb.21:                               ;   in Loop: Header=BB239_20 Depth=2
	v_lshlrev_b64 v[30:31], 2, v[0:1]
	v_cmp_ne_u32_e64 s1, 1, v45
	s_delay_alu instid0(VALU_DEP_2) | instskip(NEXT) | instid1(VALU_DEP_3)
	v_add_co_u32 v30, vcc_lo, s44, v30
	v_add_co_ci_u32_e32 v31, vcc_lo, s45, v31, vcc_lo
	s_and_not1_b32 vcc_lo, exec_lo, s14
	global_load_b32 v47, v[30:31], off
	s_cbranch_vccnz .LBB239_26
; %bb.22:                               ;   in Loop: Header=BB239_20 Depth=2
	v_mov_b32_e32 v32, 0
	v_mov_b32_e32 v33, 0
	s_delay_alu instid0(VALU_DEP_2) | instskip(SKIP_1) | instid1(VALU_DEP_2)
	v_mov_b32_e32 v30, v32
	s_and_b32 vcc_lo, exec_lo, s1
	v_mov_b32_e32 v31, v33
	s_cbranch_vccnz .LBB239_25
; %bb.23:                               ;   in Loop: Header=BB239_20 Depth=2
	v_dual_mov_b32 v32, 0 :: v_dual_mov_b32 v35, v27
	v_dual_mov_b32 v33, 0 :: v_dual_mov_b32 v34, v26
	;; [unrolled: 1-line block ×3, first 2 shown]
	s_delay_alu instid0(VALU_DEP_2)
	v_dual_mov_b32 v30, v32 :: v_dual_mov_b32 v31, v33
	s_mov_b32 s1, s7
	.p2align	6
.LBB239_24:                             ;   Parent Loop BB239_17 Depth=1
                                        ;     Parent Loop BB239_20 Depth=2
                                        ; =>    This Inner Loop Header: Depth=3
	global_load_b128 v[48:51], v[36:37], off offset:-8
	global_load_b128 v[52:55], v[34:35], off offset:-8
	v_add_co_u32 v36, vcc_lo, v36, s10
	v_add_co_ci_u32_e32 v37, vcc_lo, s11, v37, vcc_lo
	v_add_co_u32 v34, vcc_lo, v34, 16
	v_add_co_ci_u32_e32 v35, vcc_lo, 0, v35, vcc_lo
	s_add_i32 s1, s1, -1
	s_delay_alu instid0(SALU_CYCLE_1) | instskip(SKIP_3) | instid1(VALU_DEP_2)
	s_cmp_lg_u32 s1, 0
	s_waitcnt vmcnt(0)
	v_fma_f64 v[32:33], v[48:49], v[52:53], v[32:33]
	v_fma_f64 v[30:31], v[50:51], v[52:53], v[30:31]
	v_fma_f64 v[32:33], -v[50:51], v[54:55], v[32:33]
	s_delay_alu instid0(VALU_DEP_2)
	v_fma_f64 v[30:31], v[48:49], v[54:55], v[30:31]
	s_cbranch_scc1 .LBB239_24
.LBB239_25:                             ;   in Loop: Header=BB239_20 Depth=2
	s_cbranch_execz .LBB239_27
	s_branch .LBB239_30
.LBB239_26:                             ;   in Loop: Header=BB239_20 Depth=2
                                        ; implicit-def: $vgpr32_vgpr33
                                        ; implicit-def: $vgpr30_vgpr31
.LBB239_27:                             ;   in Loop: Header=BB239_20 Depth=2
	v_mov_b32_e32 v32, 0
	v_mov_b32_e32 v33, 0
	s_delay_alu instid0(VALU_DEP_2) | instskip(SKIP_1) | instid1(VALU_DEP_2)
	v_mov_b32_e32 v30, v32
	s_and_not1_b32 vcc_lo, exec_lo, s15
	v_mov_b32_e32 v31, v33
	s_cbranch_vccnz .LBB239_30
; %bb.28:                               ;   in Loop: Header=BB239_20 Depth=2
	v_dual_mov_b32 v32, 0 :: v_dual_mov_b32 v35, v29
	v_dual_mov_b32 v33, 0 :: v_dual_mov_b32 v34, v28
	;; [unrolled: 1-line block ×3, first 2 shown]
	s_delay_alu instid0(VALU_DEP_2)
	v_dual_mov_b32 v30, v32 :: v_dual_mov_b32 v31, v33
	s_mov_b32 s1, s7
	.p2align	6
.LBB239_29:                             ;   Parent Loop BB239_17 Depth=1
                                        ;     Parent Loop BB239_20 Depth=2
                                        ; =>    This Inner Loop Header: Depth=3
	global_load_b128 v[48:51], v[36:37], off offset:-8
	global_load_b128 v[52:55], v[34:35], off offset:-8
	v_add_co_u32 v36, vcc_lo, v36, 16
	v_add_co_ci_u32_e32 v37, vcc_lo, 0, v37, vcc_lo
	v_add_co_u32 v34, vcc_lo, v34, s10
	v_add_co_ci_u32_e32 v35, vcc_lo, s11, v35, vcc_lo
	s_add_i32 s1, s1, -1
	s_delay_alu instid0(SALU_CYCLE_1) | instskip(SKIP_3) | instid1(VALU_DEP_2)
	s_cmp_eq_u32 s1, 0
	s_waitcnt vmcnt(0)
	v_fma_f64 v[32:33], v[48:49], v[52:53], v[32:33]
	v_fma_f64 v[30:31], v[50:51], v[52:53], v[30:31]
	v_fma_f64 v[32:33], -v[50:51], v[54:55], v[32:33]
	s_delay_alu instid0(VALU_DEP_2)
	v_fma_f64 v[30:31], v[48:49], v[54:55], v[30:31]
	s_cbranch_scc0 .LBB239_29
.LBB239_30:                             ;   in Loop: Header=BB239_20 Depth=2
	s_delay_alu instid0(VALU_DEP_1) | instskip(SKIP_2) | instid1(VALU_DEP_2)
	v_mul_f64 v[34:35], v[30:31], -v[12:13]
	v_mul_f64 v[36:37], v[10:11], v[30:31]
	s_mov_b32 s1, 0
	v_fma_f64 v[30:31], v[10:11], v[32:33], v[34:35]
	s_delay_alu instid0(VALU_DEP_2) | instskip(SKIP_2) | instid1(VALU_DEP_1)
	v_fma_f64 v[32:33], v[12:13], v[32:33], v[36:37]
	s_waitcnt vmcnt(0)
	v_subrev_nc_u32_e32 v36, s37, v47
	v_and_b32_e32 v37, 7, v36
	s_branch .LBB239_32
.LBB239_31:                             ;   in Loop: Header=BB239_32 Depth=3
	s_or_b32 exec_lo, exec_lo, s29
	s_xor_b32 s29, s33, -1
	s_delay_alu instid0(SALU_CYCLE_1) | instskip(NEXT) | instid1(SALU_CYCLE_1)
	s_and_b32 s29, exec_lo, s29
	s_or_b32 s1, s29, s1
	s_delay_alu instid0(SALU_CYCLE_1)
	s_and_not1_b32 exec_lo, exec_lo, s1
	s_cbranch_execz .LBB239_19
.LBB239_32:                             ;   Parent Loop BB239_17 Depth=1
                                        ;     Parent Loop BB239_20 Depth=2
                                        ; =>    This Loop Header: Depth=3
                                        ;         Child Loop BB239_38 Depth 4
                                        ;         Child Loop BB239_40 Depth 4
	;; [unrolled: 1-line block ×4, first 2 shown]
	s_delay_alu instid0(VALU_DEP_1)
	v_lshl_add_u32 v34, v37, 2, v39
	s_mov_b32 s29, exec_lo
                                        ; implicit-def: $sgpr33
	ds_load_b32 v35, v34
	s_waitcnt lgkmcnt(0)
	v_cmpx_ne_u32_e64 v35, v36
	s_xor_b32 s29, exec_lo, s29
	s_cbranch_execz .LBB239_44
; %bb.33:                               ;   in Loop: Header=BB239_32 Depth=3
	s_mov_b32 s34, exec_lo
                                        ; implicit-def: $sgpr33
	v_cmpx_ne_u32_e64 s6, v35
	s_xor_b32 s34, exec_lo, s34
; %bb.34:                               ;   in Loop: Header=BB239_32 Depth=3
	v_add_nc_u32_e32 v34, 1, v37
	s_mov_b32 s33, -1
	s_delay_alu instid0(VALU_DEP_1)
	v_and_b32_e32 v37, 7, v34
                                        ; implicit-def: $vgpr34
; %bb.35:                               ;   in Loop: Header=BB239_32 Depth=3
	s_and_not1_saveexec_b32 s34, s34
	s_cbranch_execz .LBB239_43
; %bb.36:                               ;   in Loop: Header=BB239_32 Depth=3
	v_mov_b32_e32 v35, s6
	s_mov_b32 s46, -1
	s_mov_b32 s35, exec_lo
	ds_cmpstore_rtn_b32 v34, v34, v36, v35
	s_waitcnt lgkmcnt(0)
	v_cmpx_eq_u32_e64 s6, v34
	s_cbranch_execz .LBB239_42
; %bb.37:                               ;   in Loop: Header=BB239_32 Depth=3
	v_lshl_or_b32 v34, v37, 10, v46
	s_mov_b32 s46, 0
	s_delay_alu instid0(VALU_DEP_1)
	v_add_nc_u32_e32 v47, v43, v34
	ds_load_b64 v[34:35], v47
.LBB239_38:                             ;   Parent Loop BB239_17 Depth=1
                                        ;     Parent Loop BB239_20 Depth=2
                                        ;       Parent Loop BB239_32 Depth=3
                                        ; =>      This Inner Loop Header: Depth=4
	s_waitcnt lgkmcnt(0)
	v_add_f64 v[48:49], v[34:35], v[30:31]
	ds_cmpstore_rtn_b64 v[48:49], v47, v[48:49], v[34:35]
	s_waitcnt lgkmcnt(0)
	v_cmp_eq_u64_e32 vcc_lo, v[48:49], v[34:35]
	v_dual_mov_b32 v34, v48 :: v_dual_mov_b32 v35, v49
	s_or_b32 s46, vcc_lo, s46
	s_delay_alu instid0(SALU_CYCLE_1)
	s_and_not1_b32 exec_lo, exec_lo, s46
	s_cbranch_execnz .LBB239_38
; %bb.39:                               ;   in Loop: Header=BB239_32 Depth=3
	s_or_b32 exec_lo, exec_lo, s46
	ds_load_b64 v[34:35], v47 offset:8
	s_mov_b32 s46, 0
.LBB239_40:                             ;   Parent Loop BB239_17 Depth=1
                                        ;     Parent Loop BB239_20 Depth=2
                                        ;       Parent Loop BB239_32 Depth=3
                                        ; =>      This Inner Loop Header: Depth=4
	s_waitcnt lgkmcnt(0)
	v_add_f64 v[48:49], v[34:35], v[32:33]
	ds_cmpstore_rtn_b64 v[48:49], v47, v[48:49], v[34:35] offset:8
	s_waitcnt lgkmcnt(0)
	v_cmp_eq_u64_e32 vcc_lo, v[48:49], v[34:35]
	v_dual_mov_b32 v34, v48 :: v_dual_mov_b32 v35, v49
	s_or_b32 s46, vcc_lo, s46
	s_delay_alu instid0(SALU_CYCLE_1)
	s_and_not1_b32 exec_lo, exec_lo, s46
	s_cbranch_execnz .LBB239_40
; %bb.41:                               ;   in Loop: Header=BB239_32 Depth=3
	s_or_b32 exec_lo, exec_lo, s46
	s_delay_alu instid0(SALU_CYCLE_1)
	s_xor_b32 s46, exec_lo, -1
.LBB239_42:                             ;   in Loop: Header=BB239_32 Depth=3
	s_or_b32 exec_lo, exec_lo, s35
	s_delay_alu instid0(SALU_CYCLE_1) | instskip(SKIP_1) | instid1(SALU_CYCLE_1)
	s_and_not1_b32 s33, s33, exec_lo
	s_and_b32 s35, s46, exec_lo
	s_or_b32 s33, s33, s35
.LBB239_43:                             ;   in Loop: Header=BB239_32 Depth=3
	s_or_b32 exec_lo, exec_lo, s34
	s_delay_alu instid0(SALU_CYCLE_1)
	s_and_b32 s33, s33, exec_lo
.LBB239_44:                             ;   in Loop: Header=BB239_32 Depth=3
	s_and_not1_saveexec_b32 s29, s29
	s_cbranch_execz .LBB239_31
; %bb.45:                               ;   in Loop: Header=BB239_32 Depth=3
	v_lshl_or_b32 v34, v37, 10, v46
	s_mov_b32 s34, 0
	s_delay_alu instid0(VALU_DEP_1)
	v_add_nc_u32_e32 v47, v43, v34
	ds_load_b64 v[34:35], v47
.LBB239_46:                             ;   Parent Loop BB239_17 Depth=1
                                        ;     Parent Loop BB239_20 Depth=2
                                        ;       Parent Loop BB239_32 Depth=3
                                        ; =>      This Inner Loop Header: Depth=4
	s_waitcnt lgkmcnt(0)
	v_add_f64 v[48:49], v[34:35], v[30:31]
	ds_cmpstore_rtn_b64 v[48:49], v47, v[48:49], v[34:35]
	s_waitcnt lgkmcnt(0)
	v_cmp_eq_u64_e32 vcc_lo, v[48:49], v[34:35]
	v_dual_mov_b32 v34, v48 :: v_dual_mov_b32 v35, v49
	s_or_b32 s34, vcc_lo, s34
	s_delay_alu instid0(SALU_CYCLE_1)
	s_and_not1_b32 exec_lo, exec_lo, s34
	s_cbranch_execnz .LBB239_46
; %bb.47:                               ;   in Loop: Header=BB239_32 Depth=3
	s_or_b32 exec_lo, exec_lo, s34
	ds_load_b64 v[34:35], v47 offset:8
	s_mov_b32 s34, 0
.LBB239_48:                             ;   Parent Loop BB239_17 Depth=1
                                        ;     Parent Loop BB239_20 Depth=2
                                        ;       Parent Loop BB239_32 Depth=3
                                        ; =>      This Inner Loop Header: Depth=4
	s_waitcnt lgkmcnt(0)
	v_add_f64 v[48:49], v[34:35], v[32:33]
	ds_cmpstore_rtn_b64 v[48:49], v47, v[48:49], v[34:35] offset:8
	s_waitcnt lgkmcnt(0)
	v_cmp_eq_u64_e32 vcc_lo, v[48:49], v[34:35]
	v_dual_mov_b32 v34, v48 :: v_dual_mov_b32 v35, v49
	s_or_b32 s34, vcc_lo, s34
	s_delay_alu instid0(SALU_CYCLE_1)
	s_and_not1_b32 exec_lo, exec_lo, s34
	s_cbranch_execnz .LBB239_48
; %bb.49:                               ;   in Loop: Header=BB239_32 Depth=3
	s_or_b32 exec_lo, exec_lo, s34
	s_delay_alu instid0(SALU_CYCLE_1)
	s_and_not1_b32 s33, s33, exec_lo
	s_branch .LBB239_31
.LBB239_50:
	s_or_b32 exec_lo, exec_lo, s5
.LBB239_51:
	s_delay_alu instid0(SALU_CYCLE_1)
	s_and_not1_b32 vcc_lo, exec_lo, s12
	s_barrier
	buffer_gl0_inv
	s_cbranch_vccnz .LBB239_77
; %bb.52:
	v_add_co_u32 v0, vcc_lo, s16, v8
	v_add_co_ci_u32_e32 v1, vcc_lo, s17, v9, vcc_lo
	s_mov_b32 s1, exec_lo
	global_load_b128 v[0:3], v[0:1], off
	s_waitcnt vmcnt(0)
	v_cmpx_lt_i64_e64 v[0:1], v[2:3]
	s_cbranch_execz .LBB239_76
; %bb.53:
	v_mul_lo_u32 v10, v41, s7
	v_dual_mov_b32 v11, 0 :: v_dual_lshlrev_b32 v16, 4, v41
	v_sub_co_u32 v2, vcc_lo, v2, s39
	v_subrev_co_ci_u32_e32 v3, vcc_lo, 0, v3, vcc_lo
	v_lshlrev_b32_e32 v15, 4, v42
	s_delay_alu instid0(VALU_DEP_4)
	v_lshlrev_b64 v[12:13], 4, v[10:11]
	v_mul_lo_u32 v10, v42, s7
	v_max_i32_e32 v14, v41, v42
	s_cmp_eq_u32 s4, 0
	v_lshlrev_b32_e32 v18, 4, v44
	s_cselect_b32 s0, -1, 0
	v_add_co_u32 v12, vcc_lo, s20, v12
	v_add_co_ci_u32_e32 v13, vcc_lo, s21, v13, vcc_lo
	v_lshlrev_b64 v[10:11], 4, v[10:11]
	s_mov_b32 s3, 0
	s_delay_alu instid0(VALU_DEP_1) | instskip(NEXT) | instid1(VALU_DEP_2)
	v_add_co_u32 v10, vcc_lo, s20, v10
	v_add_co_ci_u32_e32 v11, vcc_lo, s21, v11, vcc_lo
	v_add_co_u32 v12, vcc_lo, v12, v15
	v_add_co_ci_u32_e32 v13, vcc_lo, 0, v13, vcc_lo
	s_delay_alu instid0(VALU_DEP_4) | instskip(NEXT) | instid1(VALU_DEP_4)
	v_add_co_u32 v10, vcc_lo, v10, v16
	v_add_co_ci_u32_e32 v11, vcc_lo, 0, v11, vcc_lo
	v_sub_co_u32 v0, vcc_lo, v0, s39
	v_subrev_co_ci_u32_e32 v1, vcc_lo, 0, v1, vcc_lo
	v_cmp_gt_i32_e32 vcc_lo, s7, v14
	s_delay_alu instid0(VALU_DEP_4)
	v_cndmask_b32_e64 v16, v13, v11, s0
	v_cndmask_b32_e64 v17, v12, v10, s0
	s_branch .LBB239_55
.LBB239_54:                             ;   in Loop: Header=BB239_55 Depth=1
	s_or_b32 exec_lo, exec_lo, s5
	v_add_co_u32 v0, s0, v0, 1
	s_delay_alu instid0(VALU_DEP_1) | instskip(NEXT) | instid1(VALU_DEP_1)
	v_add_co_ci_u32_e64 v1, s0, 0, v1, s0
	v_cmp_ge_i64_e64 s0, v[0:1], v[2:3]
	s_delay_alu instid0(VALU_DEP_1) | instskip(NEXT) | instid1(SALU_CYCLE_1)
	s_or_b32 s3, s0, s3
	s_and_not1_b32 exec_lo, exec_lo, s3
	s_cbranch_execz .LBB239_76
.LBB239_55:                             ; =>This Loop Header: Depth=1
                                        ;     Child Loop BB239_58 Depth 2
                                        ;       Child Loop BB239_64 Depth 3
                                        ;       Child Loop BB239_66 Depth 3
	;; [unrolled: 1-line block ×4, first 2 shown]
	s_and_saveexec_b32 s5, vcc_lo
	s_cbranch_execz .LBB239_54
; %bb.56:                               ;   in Loop: Header=BB239_55 Depth=1
	v_mad_u64_u32 v[10:11], null, v0, s2, 0
	s_mov_b32 s8, 0
	s_delay_alu instid0(VALU_DEP_1) | instskip(NEXT) | instid1(VALU_DEP_1)
	v_mad_u64_u32 v[12:13], null, v1, s2, v[11:12]
	v_mov_b32_e32 v11, v12
	s_delay_alu instid0(VALU_DEP_1) | instskip(NEXT) | instid1(VALU_DEP_1)
	v_lshlrev_b64 v[10:11], 4, v[10:11]
	v_add_co_u32 v10, s0, v17, v10
	s_delay_alu instid0(VALU_DEP_1) | instskip(SKIP_2) | instid1(VALU_DEP_1)
	v_add_co_ci_u32_e64 v11, s0, v16, v11, s0
	global_load_b128 v[12:15], v[10:11], off
	v_lshlrev_b64 v[10:11], 2, v[0:1]
	v_add_co_u32 v10, s0, s18, v10
	s_delay_alu instid0(VALU_DEP_1)
	v_add_co_ci_u32_e64 v11, s0, s19, v11, s0
	global_load_b32 v19, v[10:11], off
	s_waitcnt vmcnt(1)
	v_mul_f64 v[10:11], v[14:15], -v[4:5]
	v_mul_f64 v[14:15], v[6:7], v[14:15]
	s_waitcnt vmcnt(0)
	v_subrev_nc_u32_e32 v19, s39, v19
	s_delay_alu instid0(VALU_DEP_1) | instskip(NEXT) | instid1(VALU_DEP_4)
	v_and_b32_e32 v20, 7, v19
	v_fma_f64 v[10:11], v[6:7], v[12:13], v[10:11]
	s_delay_alu instid0(VALU_DEP_4)
	v_fma_f64 v[12:13], v[4:5], v[12:13], v[14:15]
	s_branch .LBB239_58
.LBB239_57:                             ;   in Loop: Header=BB239_58 Depth=2
	s_or_b32 exec_lo, exec_lo, s9
	s_xor_b32 s0, s10, -1
	s_delay_alu instid0(SALU_CYCLE_1) | instskip(NEXT) | instid1(SALU_CYCLE_1)
	s_and_b32 s0, exec_lo, s0
	s_or_b32 s8, s0, s8
	s_delay_alu instid0(SALU_CYCLE_1)
	s_and_not1_b32 exec_lo, exec_lo, s8
	s_cbranch_execz .LBB239_54
.LBB239_58:                             ;   Parent Loop BB239_55 Depth=1
                                        ; =>  This Loop Header: Depth=2
                                        ;       Child Loop BB239_64 Depth 3
                                        ;       Child Loop BB239_66 Depth 3
	;; [unrolled: 1-line block ×4, first 2 shown]
	s_delay_alu instid0(VALU_DEP_3)
	v_lshl_add_u32 v14, v20, 2, v39
	s_mov_b32 s9, exec_lo
                                        ; implicit-def: $sgpr10
	ds_load_b32 v15, v14
	s_waitcnt lgkmcnt(0)
	v_cmpx_ne_u32_e64 v15, v19
	s_xor_b32 s9, exec_lo, s9
	s_cbranch_execz .LBB239_70
; %bb.59:                               ;   in Loop: Header=BB239_58 Depth=2
	v_cmp_ne_u32_e64 s0, s6, v15
                                        ; implicit-def: $sgpr10
	s_delay_alu instid0(VALU_DEP_1) | instskip(NEXT) | instid1(SALU_CYCLE_1)
	s_and_saveexec_b32 s11, s0
	s_xor_b32 s0, exec_lo, s11
; %bb.60:                               ;   in Loop: Header=BB239_58 Depth=2
	v_add_nc_u32_e32 v14, 1, v20
	s_mov_b32 s10, -1
	s_delay_alu instid0(VALU_DEP_1)
	v_and_b32_e32 v20, 7, v14
                                        ; implicit-def: $vgpr14
; %bb.61:                               ;   in Loop: Header=BB239_58 Depth=2
	s_and_not1_saveexec_b32 s11, s0
	s_cbranch_execz .LBB239_69
; %bb.62:                               ;   in Loop: Header=BB239_58 Depth=2
	v_mov_b32_e32 v15, s6
	s_mov_b32 s13, -1
	s_mov_b32 s12, exec_lo
	ds_cmpstore_rtn_b32 v14, v14, v19, v15
	s_waitcnt lgkmcnt(0)
	v_cmpx_eq_u32_e64 s6, v14
	s_cbranch_execz .LBB239_68
; %bb.63:                               ;   in Loop: Header=BB239_58 Depth=2
	v_lshl_or_b32 v14, v20, 10, v18
	s_mov_b32 s13, 0
	s_delay_alu instid0(VALU_DEP_1)
	v_add_nc_u32_e32 v21, v43, v14
	ds_load_b64 v[14:15], v21
.LBB239_64:                             ;   Parent Loop BB239_55 Depth=1
                                        ;     Parent Loop BB239_58 Depth=2
                                        ; =>    This Inner Loop Header: Depth=3
	s_waitcnt lgkmcnt(0)
	v_add_f64 v[22:23], v[14:15], v[10:11]
	ds_cmpstore_rtn_b64 v[22:23], v21, v[22:23], v[14:15]
	s_waitcnt lgkmcnt(0)
	v_cmp_eq_u64_e64 s0, v[22:23], v[14:15]
	v_dual_mov_b32 v14, v22 :: v_dual_mov_b32 v15, v23
	s_delay_alu instid0(VALU_DEP_2) | instskip(NEXT) | instid1(SALU_CYCLE_1)
	s_or_b32 s13, s0, s13
	s_and_not1_b32 exec_lo, exec_lo, s13
	s_cbranch_execnz .LBB239_64
; %bb.65:                               ;   in Loop: Header=BB239_58 Depth=2
	s_or_b32 exec_lo, exec_lo, s13
	ds_load_b64 v[14:15], v21 offset:8
	s_mov_b32 s13, 0
.LBB239_66:                             ;   Parent Loop BB239_55 Depth=1
                                        ;     Parent Loop BB239_58 Depth=2
                                        ; =>    This Inner Loop Header: Depth=3
	s_waitcnt lgkmcnt(0)
	v_add_f64 v[22:23], v[14:15], v[12:13]
	ds_cmpstore_rtn_b64 v[22:23], v21, v[22:23], v[14:15] offset:8
	s_waitcnt lgkmcnt(0)
	v_cmp_eq_u64_e64 s0, v[22:23], v[14:15]
	v_dual_mov_b32 v14, v22 :: v_dual_mov_b32 v15, v23
	s_delay_alu instid0(VALU_DEP_2) | instskip(NEXT) | instid1(SALU_CYCLE_1)
	s_or_b32 s13, s0, s13
	s_and_not1_b32 exec_lo, exec_lo, s13
	s_cbranch_execnz .LBB239_66
; %bb.67:                               ;   in Loop: Header=BB239_58 Depth=2
	s_or_b32 exec_lo, exec_lo, s13
	s_delay_alu instid0(SALU_CYCLE_1)
	s_xor_b32 s13, exec_lo, -1
.LBB239_68:                             ;   in Loop: Header=BB239_58 Depth=2
	s_or_b32 exec_lo, exec_lo, s12
	s_delay_alu instid0(SALU_CYCLE_1) | instskip(SKIP_1) | instid1(SALU_CYCLE_1)
	s_and_not1_b32 s0, s10, exec_lo
	s_and_b32 s10, s13, exec_lo
	s_or_b32 s10, s0, s10
.LBB239_69:                             ;   in Loop: Header=BB239_58 Depth=2
	s_or_b32 exec_lo, exec_lo, s11
	s_delay_alu instid0(SALU_CYCLE_1)
	s_and_b32 s10, s10, exec_lo
.LBB239_70:                             ;   in Loop: Header=BB239_58 Depth=2
	s_and_not1_saveexec_b32 s9, s9
	s_cbranch_execz .LBB239_57
; %bb.71:                               ;   in Loop: Header=BB239_58 Depth=2
	v_lshl_or_b32 v14, v20, 10, v18
	s_mov_b32 s11, 0
	s_delay_alu instid0(VALU_DEP_1)
	v_add_nc_u32_e32 v21, v43, v14
	ds_load_b64 v[14:15], v21
.LBB239_72:                             ;   Parent Loop BB239_55 Depth=1
                                        ;     Parent Loop BB239_58 Depth=2
                                        ; =>    This Inner Loop Header: Depth=3
	s_waitcnt lgkmcnt(0)
	v_add_f64 v[22:23], v[14:15], v[10:11]
	ds_cmpstore_rtn_b64 v[22:23], v21, v[22:23], v[14:15]
	s_waitcnt lgkmcnt(0)
	v_cmp_eq_u64_e64 s0, v[22:23], v[14:15]
	v_dual_mov_b32 v14, v22 :: v_dual_mov_b32 v15, v23
	s_delay_alu instid0(VALU_DEP_2) | instskip(NEXT) | instid1(SALU_CYCLE_1)
	s_or_b32 s11, s0, s11
	s_and_not1_b32 exec_lo, exec_lo, s11
	s_cbranch_execnz .LBB239_72
; %bb.73:                               ;   in Loop: Header=BB239_58 Depth=2
	s_or_b32 exec_lo, exec_lo, s11
	ds_load_b64 v[14:15], v21 offset:8
	s_mov_b32 s11, 0
.LBB239_74:                             ;   Parent Loop BB239_55 Depth=1
                                        ;     Parent Loop BB239_58 Depth=2
                                        ; =>    This Inner Loop Header: Depth=3
	s_waitcnt lgkmcnt(0)
	v_add_f64 v[22:23], v[14:15], v[12:13]
	ds_cmpstore_rtn_b64 v[22:23], v21, v[22:23], v[14:15] offset:8
	s_waitcnt lgkmcnt(0)
	v_cmp_eq_u64_e64 s0, v[22:23], v[14:15]
	v_dual_mov_b32 v14, v22 :: v_dual_mov_b32 v15, v23
	s_delay_alu instid0(VALU_DEP_2) | instskip(NEXT) | instid1(SALU_CYCLE_1)
	s_or_b32 s11, s0, s11
	s_and_not1_b32 exec_lo, exec_lo, s11
	s_cbranch_execnz .LBB239_74
; %bb.75:                               ;   in Loop: Header=BB239_58 Depth=2
	s_or_b32 exec_lo, exec_lo, s11
	s_delay_alu instid0(SALU_CYCLE_1)
	s_and_not1_b32 s10, s10, exec_lo
	s_branch .LBB239_57
.LBB239_76:
	s_or_b32 exec_lo, exec_lo, s1
.LBB239_77:
	v_add_co_u32 v0, vcc_lo, s22, v8
	v_add_co_ci_u32_e32 v1, vcc_lo, s23, v9, vcc_lo
	s_barrier
	buffer_gl0_inv
	global_load_b64 v[0:1], v[0:1], off
	v_mul_lo_u32 v2, v42, s7
	v_dual_mov_b32 v3, 0 :: v_dual_and_b32 v6, 56, v38
	v_max_i32_e32 v4, v41, v42
	v_lshlrev_b32_e32 v5, 3, v41
	s_cmp_eq_u32 s4, 0
	v_lshlrev_b32_e32 v7, 4, v41
	s_cselect_b32 s0, -1, 0
	v_lshlrev_b64 v[2:3], 4, v[2:3]
	v_cmp_gt_i32_e32 vcc_lo, s7, v4
	v_cndmask_b32_e64 v4, v5, v6, s0
	v_cndmask_b32_e64 v5, v42, v41, s0
	s_mov_b32 s1, 0
	s_delay_alu instid0(VALU_DEP_4) | instskip(NEXT) | instid1(VALU_DEP_1)
	v_add_co_u32 v2, s0, s42, v2
	v_add_co_ci_u32_e64 v3, s0, s43, v3, s0
	s_delay_alu instid0(VALU_DEP_3) | instskip(NEXT) | instid1(VALU_DEP_3)
	v_or_b32_e32 v6, v5, v4
	v_add_co_u32 v2, s0, v2, v7
	s_delay_alu instid0(VALU_DEP_1) | instskip(NEXT) | instid1(VALU_DEP_3)
	v_add_co_ci_u32_e64 v3, s0, 0, v3, s0
	v_lshl_add_u32 v6, v6, 4, v40
	s_waitcnt vmcnt(0)
	v_sub_co_u32 v4, s0, v0, s38
	s_delay_alu instid0(VALU_DEP_1)
	v_subrev_co_ci_u32_e64 v5, s0, 0, v1, s0
	s_branch .LBB239_79
.LBB239_78:                             ;   in Loop: Header=BB239_79 Depth=1
	s_or_b32 exec_lo, exec_lo, s3
	v_add_nc_u32_e32 v6, 0x400, v6
	s_add_i32 s1, s1, 4
	s_delay_alu instid0(SALU_CYCLE_1)
	s_cmp_lg_u32 s1, 32
	s_cbranch_scc0 .LBB239_82
.LBB239_79:                             ; =>This Inner Loop Header: Depth=1
	v_add_nc_u32_e32 v0, s1, v39
	s_mov_b32 s3, exec_lo
	ds_load_b32 v7, v0
	s_waitcnt lgkmcnt(0)
	v_cmpx_gt_i32_e64 s6, v7
	s_cbranch_execz .LBB239_78
; %bb.80:                               ;   in Loop: Header=BB239_79 Depth=1
	ds_load_b128 v[8:11], v39
	ds_load_b128 v[12:15], v39 offset:16
	s_waitcnt lgkmcnt(1)
	v_cmp_gt_i32_e64 s0, v7, v8
	s_delay_alu instid0(VALU_DEP_1) | instskip(SKIP_1) | instid1(VALU_DEP_1)
	v_cndmask_b32_e64 v0, 0, 1, s0
	v_cmp_gt_i32_e64 s0, v7, v9
	v_cndmask_b32_e64 v1, 0, 1, s0
	s_delay_alu instid0(VALU_DEP_3) | instskip(NEXT) | instid1(VALU_DEP_1)
	v_add_co_u32 v0, s0, v4, v0
	v_add_co_ci_u32_e64 v8, s0, 0, v5, s0
	v_cmp_gt_i32_e64 s0, v7, v10
	v_add_nc_u32_e32 v10, s38, v7
	s_delay_alu instid0(VALU_DEP_2) | instskip(SKIP_1) | instid1(VALU_DEP_1)
	v_cndmask_b32_e64 v9, 0, 1, s0
	v_add_co_u32 v0, s0, v0, v1
	v_add_co_ci_u32_e64 v1, s0, 0, v8, s0
	v_cmp_gt_i32_e64 s0, v7, v11
	s_delay_alu instid0(VALU_DEP_1) | instskip(NEXT) | instid1(VALU_DEP_4)
	v_cndmask_b32_e64 v8, 0, 1, s0
	v_add_co_u32 v0, s0, v0, v9
	s_delay_alu instid0(VALU_DEP_1) | instskip(SKIP_2) | instid1(VALU_DEP_1)
	v_add_co_ci_u32_e64 v1, s0, 0, v1, s0
	s_waitcnt lgkmcnt(0)
	v_cmp_gt_i32_e64 s0, v7, v12
	v_cndmask_b32_e64 v9, 0, 1, s0
	v_add_co_u32 v0, s0, v0, v8
	s_delay_alu instid0(VALU_DEP_1) | instskip(SKIP_1) | instid1(VALU_DEP_1)
	v_add_co_ci_u32_e64 v1, s0, 0, v1, s0
	v_cmp_gt_i32_e64 s0, v7, v13
	v_cndmask_b32_e64 v8, 0, 1, s0
	s_delay_alu instid0(VALU_DEP_4) | instskip(NEXT) | instid1(VALU_DEP_1)
	v_add_co_u32 v0, s0, v0, v9
	v_add_co_ci_u32_e64 v1, s0, 0, v1, s0
	v_cmp_gt_i32_e64 s0, v7, v14
	s_delay_alu instid0(VALU_DEP_1) | instskip(NEXT) | instid1(VALU_DEP_4)
	v_cndmask_b32_e64 v9, 0, 1, s0
	v_add_co_u32 v0, s0, v0, v8
	s_delay_alu instid0(VALU_DEP_1) | instskip(SKIP_1) | instid1(VALU_DEP_1)
	v_add_co_ci_u32_e64 v1, s0, 0, v1, s0
	v_cmp_gt_i32_e64 s0, v7, v15
	v_cndmask_b32_e64 v8, 0, 1, s0
	s_delay_alu instid0(VALU_DEP_4) | instskip(NEXT) | instid1(VALU_DEP_1)
	v_add_co_u32 v0, s0, v0, v9
	v_add_co_ci_u32_e64 v1, s0, 0, v1, s0
	s_delay_alu instid0(VALU_DEP_2) | instskip(NEXT) | instid1(VALU_DEP_1)
	v_add_co_u32 v0, s0, v0, v8
	v_add_co_ci_u32_e64 v1, s0, 0, v1, s0
	s_delay_alu instid0(VALU_DEP_1) | instskip(NEXT) | instid1(VALU_DEP_1)
	v_lshlrev_b64 v[8:9], 2, v[0:1]
	v_add_co_u32 v7, s0, s40, v8
	s_delay_alu instid0(VALU_DEP_1)
	v_add_co_ci_u32_e64 v8, s0, s41, v9, s0
	global_store_b32 v[7:8], v10, off
	s_and_b32 exec_lo, exec_lo, vcc_lo
	s_cbranch_execz .LBB239_78
; %bb.81:                               ;   in Loop: Header=BB239_79 Depth=1
	v_mad_u64_u32 v[11:12], null, v0, s2, 0
	ds_load_2addr_b64 v[7:10], v6 offset1:1
	v_mov_b32_e32 v0, v12
	s_delay_alu instid0(VALU_DEP_1) | instskip(NEXT) | instid1(VALU_DEP_1)
	v_mad_u64_u32 v[12:13], null, v1, s2, v[0:1]
	v_lshlrev_b64 v[0:1], 4, v[11:12]
	s_delay_alu instid0(VALU_DEP_1) | instskip(NEXT) | instid1(VALU_DEP_1)
	v_add_co_u32 v0, s0, v2, v0
	v_add_co_ci_u32_e64 v1, s0, v3, v1, s0
	s_waitcnt lgkmcnt(0)
	global_store_b128 v[0:1], v[7:10], off
	s_branch .LBB239_78
.LBB239_82:
	s_nop 0
	s_sendmsg sendmsg(MSG_DEALLOC_VGPRS)
	s_endpgm
	.section	.rodata,"a",@progbits
	.p2align	6, 0x0
	.amdhsa_kernel _ZN9rocsparseL23bsrgemm_fill_wf_per_rowILj256ELj64ELj8ELj137ELj8Eli21rocsparse_complex_numIdEEEv20rocsparse_direction_T5_S4_S4_PKS4_S6_NS_24const_host_device_scalarIT6_EEPKT4_S6_PKS8_SC_S6_SE_S9_SC_S6_SE_SC_PS4_PS8_21rocsparse_index_base_SH_SH_SH_bbb
		.amdhsa_group_segment_fixed_size 36992
		.amdhsa_private_segment_fixed_size 0
		.amdhsa_kernarg_size 180
		.amdhsa_user_sgpr_count 15
		.amdhsa_user_sgpr_dispatch_ptr 1
		.amdhsa_user_sgpr_queue_ptr 0
		.amdhsa_user_sgpr_kernarg_segment_ptr 1
		.amdhsa_user_sgpr_dispatch_id 0
		.amdhsa_user_sgpr_private_segment_size 0
		.amdhsa_wavefront_size32 1
		.amdhsa_uses_dynamic_stack 0
		.amdhsa_enable_private_segment 0
		.amdhsa_system_sgpr_workgroup_id_x 1
		.amdhsa_system_sgpr_workgroup_id_y 0
		.amdhsa_system_sgpr_workgroup_id_z 0
		.amdhsa_system_sgpr_workgroup_info 0
		.amdhsa_system_vgpr_workitem_id 2
		.amdhsa_next_free_vgpr 56
		.amdhsa_next_free_sgpr 48
		.amdhsa_reserve_vcc 1
		.amdhsa_float_round_mode_32 0
		.amdhsa_float_round_mode_16_64 0
		.amdhsa_float_denorm_mode_32 3
		.amdhsa_float_denorm_mode_16_64 3
		.amdhsa_dx10_clamp 1
		.amdhsa_ieee_mode 1
		.amdhsa_fp16_overflow 0
		.amdhsa_workgroup_processor_mode 1
		.amdhsa_memory_ordered 1
		.amdhsa_forward_progress 0
		.amdhsa_shared_vgpr_count 0
		.amdhsa_exception_fp_ieee_invalid_op 0
		.amdhsa_exception_fp_denorm_src 0
		.amdhsa_exception_fp_ieee_div_zero 0
		.amdhsa_exception_fp_ieee_overflow 0
		.amdhsa_exception_fp_ieee_underflow 0
		.amdhsa_exception_fp_ieee_inexact 0
		.amdhsa_exception_int_div_zero 0
	.end_amdhsa_kernel
	.section	.text._ZN9rocsparseL23bsrgemm_fill_wf_per_rowILj256ELj64ELj8ELj137ELj8Eli21rocsparse_complex_numIdEEEv20rocsparse_direction_T5_S4_S4_PKS4_S6_NS_24const_host_device_scalarIT6_EEPKT4_S6_PKS8_SC_S6_SE_S9_SC_S6_SE_SC_PS4_PS8_21rocsparse_index_base_SH_SH_SH_bbb,"axG",@progbits,_ZN9rocsparseL23bsrgemm_fill_wf_per_rowILj256ELj64ELj8ELj137ELj8Eli21rocsparse_complex_numIdEEEv20rocsparse_direction_T5_S4_S4_PKS4_S6_NS_24const_host_device_scalarIT6_EEPKT4_S6_PKS8_SC_S6_SE_S9_SC_S6_SE_SC_PS4_PS8_21rocsparse_index_base_SH_SH_SH_bbb,comdat
.Lfunc_end239:
	.size	_ZN9rocsparseL23bsrgemm_fill_wf_per_rowILj256ELj64ELj8ELj137ELj8Eli21rocsparse_complex_numIdEEEv20rocsparse_direction_T5_S4_S4_PKS4_S6_NS_24const_host_device_scalarIT6_EEPKT4_S6_PKS8_SC_S6_SE_S9_SC_S6_SE_SC_PS4_PS8_21rocsparse_index_base_SH_SH_SH_bbb, .Lfunc_end239-_ZN9rocsparseL23bsrgemm_fill_wf_per_rowILj256ELj64ELj8ELj137ELj8Eli21rocsparse_complex_numIdEEEv20rocsparse_direction_T5_S4_S4_PKS4_S6_NS_24const_host_device_scalarIT6_EEPKT4_S6_PKS8_SC_S6_SE_S9_SC_S6_SE_SC_PS4_PS8_21rocsparse_index_base_SH_SH_SH_bbb
                                        ; -- End function
	.section	.AMDGPU.csdata,"",@progbits
; Kernel info:
; codeLenInByte = 4132
; NumSgprs: 50
; NumVgprs: 56
; ScratchSize: 0
; MemoryBound: 0
; FloatMode: 240
; IeeeMode: 1
; LDSByteSize: 36992 bytes/workgroup (compile time only)
; SGPRBlocks: 6
; VGPRBlocks: 6
; NumSGPRsForWavesPerEU: 50
; NumVGPRsForWavesPerEU: 56
; Occupancy: 6
; WaveLimiterHint : 1
; COMPUTE_PGM_RSRC2:SCRATCH_EN: 0
; COMPUTE_PGM_RSRC2:USER_SGPR: 15
; COMPUTE_PGM_RSRC2:TRAP_HANDLER: 0
; COMPUTE_PGM_RSRC2:TGID_X_EN: 1
; COMPUTE_PGM_RSRC2:TGID_Y_EN: 0
; COMPUTE_PGM_RSRC2:TGID_Z_EN: 0
; COMPUTE_PGM_RSRC2:TIDIG_COMP_CNT: 2
	.section	.text._ZN9rocsparseL38bsrgemm_block_per_row_atomic_multipassILj256ELj16ELj8Eli21rocsparse_complex_numIdEEEv20rocsparse_direction_T3_S4_PKS4_S6_NS_24const_host_device_scalarIT4_EEPKT2_S6_PKS8_SC_S6_SE_S9_SC_S6_SE_SC_PS4_PS8_PSA_21rocsparse_index_base_SI_SI_SI_bbb,"axG",@progbits,_ZN9rocsparseL38bsrgemm_block_per_row_atomic_multipassILj256ELj16ELj8Eli21rocsparse_complex_numIdEEEv20rocsparse_direction_T3_S4_PKS4_S6_NS_24const_host_device_scalarIT4_EEPKT2_S6_PKS8_SC_S6_SE_S9_SC_S6_SE_SC_PS4_PS8_PSA_21rocsparse_index_base_SI_SI_SI_bbb,comdat
	.globl	_ZN9rocsparseL38bsrgemm_block_per_row_atomic_multipassILj256ELj16ELj8Eli21rocsparse_complex_numIdEEEv20rocsparse_direction_T3_S4_PKS4_S6_NS_24const_host_device_scalarIT4_EEPKT2_S6_PKS8_SC_S6_SE_S9_SC_S6_SE_SC_PS4_PS8_PSA_21rocsparse_index_base_SI_SI_SI_bbb ; -- Begin function _ZN9rocsparseL38bsrgemm_block_per_row_atomic_multipassILj256ELj16ELj8Eli21rocsparse_complex_numIdEEEv20rocsparse_direction_T3_S4_PKS4_S6_NS_24const_host_device_scalarIT4_EEPKT2_S6_PKS8_SC_S6_SE_S9_SC_S6_SE_SC_PS4_PS8_PSA_21rocsparse_index_base_SI_SI_SI_bbb
	.p2align	8
	.type	_ZN9rocsparseL38bsrgemm_block_per_row_atomic_multipassILj256ELj16ELj8Eli21rocsparse_complex_numIdEEEv20rocsparse_direction_T3_S4_PKS4_S6_NS_24const_host_device_scalarIT4_EEPKT2_S6_PKS8_SC_S6_SE_S9_SC_S6_SE_SC_PS4_PS8_PSA_21rocsparse_index_base_SI_SI_SI_bbb,@function
_ZN9rocsparseL38bsrgemm_block_per_row_atomic_multipassILj256ELj16ELj8Eli21rocsparse_complex_numIdEEEv20rocsparse_direction_T3_S4_PKS4_S6_NS_24const_host_device_scalarIT4_EEPKT2_S6_PKS8_SC_S6_SE_S9_SC_S6_SE_SC_PS4_PS8_PSA_21rocsparse_index_base_SI_SI_SI_bbb: ; @_ZN9rocsparseL38bsrgemm_block_per_row_atomic_multipassILj256ELj16ELj8Eli21rocsparse_complex_numIdEEEv20rocsparse_direction_T3_S4_PKS4_S6_NS_24const_host_device_scalarIT4_EEPKT2_S6_PKS8_SC_S6_SE_S9_SC_S6_SE_SC_PS4_PS8_PSA_21rocsparse_index_base_SI_SI_SI_bbb
; %bb.0:
	s_clause 0x3
	s_load_b32 s12, s[0:1], 0xb8
	s_load_b128 s[8:11], s[0:1], 0x20
	s_load_b128 s[4:7], s[0:1], 0x60
	;; [unrolled: 1-line block ×3, first 2 shown]
	v_mov_b32_e32 v11, 0
	v_mov_b32_e32 v12, 0
	s_mov_b32 s50, s15
	s_waitcnt lgkmcnt(0)
	s_bitcmp1_b32 s12, 0
	v_mov_b32_e32 v1, s8
	s_cselect_b32 s52, -1, 0
	s_bitcmp1_b32 s12, 16
	v_dual_mov_b32 v9, v11 :: v_dual_mov_b32 v10, v12
	s_cselect_b32 s2, -1, 0
	v_mov_b32_e32 v2, s9
	s_xor_b32 s3, s2, -1
	v_dual_mov_b32 v14, v12 :: v_dual_mov_b32 v13, v11
	v_cndmask_b32_e64 v5, 0, 1, s3
	v_dual_mov_b32 v3, s4 :: v_dual_mov_b32 v4, s5
	s_bitcmp0_b32 s12, 0
	s_clause 0x1
	scratch_store_b64 off, v[1:2], off
	scratch_store_b64 off, v[3:4], off offset:8
	v_cmp_ne_u32_e32 vcc_lo, 1, v5
	s_cbranch_scc1 .LBB240_3
; %bb.1:
	s_mov_b64 s[14:15], src_private_base
	s_and_b32 s13, s2, exec_lo
	s_cselect_b32 s13, s15, s9
	s_delay_alu instid0(SALU_CYCLE_1) | instskip(SKIP_2) | instid1(VALU_DEP_2)
	v_dual_mov_b32 v1, 0 :: v_dual_mov_b32 v2, s13
	v_dual_mov_b32 v14, s11 :: v_dual_mov_b32 v13, s10
	s_and_b32 vcc_lo, exec_lo, vcc_lo
	v_cndmask_b32_e64 v1, s8, v1, s2
	flat_load_b64 v[9:10], v[1:2]
	s_cbranch_vccnz .LBB240_3
; %bb.2:
	v_dual_mov_b32 v1, s8 :: v_dual_mov_b32 v2, s9
	flat_load_b64 v[13:14], v[1:2] offset:8
.LBB240_3:
	s_load_b64 s[8:9], s[0:1], 0x18
	s_bitcmp1_b32 s12, 8
	v_dual_mov_b32 v16, v12 :: v_dual_mov_b32 v15, v11
	s_cselect_b32 s33, -1, 0
	s_bfe_u32 s10, s12, 0x10008
	s_delay_alu instid0(SALU_CYCLE_1)
	s_cmp_eq_u32 s10, 0
	s_cbranch_scc1 .LBB240_6
; %bb.4:
	s_mov_b64 s[10:11], src_private_base
	s_and_b32 s10, s2, exec_lo
	s_cselect_b32 s10, s11, s5
	s_delay_alu instid0(SALU_CYCLE_1) | instskip(SKIP_2) | instid1(VALU_DEP_2)
	v_dual_mov_b32 v1, 8 :: v_dual_mov_b32 v2, s10
	v_dual_mov_b32 v12, s7 :: v_dual_mov_b32 v11, s6
	s_and_not1_b32 vcc_lo, exec_lo, s3
	v_cndmask_b32_e64 v1, s4, v1, s2
	flat_load_b64 v[15:16], v[1:2]
	s_cbranch_vccnz .LBB240_6
; %bb.5:
	v_dual_mov_b32 v1, s4 :: v_dual_mov_b32 v2, s5
	flat_load_b64 v[11:12], v[1:2] offset:8
.LBB240_6:
	s_load_b64 s[2:3], s[0:1], 0x30
	s_waitcnt lgkmcnt(0)
	s_cmp_eq_u64 s[8:9], 0
	s_cbranch_scc1 .LBB240_8
; %bb.7:
	s_load_b64 s[4:5], s[0:1], 0x10
	s_waitcnt lgkmcnt(0)
	s_load_b32 s4, s[4:5], 0x0
	s_mov_b32 s5, 0
	s_waitcnt lgkmcnt(0)
	s_add_i32 s4, s4, s50
	s_delay_alu instid0(SALU_CYCLE_1) | instskip(NEXT) | instid1(SALU_CYCLE_1)
	s_lshl_b64 s[4:5], s[4:5], 2
	s_add_u32 s4, s8, s4
	s_addc_u32 s5, s9, s5
	s_load_b32 s50, s[4:5], 0x0
.LBB240_8:
	s_mov_b64 s[34:35], 0
	s_and_not1_b32 vcc_lo, exec_lo, s52
	s_mov_b64 s[44:45], 0
	s_cbranch_vccz .LBB240_11
; %bb.9:
	s_and_not1_b32 vcc_lo, exec_lo, s52
	s_cbranch_vccz .LBB240_12
.LBB240_10:
	s_load_b128 s[36:39], s[0:1], 0x0
	s_waitcnt lgkmcnt(0)
	s_cmp_lt_i32 s37, 1
	s_cbranch_scc0 .LBB240_13
	s_branch .LBB240_98
.LBB240_11:
	s_waitcnt lgkmcnt(0)
	s_ashr_i32 s51, s50, 31
	s_delay_alu instid0(SALU_CYCLE_1) | instskip(NEXT) | instid1(SALU_CYCLE_1)
	s_lshl_b64 s[4:5], s[50:51], 3
	s_add_u32 s4, s2, s4
	s_addc_u32 s5, s3, s5
	s_load_b64 s[4:5], s[4:5], 0x0
	s_waitcnt lgkmcnt(0)
	s_sub_u32 s44, s4, s28
	s_subb_u32 s45, s5, 0
	s_and_not1_b32 vcc_lo, exec_lo, s52
	s_cbranch_vccnz .LBB240_10
.LBB240_12:
	s_waitcnt lgkmcnt(0)
	s_ashr_i32 s51, s50, 31
	s_delay_alu instid0(SALU_CYCLE_1) | instskip(NEXT) | instid1(SALU_CYCLE_1)
	s_lshl_b64 s[4:5], s[50:51], 3
	s_add_u32 s2, s2, s4
	s_addc_u32 s3, s3, s5
	s_load_b64 s[2:3], s[2:3], 0x8
	s_waitcnt lgkmcnt(0)
	s_sub_u32 s34, s2, s28
	s_subb_u32 s35, s3, 0
	s_load_b128 s[36:39], s[0:1], 0x0
	s_waitcnt lgkmcnt(0)
	s_cmp_lt_i32 s37, 1
	s_cbranch_scc1 .LBB240_98
.LBB240_13:
	s_clause 0x4
	s_load_b256 s[12:19], s[0:1], 0x70
	s_load_b64 s[46:47], s[0:1], 0xa0
	s_load_b128 s[40:43], s[0:1], 0x90
	s_load_b64 s[10:11], s[0:1], 0x58
	s_load_b256 s[20:27], s[0:1], 0x38
	s_ashr_i32 s51, s50, 31
	v_bfe_u32 v7, v0, 3, 3
	s_lshl_b64 s[6:7], s[50:51], 3
	v_dual_mov_b32 v1, 0 :: v_dual_and_b32 v6, 63, v0
	v_and_b32_e32 v40, 7, v0
	s_delay_alu instid0(VALU_DEP_3) | instskip(SKIP_4) | instid1(VALU_DEP_4)
	v_mul_lo_u32 v2, v7, s38
	v_and_b32_e32 v23, 15, v0
	v_lshrrev_b32_e32 v39, 6, v0
	v_mov_b32_e32 v3, v1
	v_mul_lo_u32 v4, v40, s38
	v_dual_mov_b32 v5, v1 :: v_dual_lshlrev_b32 v24, 2, v23
	v_max_i32_e32 v8, v40, v7
	s_delay_alu instid0(VALU_DEP_4)
	v_lshlrev_b64 v[2:3], 4, v[2:3]
	s_waitcnt lgkmcnt(0)
	s_add_u32 s2, s18, s6
	s_addc_u32 s3, s19, s7
	v_lshlrev_b32_e32 v19, 4, v40
	s_load_b64 s[4:5], s[2:3], 0x0
	v_lshlrev_b64 v[4:5], 4, v[4:5]
	v_cmp_gt_i32_e64 s2, s38, v8
	v_cmp_le_i32_e64 s3, s38, v8
	v_add_co_u32 v8, vcc_lo, s22, v2
	v_add_co_ci_u32_e32 v17, vcc_lo, s23, v3, vcc_lo
	v_add_co_u32 v18, vcc_lo, s42, v4
	v_add_co_ci_u32_e32 v20, vcc_lo, s43, v5, vcc_lo
	;; [unrolled: 2-line block ×3, first 2 shown]
	v_cmp_lt_i64_e64 s8, s[44:45], s[34:35]
	s_mov_b32 s49, 0
	v_cmp_gt_u32_e64 s0, 16, v0
	v_cmp_eq_u32_e64 s1, 0, v0
	s_waitcnt lgkmcnt(0)
	s_sub_u32 s18, s4, s30
	s_subb_u32 s19, s5, 0
	v_lshlrev_b32_e32 v7, 4, v7
	v_add_co_u32 v43, s4, v8, v19
	s_delay_alu instid0(VALU_DEP_1) | instskip(NEXT) | instid1(VALU_DEP_3)
	v_add_co_ci_u32_e64 v44, s4, 0, v17, s4
	v_add_co_u32 v18, vcc_lo, v18, v7
	v_add_co_ci_u32_e32 v20, vcc_lo, 0, v20, vcc_lo
	v_add_co_u32 v21, vcc_lo, v21, v19
	v_add_co_ci_u32_e32 v22, vcc_lo, 0, v22, vcc_lo
	v_add_co_u32 v8, s4, s16, v4
	s_cmp_eq_u32 s36, 0
	v_add_co_ci_u32_e64 v17, s4, s17, v5, s4
	s_cselect_b32 vcc_lo, -1, 0
	v_sub_co_u32 v46, s4, v39, s31
	v_dual_cndmask_b32 v54, v20, v22 :: v_dual_lshlrev_b32 v41, 4, v0
	v_sub_co_ci_u32_e64 v47, null, 0, 0, s4
	v_dual_cndmask_b32 v55, v18, v21 :: v_dual_add_nc_u32 v52, 0x4ff0, v24
	v_mov_b32_e32 v22, s19
	v_add_co_u32 v8, s4, v8, v7
	s_delay_alu instid0(VALU_DEP_1) | instskip(SKIP_1) | instid1(VALU_DEP_1)
	v_add_co_ci_u32_e64 v17, s4, 0, v17, s4
	v_add_co_u32 v2, s4, s16, v2
	v_add_co_ci_u32_e64 v3, s4, s17, v3, s4
	s_cmp_lg_u32 s36, 0
	s_delay_alu instid0(VALU_DEP_2) | instskip(NEXT) | instid1(VALU_DEP_1)
	v_add_co_u32 v2, s4, v2, v19
	v_add_co_ci_u32_e64 v3, s4, 0, v3, s4
	s_cselect_b32 s36, -1, 0
	s_delay_alu instid0(VALU_DEP_2) | instskip(NEXT) | instid1(VALU_DEP_2)
	v_dual_cndmask_b32 v57, v8, v2 :: v_dual_lshlrev_b32 v2, 10, v39
	v_cndmask_b32_e32 v56, v17, v3, vcc_lo
	v_add_co_u32 v3, vcc_lo, v4, s10
	v_add_co_ci_u32_e32 v4, vcc_lo, s11, v5, vcc_lo
	s_delay_alu instid0(VALU_DEP_4) | instskip(NEXT) | instid1(VALU_DEP_3)
	v_or3_b32 v58, v2, v7, 0x4000
	v_add_co_u32 v17, vcc_lo, v3, 8
	v_add_co_u32 v2, s9, v19, s10
	s_delay_alu instid0(VALU_DEP_4)
	v_add_co_ci_u32_e32 v18, vcc_lo, 0, v4, vcc_lo
	v_add_co_ci_u32_e64 v3, null, 0, s11, s9
	v_mov_b32_e32 v4, v1
	v_add_co_u32 v25, s51, v23, -1
	s_cmp_gt_i32 s38, 0
	s_movk_i32 s9, 0xf80
	s_cselect_b32 s43, -1, 0
	s_add_u32 s12, s12, s6
	v_add_co_u32 v19, vcc_lo, v2, 8
	s_addc_u32 s13, s13, s7
	s_and_b32 s52, s52, s8
	v_or_b32_e32 v42, 0x4000, v41
	v_dual_mov_b32 v2, v1 :: v_dual_and_b32 v45, 56, v0
	v_cmp_eq_u32_e64 s4, 63, v6
	v_or_b32_e32 v48, 0x5000, v24
	v_lshl_add_u32 v49, v25, 2, 0x5000
	v_lshl_or_b32 v50, v0, 2, 0x5000
	v_cmp_ne_u32_e64 s5, 0, v23
	v_cmp_lt_u32_e64 s6, 1, v23
	v_dual_mov_b32 v62, v1 :: v_dual_add_nc_u32 v51, 0x4ff8, v24
	v_cmp_lt_u32_e64 s7, 3, v23
	v_cmp_lt_u32_e64 s8, 7, v23
	v_add_nc_u32_e32 v53, 0x4fe0, v24
	s_add_u32 s53, s24, 8
	v_or_b32_e32 v0, 0xffffff00, v0
	v_add_co_ci_u32_e32 v20, vcc_lo, 0, v3, vcc_lo
	v_and_or_b32 v59, v41, s9, 0x4000
	v_lshl_or_b32 v60, v39, 2, 0x5000
	v_mov_b32_e32 v63, 16
	v_mov_b32_e32 v21, s18
	;; [unrolled: 1-line block ×4, first 2 shown]
	s_mul_i32 s48, s38, s38
	s_addc_u32 s54, s25, 0
	s_mov_b32 s39, s49
	s_add_u32 s40, s40, -4
	s_mov_b32 s42, s29
	s_mov_b32 s50, s31
	s_addc_u32 s41, s41, -1
	s_lshl_b64 s[16:17], s[48:49], 4
	s_lshl_b64 s[18:19], s[38:39], 4
	s_branch .LBB240_15
.LBB240_14:                             ;   in Loop: Header=BB240_15 Depth=1
	s_set_inst_prefetch_distance 0x2
	s_or_b32 exec_lo, exec_lo, s9
	s_waitcnt_vscnt null, 0x0
	s_barrier
	buffer_gl0_inv
	ds_load_b32 v62, v1 offset:20544
	v_ashrrev_i32_e32 v6, 31, v5
	v_add_co_u32 v21, s9, v21, v5
	s_waitcnt lgkmcnt(0)
	s_barrier
	s_delay_alu instid0(VALU_DEP_2)
	v_add_co_ci_u32_e64 v22, s9, v22, v6, s9
	buffer_gl0_inv
	v_cmp_le_i32_e32 vcc_lo, s37, v62
	v_add_nc_u32_e32 v63, 16, v62
	s_cbranch_vccnz .LBB240_98
.LBB240_15:                             ; =>This Loop Header: Depth=1
                                        ;     Child Loop BB240_18 Depth 2
                                        ;     Child Loop BB240_24 Depth 2
                                        ;       Child Loop BB240_37 Depth 3
                                        ;         Child Loop BB240_46 Depth 4
                                        ;         Child Loop BB240_51 Depth 4
	;; [unrolled: 1-line block ×4, first 2 shown]
                                        ;     Child Loop BB240_66 Depth 2
                                        ;       Child Loop BB240_71 Depth 3
                                        ;       Child Loop BB240_73 Depth 3
                                        ;     Child Loop BB240_78 Depth 2
                                        ;     Child Loop BB240_95 Depth 2
	s_and_saveexec_b32 s9, s0
	s_cbranch_execz .LBB240_17
; %bb.16:                               ;   in Loop: Header=BB240_15 Depth=1
	ds_store_b32 v50, v1
.LBB240_17:                             ;   in Loop: Header=BB240_15 Depth=1
	s_or_b32 exec_lo, exec_lo, s9
	v_dual_mov_b32 v5, v41 :: v_dual_mov_b32 v6, v0
	s_mov_b32 s9, 0
.LBB240_18:                             ;   Parent Loop BB240_15 Depth=1
                                        ; =>  This Inner Loop Header: Depth=2
	s_delay_alu instid0(VALU_DEP_1) | instskip(SKIP_4) | instid1(SALU_CYCLE_1)
	v_add_nc_u32_e32 v6, 0x100, v6
	ds_store_b128 v5, v[1:4]
	v_add_nc_u32_e32 v5, 0x1000, v5
	v_cmp_lt_u32_e32 vcc_lo, 0x2ff, v6
	s_or_b32 s9, vcc_lo, s9
	s_and_not1_b32 exec_lo, exec_lo, s9
	s_cbranch_execnz .LBB240_18
; %bb.19:                               ;   in Loop: Header=BB240_15 Depth=1
	s_or_b32 exec_lo, exec_lo, s9
	s_and_saveexec_b32 s9, s1
	s_cbranch_execz .LBB240_21
; %bb.20:                               ;   in Loop: Header=BB240_15 Depth=1
	v_mov_b32_e32 v5, s37
	ds_store_b32 v1, v5 offset:20544
.LBB240_21:                             ;   in Loop: Header=BB240_15 Depth=1
	s_or_b32 exec_lo, exec_lo, s9
	v_mov_b32_e32 v64, s37
	s_and_not1_b32 vcc_lo, exec_lo, s52
	s_waitcnt vmcnt(0) lgkmcnt(0)
	s_waitcnt_vscnt null, 0x0
	s_barrier
	buffer_gl0_inv
	s_cbranch_vccnz .LBB240_61
; %bb.22:                               ;   in Loop: Header=BB240_15 Depth=1
	v_cmp_ne_u32_e64 s9, 0, v62
	v_mov_b32_e32 v64, s37
	s_mov_b64 s[22:23], s[44:45]
	s_branch .LBB240_24
.LBB240_23:                             ;   in Loop: Header=BB240_24 Depth=2
	s_or_b32 exec_lo, exec_lo, s11
	s_add_u32 s22, s22, 4
	s_addc_u32 s23, s23, 0
	s_delay_alu instid0(SALU_CYCLE_1) | instskip(NEXT) | instid1(VALU_DEP_1)
	v_cmp_lt_i64_e64 s10, s[22:23], s[34:35]
	s_and_b32 vcc_lo, exec_lo, s10
	s_cbranch_vccz .LBB240_61
.LBB240_24:                             ;   Parent Loop BB240_15 Depth=1
                                        ; =>  This Loop Header: Depth=2
                                        ;       Child Loop BB240_37 Depth 3
                                        ;         Child Loop BB240_46 Depth 4
                                        ;         Child Loop BB240_51 Depth 4
	;; [unrolled: 1-line block ×4, first 2 shown]
	v_add_co_u32 v5, s10, s22, v39
	s_delay_alu instid0(VALU_DEP_1) | instskip(NEXT) | instid1(VALU_DEP_1)
	v_add_co_ci_u32_e64 v6, null, s23, 0, s10
	s_waitcnt_vscnt null, 0x0
	s_barrier
	buffer_gl0_inv
	v_cmp_gt_i64_e64 s10, s[34:35], v[5:6]
	s_delay_alu instid0(VALU_DEP_1)
	s_and_saveexec_b32 s11, s10
	s_cbranch_execz .LBB240_29
; %bb.25:                               ;   in Loop: Header=BB240_24 Depth=2
	s_and_saveexec_b32 s39, s3
	s_delay_alu instid0(SALU_CYCLE_1)
	s_xor_b32 s39, exec_lo, s39
	s_cbranch_execz .LBB240_27
; %bb.26:                               ;   in Loop: Header=BB240_24 Depth=2
	ds_store_b128 v42, v[1:4]
.LBB240_27:                             ;   in Loop: Header=BB240_24 Depth=2
	s_and_not1_saveexec_b32 s39, s39
	s_cbranch_execz .LBB240_29
; %bb.28:                               ;   in Loop: Header=BB240_24 Depth=2
	v_mad_u64_u32 v[7:8], null, v5, s48, 0
	s_delay_alu instid0(VALU_DEP_1) | instskip(NEXT) | instid1(VALU_DEP_1)
	v_mad_u64_u32 v[23:24], null, v6, s48, v[8:9]
	v_mov_b32_e32 v8, v23
	s_delay_alu instid0(VALU_DEP_1) | instskip(NEXT) | instid1(VALU_DEP_1)
	v_lshlrev_b64 v[7:8], 4, v[7:8]
	v_add_co_u32 v7, vcc_lo, v43, v7
	s_delay_alu instid0(VALU_DEP_2)
	v_add_co_ci_u32_e32 v8, vcc_lo, v44, v8, vcc_lo
	global_load_b128 v[23:26], v[7:8], off
	s_waitcnt vmcnt(0)
	ds_store_2addr_b64 v42, v[23:24], v[25:26] offset1:1
.LBB240_29:                             ;   in Loop: Header=BB240_24 Depth=2
	s_or_b32 exec_lo, exec_lo, s11
	v_mov_b32_e32 v7, 0
	v_mov_b32_e32 v8, 0
	s_waitcnt lgkmcnt(0)
	s_barrier
	buffer_gl0_inv
	s_and_saveexec_b32 s39, s10
	s_cbranch_execz .LBB240_58
; %bb.30:                               ;   in Loop: Header=BB240_24 Depth=2
	v_lshlrev_b64 v[7:8], 2, v[5:6]
	s_delay_alu instid0(VALU_DEP_1) | instskip(NEXT) | instid1(VALU_DEP_2)
	v_add_co_u32 v7, vcc_lo, s20, v7
	v_add_co_ci_u32_e32 v8, vcc_lo, s21, v8, vcc_lo
	s_and_b32 vcc_lo, exec_lo, s9
	global_load_b32 v7, v[7:8], off
	s_waitcnt vmcnt(0)
	v_subrev_nc_u32_e32 v23, s28, v7
	s_delay_alu instid0(VALU_DEP_1)
	v_ashrrev_i32_e32 v24, 31, v23
	s_cbranch_vccz .LBB240_60
; %bb.31:                               ;   in Loop: Header=BB240_24 Depth=2
	v_lshlrev_b64 v[7:8], 3, v[5:6]
	s_delay_alu instid0(VALU_DEP_1) | instskip(NEXT) | instid1(VALU_DEP_2)
	v_add_co_u32 v7, vcc_lo, s46, v7
	v_add_co_ci_u32_e32 v8, vcc_lo, s47, v8, vcc_lo
	global_load_b64 v[7:8], v[7:8], off
	s_cbranch_execnz .LBB240_33
.LBB240_32:                             ;   in Loop: Header=BB240_24 Depth=2
	s_waitcnt vmcnt(0)
	s_delay_alu instid0(VALU_DEP_1) | instskip(NEXT) | instid1(VALU_DEP_1)
	v_lshlrev_b64 v[7:8], 3, v[23:24]
	v_add_co_u32 v7, vcc_lo, s24, v7
	s_delay_alu instid0(VALU_DEP_2)
	v_add_co_ci_u32_e32 v8, vcc_lo, s25, v8, vcc_lo
	global_load_b64 v[7:8], v[7:8], off
	s_waitcnt vmcnt(0)
	v_sub_co_u32 v7, vcc_lo, v7, s42
	v_subrev_co_ci_u32_e32 v8, vcc_lo, 0, v8, vcc_lo
.LBB240_33:                             ;   in Loop: Header=BB240_24 Depth=2
	v_lshlrev_b64 v[23:24], 3, v[23:24]
	s_mov_b32 s49, exec_lo
	s_delay_alu instid0(VALU_DEP_1) | instskip(NEXT) | instid1(VALU_DEP_2)
	v_add_co_u32 v23, vcc_lo, s53, v23
	v_add_co_ci_u32_e32 v24, vcc_lo, s54, v24, vcc_lo
	global_load_b64 v[23:24], v[23:24], off
	s_waitcnt vmcnt(0)
	v_sub_co_u32 v23, vcc_lo, v23, s42
	v_subrev_co_ci_u32_e32 v24, vcc_lo, 0, v24, vcc_lo
	s_delay_alu instid0(VALU_DEP_1)
	v_cmpx_lt_i64_e64 v[7:8], v[23:24]
	s_cbranch_execz .LBB240_57
; %bb.34:                               ;   in Loop: Header=BB240_24 Depth=2
	v_mad_u64_u32 v[25:26], null, s16, v7, v[17:18]
	v_mul_lo_u32 v29, s16, v8
	v_mul_lo_u32 v30, s17, v7
	v_mad_u64_u32 v[27:28], null, s16, v7, v[19:20]
	s_mov_b32 s55, 0
	s_delay_alu instid0(VALU_DEP_2) | instskip(NEXT) | instid1(VALU_DEP_2)
	v_add3_u32 v26, v30, v26, v29
	v_add3_u32 v28, v30, v28, v29
	v_dual_mov_b32 v30, v8 :: v_dual_mov_b32 v29, v7
	s_branch .LBB240_37
.LBB240_35:                             ;   in Loop: Header=BB240_37 Depth=3
	s_or_b32 exec_lo, exec_lo, s58
	s_delay_alu instid0(SALU_CYCLE_1)
	s_or_b32 s56, s56, exec_lo
.LBB240_36:                             ;   in Loop: Header=BB240_37 Depth=3
	s_or_b32 exec_lo, exec_lo, s57
	v_add_co_u32 v29, vcc_lo, v29, 1
	v_add_co_ci_u32_e32 v30, vcc_lo, 0, v30, vcc_lo
	v_add_co_u32 v25, s11, v25, s16
	s_xor_b32 s56, s56, -1
	s_delay_alu instid0(VALU_DEP_2)
	v_cmp_ge_i64_e32 vcc_lo, v[29:30], v[23:24]
	v_add_co_ci_u32_e64 v26, s11, s17, v26, s11
	s_or_b32 s11, s56, vcc_lo
	v_add_co_u32 v27, vcc_lo, v27, s16
	v_add_co_ci_u32_e32 v28, vcc_lo, s17, v28, vcc_lo
	s_and_b32 s11, exec_lo, s11
	s_delay_alu instid0(SALU_CYCLE_1) | instskip(NEXT) | instid1(SALU_CYCLE_1)
	s_or_b32 s55, s11, s55
	s_and_not1_b32 exec_lo, exec_lo, s55
	s_cbranch_execz .LBB240_56
.LBB240_37:                             ;   Parent Loop BB240_15 Depth=1
                                        ;     Parent Loop BB240_24 Depth=2
                                        ; =>    This Loop Header: Depth=3
                                        ;         Child Loop BB240_46 Depth 4
                                        ;         Child Loop BB240_51 Depth 4
                                        ;         Child Loop BB240_53 Depth 4
                                        ;         Child Loop BB240_55 Depth 4
	s_delay_alu instid0(VALU_DEP_1) | instskip(NEXT) | instid1(VALU_DEP_1)
	v_lshlrev_b64 v[31:32], 2, v[29:30]
                                        ; implicit-def: $sgpr56
	v_add_co_u32 v31, vcc_lo, s26, v31
	s_delay_alu instid0(VALU_DEP_2) | instskip(SKIP_3) | instid1(VALU_DEP_1)
	v_add_co_ci_u32_e32 v32, vcc_lo, s27, v32, vcc_lo
	global_load_b32 v31, v[31:32], off
	s_waitcnt vmcnt(0)
	v_subrev_nc_u32_e32 v31, s29, v31
	v_cmp_lt_i32_e64 s11, v31, v62
	v_cmp_ge_i32_e32 vcc_lo, v31, v63
	s_delay_alu instid0(VALU_DEP_2) | instskip(NEXT) | instid1(SALU_CYCLE_1)
	s_or_b32 s11, s11, vcc_lo
	s_and_saveexec_b32 s57, s11
	s_delay_alu instid0(SALU_CYCLE_1)
	s_xor_b32 s11, exec_lo, s57
	s_cbranch_execz .LBB240_41
; %bb.38:                               ;   in Loop: Header=BB240_37 Depth=3
	s_mov_b32 s56, -1
	s_and_saveexec_b32 s57, vcc_lo
; %bb.39:                               ;   in Loop: Header=BB240_37 Depth=3
	v_min_i32_e32 v64, v31, v64
	v_dual_mov_b32 v7, v29 :: v_dual_mov_b32 v8, v30
	s_xor_b32 s56, exec_lo, -1
; %bb.40:                               ;   in Loop: Header=BB240_37 Depth=3
	s_or_b32 exec_lo, exec_lo, s57
	s_delay_alu instid0(SALU_CYCLE_1)
	s_and_b32 s56, s56, exec_lo
                                        ; implicit-def: $vgpr31
.LBB240_41:                             ;   in Loop: Header=BB240_37 Depth=3
	s_and_not1_saveexec_b32 s57, s11
	s_cbranch_execz .LBB240_36
; %bb.42:                               ;   in Loop: Header=BB240_37 Depth=3
	v_sub_nc_u32_e32 v37, v31, v62
	s_delay_alu instid0(VALU_DEP_1)
	v_lshlrev_b32_e32 v31, 2, v37
	ds_store_b32 v31, v61 offset:20480
	s_and_saveexec_b32 s58, s2
	s_cbranch_execz .LBB240_35
; %bb.43:                               ;   in Loop: Header=BB240_37 Depth=3
	v_cndmask_b32_e64 v31, 0, 1, s43
	s_and_not1_b32 vcc_lo, exec_lo, s36
	s_delay_alu instid0(VALU_DEP_1)
	v_cmp_ne_u32_e64 s11, 1, v31
	s_cbranch_vccnz .LBB240_48
; %bb.44:                               ;   in Loop: Header=BB240_37 Depth=3
	v_mov_b32_e32 v31, 0
	v_mov_b32_e32 v32, 0
	s_delay_alu instid0(VALU_DEP_3) | instskip(NEXT) | instid1(VALU_DEP_1)
	s_and_b32 vcc_lo, exec_lo, s11
	v_dual_mov_b32 v34, v32 :: v_dual_mov_b32 v33, v31
	s_cbranch_vccnz .LBB240_47
; %bb.45:                               ;   in Loop: Header=BB240_37 Depth=3
	v_dual_mov_b32 v31, 0 :: v_dual_mov_b32 v36, v26
	v_dual_mov_b32 v32, 0 :: v_dual_mov_b32 v35, v25
	v_mov_b32_e32 v38, v58
	s_mov_b32 s11, s38
	s_delay_alu instid0(VALU_DEP_2)
	v_dual_mov_b32 v34, v32 :: v_dual_mov_b32 v33, v31
	.p2align	6
.LBB240_46:                             ;   Parent Loop BB240_15 Depth=1
                                        ;     Parent Loop BB240_24 Depth=2
                                        ;       Parent Loop BB240_37 Depth=3
                                        ; =>      This Inner Loop Header: Depth=4
	global_load_b128 v[65:68], v[35:36], off offset:-8
	ds_load_b128 v[69:72], v38
	v_add_co_u32 v35, vcc_lo, v35, 16
	v_add_nc_u32_e32 v38, 0x80, v38
	v_add_co_ci_u32_e32 v36, vcc_lo, 0, v36, vcc_lo
	s_add_i32 s11, s11, -1
	s_delay_alu instid0(SALU_CYCLE_1) | instskip(SKIP_3) | instid1(VALU_DEP_2)
	s_cmp_lg_u32 s11, 0
	s_waitcnt vmcnt(0) lgkmcnt(0)
	v_fma_f64 v[31:32], v[69:70], v[65:66], v[31:32]
	v_fma_f64 v[33:34], v[71:72], v[65:66], v[33:34]
	v_fma_f64 v[31:32], -v[71:72], v[67:68], v[31:32]
	s_delay_alu instid0(VALU_DEP_2)
	v_fma_f64 v[33:34], v[69:70], v[67:68], v[33:34]
	s_cbranch_scc1 .LBB240_46
.LBB240_47:                             ;   in Loop: Header=BB240_37 Depth=3
	s_cbranch_execz .LBB240_49
	s_branch .LBB240_52
.LBB240_48:                             ;   in Loop: Header=BB240_37 Depth=3
                                        ; implicit-def: $vgpr31_vgpr32
                                        ; implicit-def: $vgpr33_vgpr34
.LBB240_49:                             ;   in Loop: Header=BB240_37 Depth=3
	v_mov_b32_e32 v31, 0
	v_mov_b32_e32 v32, 0
	s_and_not1_b32 vcc_lo, exec_lo, s43
	s_delay_alu instid0(VALU_DEP_1)
	v_dual_mov_b32 v34, v32 :: v_dual_mov_b32 v33, v31
	s_cbranch_vccnz .LBB240_52
; %bb.50:                               ;   in Loop: Header=BB240_37 Depth=3
	v_dual_mov_b32 v31, 0 :: v_dual_mov_b32 v38, v59
	v_mov_b32_e32 v32, 0
	v_dual_mov_b32 v36, v28 :: v_dual_mov_b32 v35, v27
	s_mov_b32 s11, s38
	s_delay_alu instid0(VALU_DEP_2)
	v_dual_mov_b32 v34, v32 :: v_dual_mov_b32 v33, v31
	.p2align	6
.LBB240_51:                             ;   Parent Loop BB240_15 Depth=1
                                        ;     Parent Loop BB240_24 Depth=2
                                        ;       Parent Loop BB240_37 Depth=3
                                        ; =>      This Inner Loop Header: Depth=4
	global_load_b128 v[65:68], v[35:36], off offset:-8
	ds_load_b128 v[69:72], v38
	v_add_co_u32 v35, vcc_lo, v35, s18
	v_add_co_ci_u32_e32 v36, vcc_lo, s19, v36, vcc_lo
	v_add_nc_u32_e32 v38, 16, v38
	s_add_i32 s11, s11, -1
	s_delay_alu instid0(SALU_CYCLE_1) | instskip(SKIP_3) | instid1(VALU_DEP_2)
	s_cmp_eq_u32 s11, 0
	s_waitcnt vmcnt(0) lgkmcnt(0)
	v_fma_f64 v[31:32], v[69:70], v[65:66], v[31:32]
	v_fma_f64 v[33:34], v[71:72], v[65:66], v[33:34]
	v_fma_f64 v[31:32], -v[71:72], v[67:68], v[31:32]
	s_delay_alu instid0(VALU_DEP_2)
	v_fma_f64 v[33:34], v[69:70], v[67:68], v[33:34]
	s_cbranch_scc0 .LBB240_51
.LBB240_52:                             ;   in Loop: Header=BB240_37 Depth=3
	s_delay_alu instid0(VALU_DEP_1) | instskip(SKIP_2) | instid1(VALU_DEP_1)
	v_mul_f64 v[35:36], v[33:34], -v[13:14]
	v_lshlrev_b32_e32 v37, 6, v37
	s_mov_b32 s11, 0
	v_or3_b32 v37, v37, v45, v40
	s_delay_alu instid0(VALU_DEP_1)
	v_lshlrev_b32_e32 v65, 4, v37
	ds_load_b64 v[37:38], v65
	v_fma_f64 v[35:36], v[9:10], v[31:32], v[35:36]
.LBB240_53:                             ;   Parent Loop BB240_15 Depth=1
                                        ;     Parent Loop BB240_24 Depth=2
                                        ;       Parent Loop BB240_37 Depth=3
                                        ; =>      This Inner Loop Header: Depth=4
	s_waitcnt lgkmcnt(0)
	s_delay_alu instid0(VALU_DEP_1)
	v_add_f64 v[66:67], v[37:38], v[35:36]
	ds_cmpstore_rtn_b64 v[66:67], v65, v[66:67], v[37:38]
	s_waitcnt lgkmcnt(0)
	v_cmp_eq_u64_e32 vcc_lo, v[66:67], v[37:38]
	v_dual_mov_b32 v37, v66 :: v_dual_mov_b32 v38, v67
	s_or_b32 s11, vcc_lo, s11
	s_delay_alu instid0(SALU_CYCLE_1)
	s_and_not1_b32 exec_lo, exec_lo, s11
	s_cbranch_execnz .LBB240_53
; %bb.54:                               ;   in Loop: Header=BB240_37 Depth=3
	s_or_b32 exec_lo, exec_lo, s11
	v_mul_f64 v[33:34], v[9:10], v[33:34]
	s_mov_b32 s11, 0
	s_delay_alu instid0(VALU_DEP_1)
	v_fma_f64 v[31:32], v[13:14], v[31:32], v[33:34]
	ds_load_b64 v[33:34], v65 offset:8
.LBB240_55:                             ;   Parent Loop BB240_15 Depth=1
                                        ;     Parent Loop BB240_24 Depth=2
                                        ;       Parent Loop BB240_37 Depth=3
                                        ; =>      This Inner Loop Header: Depth=4
	s_waitcnt lgkmcnt(0)
	v_add_f64 v[35:36], v[33:34], v[31:32]
	ds_cmpstore_rtn_b64 v[35:36], v65, v[35:36], v[33:34] offset:8
	s_waitcnt lgkmcnt(0)
	v_cmp_eq_u64_e32 vcc_lo, v[35:36], v[33:34]
	v_dual_mov_b32 v33, v35 :: v_dual_mov_b32 v34, v36
	s_or_b32 s11, vcc_lo, s11
	s_delay_alu instid0(SALU_CYCLE_1)
	s_and_not1_b32 exec_lo, exec_lo, s11
	s_cbranch_execnz .LBB240_55
	s_branch .LBB240_35
.LBB240_56:                             ;   in Loop: Header=BB240_24 Depth=2
	s_or_b32 exec_lo, exec_lo, s55
.LBB240_57:                             ;   in Loop: Header=BB240_24 Depth=2
	s_delay_alu instid0(SALU_CYCLE_1)
	s_or_b32 exec_lo, exec_lo, s49
.LBB240_58:                             ;   in Loop: Header=BB240_24 Depth=2
	s_delay_alu instid0(SALU_CYCLE_1)
	s_or_b32 exec_lo, exec_lo, s39
	s_waitcnt lgkmcnt(0)
	s_barrier
	buffer_gl0_inv
	s_and_saveexec_b32 s11, s10
	s_cbranch_execz .LBB240_23
; %bb.59:                               ;   in Loop: Header=BB240_24 Depth=2
	v_lshlrev_b64 v[5:6], 3, v[5:6]
	s_delay_alu instid0(VALU_DEP_1) | instskip(NEXT) | instid1(VALU_DEP_2)
	v_add_co_u32 v5, vcc_lo, s46, v5
	v_add_co_ci_u32_e32 v6, vcc_lo, s47, v6, vcc_lo
	global_store_b64 v[5:6], v[7:8], off
	s_branch .LBB240_23
.LBB240_60:                             ;   in Loop: Header=BB240_24 Depth=2
                                        ; implicit-def: $vgpr7_vgpr8
	s_branch .LBB240_32
.LBB240_61:                             ;   in Loop: Header=BB240_15 Depth=1
	s_and_not1_b32 vcc_lo, exec_lo, s33
	s_cbranch_vccnz .LBB240_76
; %bb.62:                               ;   in Loop: Header=BB240_15 Depth=1
	s_load_b128 s[56:59], s[12:13], 0x0
	s_mov_b32 s11, exec_lo
	s_waitcnt lgkmcnt(0)
	v_add_co_u32 v23, vcc_lo, s56, v46
	v_add_co_ci_u32_e32 v24, vcc_lo, s57, v47, vcc_lo
	s_sub_u32 s22, s58, s50
	s_subb_u32 s23, s59, 0
	s_delay_alu instid0(VALU_DEP_1) | instid1(SALU_CYCLE_1)
	v_cmpx_gt_i64_e64 s[22:23], v[23:24]
	s_cbranch_execz .LBB240_75
; %bb.63:                               ;   in Loop: Header=BB240_15 Depth=1
	s_mov_b32 s39, 0
	s_branch .LBB240_66
.LBB240_64:                             ;   in Loop: Header=BB240_66 Depth=2
	s_or_b32 exec_lo, exec_lo, s49
	s_delay_alu instid0(SALU_CYCLE_1)
	s_or_b32 s9, s9, exec_lo
.LBB240_65:                             ;   in Loop: Header=BB240_66 Depth=2
	s_or_b32 exec_lo, exec_lo, s10
	v_add_co_u32 v23, vcc_lo, v23, 4
	v_add_co_ci_u32_e32 v24, vcc_lo, 0, v24, vcc_lo
	s_xor_b32 s9, s9, -1
	s_delay_alu instid0(VALU_DEP_1) | instskip(SKIP_1) | instid1(SALU_CYCLE_1)
	v_cmp_le_i64_e32 vcc_lo, s[22:23], v[23:24]
	s_or_b32 s9, s9, vcc_lo
	s_and_b32 s9, exec_lo, s9
	s_delay_alu instid0(SALU_CYCLE_1) | instskip(NEXT) | instid1(SALU_CYCLE_1)
	s_or_b32 s39, s9, s39
	s_and_not1_b32 exec_lo, exec_lo, s39
	s_cbranch_execz .LBB240_74
.LBB240_66:                             ;   Parent Loop BB240_15 Depth=1
                                        ; =>  This Loop Header: Depth=2
                                        ;       Child Loop BB240_71 Depth 3
                                        ;       Child Loop BB240_73 Depth 3
	v_lshlrev_b64 v[5:6], 2, v[23:24]
	s_delay_alu instid0(VALU_DEP_1) | instskip(NEXT) | instid1(VALU_DEP_2)
	v_add_co_u32 v5, vcc_lo, s14, v5
	v_add_co_ci_u32_e32 v6, vcc_lo, s15, v6, vcc_lo
	global_load_b32 v5, v[5:6], off
	s_waitcnt vmcnt(0)
	v_subrev_nc_u32_e32 v5, s31, v5
	s_delay_alu instid0(VALU_DEP_1) | instskip(SKIP_2) | instid1(VALU_DEP_2)
	v_cmp_lt_i32_e64 s9, v5, v62
	v_cmp_ge_i32_e64 s10, v5, v63
	v_cmp_lt_i32_e32 vcc_lo, v5, v63
	s_or_b32 s10, s9, s10
                                        ; implicit-def: $sgpr9
	s_delay_alu instid0(SALU_CYCLE_1) | instskip(NEXT) | instid1(SALU_CYCLE_1)
	s_and_saveexec_b32 s49, s10
	s_xor_b32 s10, exec_lo, s49
; %bb.67:                               ;   in Loop: Header=BB240_66 Depth=2
	v_min_i32_e32 v5, v5, v64
	s_and_b32 s9, vcc_lo, exec_lo
	s_delay_alu instid0(VALU_DEP_1)
	v_cndmask_b32_e32 v64, v5, v64, vcc_lo
                                        ; implicit-def: $vgpr5
; %bb.68:                               ;   in Loop: Header=BB240_66 Depth=2
	s_and_not1_saveexec_b32 s10, s10
	s_cbranch_execz .LBB240_65
; %bb.69:                               ;   in Loop: Header=BB240_66 Depth=2
	v_sub_nc_u32_e32 v27, v5, v62
	s_delay_alu instid0(VALU_DEP_1)
	v_lshlrev_b32_e32 v5, 2, v27
	ds_store_b32 v5, v61 offset:20480
	s_and_saveexec_b32 s49, s2
	s_cbranch_execz .LBB240_64
; %bb.70:                               ;   in Loop: Header=BB240_66 Depth=2
	v_mad_u64_u32 v[5:6], null, v23, s48, 0
	s_mov_b32 s55, 0
	v_lshlrev_b32_e32 v27, 6, v27
	s_delay_alu instid0(VALU_DEP_2) | instskip(NEXT) | instid1(VALU_DEP_2)
	v_mad_u64_u32 v[7:8], null, v24, s48, v[6:7]
	v_or3_b32 v27, v27, v45, v40
	s_delay_alu instid0(VALU_DEP_1) | instskip(SKIP_2) | instid1(VALU_DEP_1)
	v_dual_mov_b32 v6, v7 :: v_dual_lshlrev_b32 v29, 4, v27
	ds_load_b64 v[27:28], v29
	v_lshlrev_b64 v[5:6], 4, v[5:6]
	v_add_co_u32 v5, vcc_lo, v57, v5
	s_delay_alu instid0(VALU_DEP_2) | instskip(SKIP_3) | instid1(VALU_DEP_1)
	v_add_co_ci_u32_e32 v6, vcc_lo, v56, v6, vcc_lo
	global_load_b128 v[5:8], v[5:6], off
	s_waitcnt vmcnt(0)
	v_mul_f64 v[25:26], v[7:8], -v[11:12]
	v_fma_f64 v[25:26], v[15:16], v[5:6], v[25:26]
.LBB240_71:                             ;   Parent Loop BB240_15 Depth=1
                                        ;     Parent Loop BB240_66 Depth=2
                                        ; =>    This Inner Loop Header: Depth=3
	s_waitcnt lgkmcnt(0)
	s_delay_alu instid0(VALU_DEP_1)
	v_add_f64 v[30:31], v[27:28], v[25:26]
	ds_cmpstore_rtn_b64 v[30:31], v29, v[30:31], v[27:28]
	s_waitcnt lgkmcnt(0)
	v_cmp_eq_u64_e32 vcc_lo, v[30:31], v[27:28]
	v_dual_mov_b32 v27, v30 :: v_dual_mov_b32 v28, v31
	s_or_b32 s55, vcc_lo, s55
	s_delay_alu instid0(SALU_CYCLE_1)
	s_and_not1_b32 exec_lo, exec_lo, s55
	s_cbranch_execnz .LBB240_71
; %bb.72:                               ;   in Loop: Header=BB240_66 Depth=2
	s_or_b32 exec_lo, exec_lo, s55
	v_mul_f64 v[7:8], v[15:16], v[7:8]
	s_mov_b32 s55, 0
	s_delay_alu instid0(VALU_DEP_1)
	v_fma_f64 v[5:6], v[11:12], v[5:6], v[7:8]
	ds_load_b64 v[7:8], v29 offset:8
.LBB240_73:                             ;   Parent Loop BB240_15 Depth=1
                                        ;     Parent Loop BB240_66 Depth=2
                                        ; =>    This Inner Loop Header: Depth=3
	s_waitcnt lgkmcnt(0)
	v_add_f64 v[25:26], v[7:8], v[5:6]
	ds_cmpstore_rtn_b64 v[25:26], v29, v[25:26], v[7:8] offset:8
	s_waitcnt lgkmcnt(0)
	v_cmp_eq_u64_e32 vcc_lo, v[25:26], v[7:8]
	v_dual_mov_b32 v7, v25 :: v_dual_mov_b32 v8, v26
	s_or_b32 s55, vcc_lo, s55
	s_delay_alu instid0(SALU_CYCLE_1)
	s_and_not1_b32 exec_lo, exec_lo, s55
	s_cbranch_execnz .LBB240_73
	s_branch .LBB240_64
.LBB240_74:                             ;   in Loop: Header=BB240_15 Depth=1
	s_or_b32 exec_lo, exec_lo, s39
.LBB240_75:                             ;   in Loop: Header=BB240_15 Depth=1
	s_delay_alu instid0(SALU_CYCLE_1)
	s_or_b32 exec_lo, exec_lo, s11
.LBB240_76:                             ;   in Loop: Header=BB240_15 Depth=1
	s_and_saveexec_b32 s9, s4
	s_cbranch_execz .LBB240_81
; %bb.77:                               ;   in Loop: Header=BB240_15 Depth=1
	s_mov_b32 s11, exec_lo
	s_brev_b32 s10, -2
.LBB240_78:                             ;   Parent Loop BB240_15 Depth=1
                                        ; =>  This Inner Loop Header: Depth=2
	s_ctz_i32_b32 s22, s11
	s_delay_alu instid0(SALU_CYCLE_1) | instskip(SKIP_1) | instid1(SALU_CYCLE_1)
	v_readlane_b32 s23, v64, s22
	s_lshl_b32 s22, 1, s22
	s_and_not1_b32 s11, s11, s22
	s_delay_alu instid0(VALU_DEP_1)
	s_min_i32 s10, s10, s23
	s_cmp_lg_u32 s11, 0
	s_cbranch_scc1 .LBB240_78
; %bb.79:                               ;   in Loop: Header=BB240_15 Depth=1
	v_mbcnt_lo_u32_b32 v5, exec_lo, 0
	s_mov_b32 s11, exec_lo
	s_delay_alu instid0(VALU_DEP_1)
	v_cmpx_eq_u32_e32 0, v5
	s_xor_b32 s11, exec_lo, s11
	s_cbranch_execz .LBB240_81
; %bb.80:                               ;   in Loop: Header=BB240_15 Depth=1
	v_mov_b32_e32 v5, s10
	ds_min_i32 v1, v5 offset:20544
.LBB240_81:                             ;   in Loop: Header=BB240_15 Depth=1
	s_or_b32 exec_lo, exec_lo, s9
	s_waitcnt lgkmcnt(0)
	s_waitcnt_vscnt null, 0x0
	s_barrier
	buffer_gl0_inv
	ds_load_b32 v6, v48
	s_waitcnt lgkmcnt(0)
	s_barrier
	buffer_gl0_inv
	s_and_saveexec_b32 s9, s5
	s_cbranch_execz .LBB240_83
; %bb.82:                               ;   in Loop: Header=BB240_15 Depth=1
	ds_load_b32 v5, v49
	s_waitcnt lgkmcnt(0)
	v_add_nc_u32_e32 v6, v5, v6
.LBB240_83:                             ;   in Loop: Header=BB240_15 Depth=1
	s_or_b32 exec_lo, exec_lo, s9
	s_barrier
	buffer_gl0_inv
	ds_store_b32 v48, v6
	s_waitcnt lgkmcnt(0)
	s_barrier
	buffer_gl0_inv
	s_and_saveexec_b32 s9, s6
	s_cbranch_execz .LBB240_85
; %bb.84:                               ;   in Loop: Header=BB240_15 Depth=1
	ds_load_b32 v5, v51
	s_waitcnt lgkmcnt(0)
	v_add_nc_u32_e32 v6, v5, v6
.LBB240_85:                             ;   in Loop: Header=BB240_15 Depth=1
	s_or_b32 exec_lo, exec_lo, s9
	s_barrier
	buffer_gl0_inv
	ds_store_b32 v48, v6
	;; [unrolled: 14-line block ×4, first 2 shown]
	s_waitcnt lgkmcnt(0)
	s_barrier
	buffer_gl0_inv
	ds_load_b32 v5, v1 offset:20540
	v_mov_b32_e32 v7, 0
	s_and_saveexec_b32 s9, s51
	s_cbranch_execz .LBB240_91
; %bb.90:                               ;   in Loop: Header=BB240_15 Depth=1
	ds_load_b32 v7, v49
.LBB240_91:                             ;   in Loop: Header=BB240_15 Depth=1
	s_or_b32 exec_lo, exec_lo, s9
	s_waitcnt lgkmcnt(0)
	v_cmp_eq_u32_e32 vcc_lo, v6, v7
	s_barrier
	buffer_gl0_inv
	s_and_b32 s10, s51, vcc_lo
	s_delay_alu instid0(SALU_CYCLE_1)
	s_and_saveexec_b32 s9, s10
	s_cbranch_execz .LBB240_93
; %bb.92:                               ;   in Loop: Header=BB240_15 Depth=1
	ds_store_b32 v48, v1
.LBB240_93:                             ;   in Loop: Header=BB240_15 Depth=1
	s_or_b32 exec_lo, exec_lo, s9
	v_add_co_u32 v6, vcc_lo, v21, -1
	v_add_co_ci_u32_e32 v7, vcc_lo, -1, v22, vcc_lo
	v_dual_mov_b32 v23, v60 :: v_dual_add_nc_u32 v8, s30, v62
	v_dual_mov_b32 v24, v41 :: v_dual_mov_b32 v25, v39
	s_mov_b32 s9, 0
	s_waitcnt lgkmcnt(0)
	s_barrier
	buffer_gl0_inv
	s_set_inst_prefetch_distance 0x1
	s_branch .LBB240_95
	.p2align	6
.LBB240_94:                             ;   in Loop: Header=BB240_95 Depth=2
	s_or_b32 exec_lo, exec_lo, s10
	v_add_nc_u32_e32 v26, 4, v25
	v_cmp_lt_u32_e32 vcc_lo, 11, v25
	v_add_nc_u32_e32 v24, 0x1000, v24
	v_add_nc_u32_e32 v23, 16, v23
	s_delay_alu instid0(VALU_DEP_4) | instskip(SKIP_1) | instid1(SALU_CYCLE_1)
	v_mov_b32_e32 v25, v26
	s_or_b32 s9, vcc_lo, s9
	s_and_not1_b32 exec_lo, exec_lo, s9
	s_cbranch_execz .LBB240_14
.LBB240_95:                             ;   Parent Loop BB240_15 Depth=1
                                        ; =>  This Inner Loop Header: Depth=2
	ds_load_b32 v26, v23
	s_mov_b32 s10, exec_lo
	s_waitcnt lgkmcnt(0)
	v_cmpx_ne_u32_e32 0, v26
	s_cbranch_execz .LBB240_94
; %bb.96:                               ;   in Loop: Header=BB240_95 Depth=2
	v_ashrrev_i32_e32 v27, 31, v26
	v_add_co_u32 v28, vcc_lo, v21, v26
	v_add_nc_u32_e32 v30, v8, v25
	s_delay_alu instid0(VALU_DEP_3) | instskip(NEXT) | instid1(VALU_DEP_1)
	v_add_co_ci_u32_e32 v29, vcc_lo, v22, v27, vcc_lo
	v_lshlrev_b64 v[28:29], 2, v[28:29]
	s_delay_alu instid0(VALU_DEP_1) | instskip(NEXT) | instid1(VALU_DEP_2)
	v_add_co_u32 v28, vcc_lo, s40, v28
	v_add_co_ci_u32_e32 v29, vcc_lo, s41, v29, vcc_lo
	global_store_b32 v[28:29], v30, off
	s_and_b32 exec_lo, exec_lo, s2
	s_cbranch_execz .LBB240_94
; %bb.97:                               ;   in Loop: Header=BB240_95 Depth=2
	v_add_co_u32 v26, vcc_lo, v6, v26
	v_add_co_ci_u32_e32 v27, vcc_lo, v7, v27, vcc_lo
	s_delay_alu instid0(VALU_DEP_2) | instskip(NEXT) | instid1(VALU_DEP_1)
	v_mad_u64_u32 v[30:31], null, v26, s48, 0
	v_mov_b32_e32 v26, v31
	s_delay_alu instid0(VALU_DEP_1) | instskip(SKIP_2) | instid1(VALU_DEP_1)
	v_mad_u64_u32 v[31:32], null, v27, s48, v[26:27]
	ds_load_2addr_b64 v[26:29], v24 offset1:1
	v_lshlrev_b64 v[30:31], 4, v[30:31]
	v_add_co_u32 v30, vcc_lo, v55, v30
	s_delay_alu instid0(VALU_DEP_2)
	v_add_co_ci_u32_e32 v31, vcc_lo, v54, v31, vcc_lo
	s_waitcnt lgkmcnt(0)
	global_store_b128 v[30:31], v[26:29], off
	s_branch .LBB240_94
.LBB240_98:
	s_endpgm
	.section	.rodata,"a",@progbits
	.p2align	6, 0x0
	.amdhsa_kernel _ZN9rocsparseL38bsrgemm_block_per_row_atomic_multipassILj256ELj16ELj8Eli21rocsparse_complex_numIdEEEv20rocsparse_direction_T3_S4_PKS4_S6_NS_24const_host_device_scalarIT4_EEPKT2_S6_PKS8_SC_S6_SE_S9_SC_S6_SE_SC_PS4_PS8_PSA_21rocsparse_index_base_SI_SI_SI_bbb
		.amdhsa_group_segment_fixed_size 20552
		.amdhsa_private_segment_fixed_size 24
		.amdhsa_kernarg_size 188
		.amdhsa_user_sgpr_count 15
		.amdhsa_user_sgpr_dispatch_ptr 0
		.amdhsa_user_sgpr_queue_ptr 0
		.amdhsa_user_sgpr_kernarg_segment_ptr 1
		.amdhsa_user_sgpr_dispatch_id 0
		.amdhsa_user_sgpr_private_segment_size 0
		.amdhsa_wavefront_size32 1
		.amdhsa_uses_dynamic_stack 0
		.amdhsa_enable_private_segment 1
		.amdhsa_system_sgpr_workgroup_id_x 1
		.amdhsa_system_sgpr_workgroup_id_y 0
		.amdhsa_system_sgpr_workgroup_id_z 0
		.amdhsa_system_sgpr_workgroup_info 0
		.amdhsa_system_vgpr_workitem_id 0
		.amdhsa_next_free_vgpr 73
		.amdhsa_next_free_sgpr 60
		.amdhsa_reserve_vcc 1
		.amdhsa_float_round_mode_32 0
		.amdhsa_float_round_mode_16_64 0
		.amdhsa_float_denorm_mode_32 3
		.amdhsa_float_denorm_mode_16_64 3
		.amdhsa_dx10_clamp 1
		.amdhsa_ieee_mode 1
		.amdhsa_fp16_overflow 0
		.amdhsa_workgroup_processor_mode 1
		.amdhsa_memory_ordered 1
		.amdhsa_forward_progress 0
		.amdhsa_shared_vgpr_count 0
		.amdhsa_exception_fp_ieee_invalid_op 0
		.amdhsa_exception_fp_denorm_src 0
		.amdhsa_exception_fp_ieee_div_zero 0
		.amdhsa_exception_fp_ieee_overflow 0
		.amdhsa_exception_fp_ieee_underflow 0
		.amdhsa_exception_fp_ieee_inexact 0
		.amdhsa_exception_int_div_zero 0
	.end_amdhsa_kernel
	.section	.text._ZN9rocsparseL38bsrgemm_block_per_row_atomic_multipassILj256ELj16ELj8Eli21rocsparse_complex_numIdEEEv20rocsparse_direction_T3_S4_PKS4_S6_NS_24const_host_device_scalarIT4_EEPKT2_S6_PKS8_SC_S6_SE_S9_SC_S6_SE_SC_PS4_PS8_PSA_21rocsparse_index_base_SI_SI_SI_bbb,"axG",@progbits,_ZN9rocsparseL38bsrgemm_block_per_row_atomic_multipassILj256ELj16ELj8Eli21rocsparse_complex_numIdEEEv20rocsparse_direction_T3_S4_PKS4_S6_NS_24const_host_device_scalarIT4_EEPKT2_S6_PKS8_SC_S6_SE_S9_SC_S6_SE_SC_PS4_PS8_PSA_21rocsparse_index_base_SI_SI_SI_bbb,comdat
.Lfunc_end240:
	.size	_ZN9rocsparseL38bsrgemm_block_per_row_atomic_multipassILj256ELj16ELj8Eli21rocsparse_complex_numIdEEEv20rocsparse_direction_T3_S4_PKS4_S6_NS_24const_host_device_scalarIT4_EEPKT2_S6_PKS8_SC_S6_SE_S9_SC_S6_SE_SC_PS4_PS8_PSA_21rocsparse_index_base_SI_SI_SI_bbb, .Lfunc_end240-_ZN9rocsparseL38bsrgemm_block_per_row_atomic_multipassILj256ELj16ELj8Eli21rocsparse_complex_numIdEEEv20rocsparse_direction_T3_S4_PKS4_S6_NS_24const_host_device_scalarIT4_EEPKT2_S6_PKS8_SC_S6_SE_S9_SC_S6_SE_SC_PS4_PS8_PSA_21rocsparse_index_base_SI_SI_SI_bbb
                                        ; -- End function
	.section	.AMDGPU.csdata,"",@progbits
; Kernel info:
; codeLenInByte = 4244
; NumSgprs: 62
; NumVgprs: 73
; ScratchSize: 24
; MemoryBound: 0
; FloatMode: 240
; IeeeMode: 1
; LDSByteSize: 20552 bytes/workgroup (compile time only)
; SGPRBlocks: 7
; VGPRBlocks: 9
; NumSGPRsForWavesPerEU: 62
; NumVGPRsForWavesPerEU: 73
; Occupancy: 12
; WaveLimiterHint : 1
; COMPUTE_PGM_RSRC2:SCRATCH_EN: 1
; COMPUTE_PGM_RSRC2:USER_SGPR: 15
; COMPUTE_PGM_RSRC2:TRAP_HANDLER: 0
; COMPUTE_PGM_RSRC2:TGID_X_EN: 1
; COMPUTE_PGM_RSRC2:TGID_Y_EN: 0
; COMPUTE_PGM_RSRC2:TGID_Z_EN: 0
; COMPUTE_PGM_RSRC2:TIDIG_COMP_CNT: 0
	.section	.text._ZN9rocsparseL38bsrgemm_block_per_row_atomic_multipassILj256ELj32ELj8Eli21rocsparse_complex_numIdEEEv20rocsparse_direction_T3_S4_PKS4_S6_NS_24const_host_device_scalarIT4_EEPKT2_S6_PKS8_SC_S6_SE_S9_SC_S6_SE_SC_PS4_PS8_PSA_21rocsparse_index_base_SI_SI_SI_bbb,"axG",@progbits,_ZN9rocsparseL38bsrgemm_block_per_row_atomic_multipassILj256ELj32ELj8Eli21rocsparse_complex_numIdEEEv20rocsparse_direction_T3_S4_PKS4_S6_NS_24const_host_device_scalarIT4_EEPKT2_S6_PKS8_SC_S6_SE_S9_SC_S6_SE_SC_PS4_PS8_PSA_21rocsparse_index_base_SI_SI_SI_bbb,comdat
	.globl	_ZN9rocsparseL38bsrgemm_block_per_row_atomic_multipassILj256ELj32ELj8Eli21rocsparse_complex_numIdEEEv20rocsparse_direction_T3_S4_PKS4_S6_NS_24const_host_device_scalarIT4_EEPKT2_S6_PKS8_SC_S6_SE_S9_SC_S6_SE_SC_PS4_PS8_PSA_21rocsparse_index_base_SI_SI_SI_bbb ; -- Begin function _ZN9rocsparseL38bsrgemm_block_per_row_atomic_multipassILj256ELj32ELj8Eli21rocsparse_complex_numIdEEEv20rocsparse_direction_T3_S4_PKS4_S6_NS_24const_host_device_scalarIT4_EEPKT2_S6_PKS8_SC_S6_SE_S9_SC_S6_SE_SC_PS4_PS8_PSA_21rocsparse_index_base_SI_SI_SI_bbb
	.p2align	8
	.type	_ZN9rocsparseL38bsrgemm_block_per_row_atomic_multipassILj256ELj32ELj8Eli21rocsparse_complex_numIdEEEv20rocsparse_direction_T3_S4_PKS4_S6_NS_24const_host_device_scalarIT4_EEPKT2_S6_PKS8_SC_S6_SE_S9_SC_S6_SE_SC_PS4_PS8_PSA_21rocsparse_index_base_SI_SI_SI_bbb,@function
_ZN9rocsparseL38bsrgemm_block_per_row_atomic_multipassILj256ELj32ELj8Eli21rocsparse_complex_numIdEEEv20rocsparse_direction_T3_S4_PKS4_S6_NS_24const_host_device_scalarIT4_EEPKT2_S6_PKS8_SC_S6_SE_S9_SC_S6_SE_SC_PS4_PS8_PSA_21rocsparse_index_base_SI_SI_SI_bbb: ; @_ZN9rocsparseL38bsrgemm_block_per_row_atomic_multipassILj256ELj32ELj8Eli21rocsparse_complex_numIdEEEv20rocsparse_direction_T3_S4_PKS4_S6_NS_24const_host_device_scalarIT4_EEPKT2_S6_PKS8_SC_S6_SE_S9_SC_S6_SE_SC_PS4_PS8_PSA_21rocsparse_index_base_SI_SI_SI_bbb
; %bb.0:
	s_mov_b32 s50, s15
	s_load_b32 s12, s[2:3], 0xb8
	s_load_b64 s[14:15], s[0:1], 0x4
	v_dual_mov_b32 v12, 0 :: v_dual_and_b32 v1, 0x3ff, v0
	s_clause 0x1
	s_load_b128 s[8:11], s[2:3], 0x20
	s_load_b128 s[4:7], s[2:3], 0x60
	v_bfe_u32 v3, v0, 10, 10
	s_load_b128 s[28:31], s[2:3], 0xa8
	v_bfe_u32 v0, v0, 20, 10
	v_mov_b32_e32 v13, 0
	s_waitcnt lgkmcnt(0)
	s_bitcmp1_b32 s12, 0
	s_cselect_b32 s54, -1, 0
	s_bitcmp1_b32 s12, 16
	v_mov_b32_e32 v4, s4
	s_cselect_b32 s0, -1, 0
	s_lshr_b32 s1, s14, 16
	s_delay_alu instid0(SALU_CYCLE_1) | instskip(NEXT) | instid1(SALU_CYCLE_1)
	s_mul_i32 s1, s1, s15
	v_mul_lo_u32 v2, s1, v1
	s_xor_b32 s1, s0, -1
	s_bitcmp0_b32 s12, 0
	v_cndmask_b32_e64 v6, 0, 1, s1
	s_delay_alu instid0(VALU_DEP_2) | instskip(NEXT) | instid1(VALU_DEP_2)
	v_mad_u32_u24 v2, v3, s15, v2
	v_cmp_ne_u32_e32 vcc_lo, 1, v6
	s_delay_alu instid0(VALU_DEP_2) | instskip(SKIP_3) | instid1(VALU_DEP_4)
	v_add_lshl_u32 v0, v2, v0, 3
	v_dual_mov_b32 v2, s8 :: v_dual_mov_b32 v3, s9
	v_mov_b32_e32 v5, s5
	v_dual_mov_b32 v15, v13 :: v_dual_mov_b32 v14, v12
	v_dual_mov_b32 v17, v13 :: v_dual_add_nc_u32 v6, 0x88, v0
	v_mov_b32_e32 v16, v12
	ds_store_2addr_stride64_b64 v6, v[4:5], v[2:3] offset0:72 offset1:76
	s_cbranch_scc1 .LBB241_3
; %bb.1:
	s_mov_b64 s[14:15], src_shared_base
	s_and_b32 s13, s0, exec_lo
	s_cselect_b32 s13, s15, s9
	s_delay_alu instid0(SALU_CYCLE_1) | instskip(SKIP_2) | instid1(VALU_DEP_2)
	v_dual_mov_b32 v3, s13 :: v_dual_add_nc_u32 v2, 0x9888, v0
	v_dual_mov_b32 v17, s11 :: v_dual_mov_b32 v16, s10
	s_and_b32 vcc_lo, exec_lo, vcc_lo
	v_cndmask_b32_e64 v2, s8, v2, s0
	flat_load_b64 v[14:15], v[2:3]
	s_cbranch_vccnz .LBB241_3
; %bb.2:
	v_dual_mov_b32 v2, s8 :: v_dual_mov_b32 v3, s9
	flat_load_b64 v[16:17], v[2:3] offset:8
.LBB241_3:
	s_load_b64 s[8:9], s[2:3], 0x18
	s_bitcmp1_b32 s12, 8
	v_dual_mov_b32 v19, v13 :: v_dual_mov_b32 v18, v12
	s_cselect_b32 s33, -1, 0
	s_bfe_u32 s10, s12, 0x10008
	s_delay_alu instid0(SALU_CYCLE_1)
	s_cmp_eq_u32 s10, 0
	s_cbranch_scc1 .LBB241_6
; %bb.4:
	s_mov_b64 s[10:11], src_shared_base
	s_and_b32 s10, s0, exec_lo
	s_cselect_b32 s10, s11, s5
	s_delay_alu instid0(SALU_CYCLE_1) | instskip(SKIP_2) | instid1(VALU_DEP_2)
	v_dual_mov_b32 v3, s10 :: v_dual_add_nc_u32 v0, 0x9088, v0
	v_dual_mov_b32 v13, s7 :: v_dual_mov_b32 v12, s6
	s_and_not1_b32 vcc_lo, exec_lo, s1
	v_cndmask_b32_e64 v2, s4, v0, s0
	flat_load_b64 v[18:19], v[2:3]
	s_cbranch_vccnz .LBB241_6
; %bb.5:
	v_dual_mov_b32 v2, s4 :: v_dual_mov_b32 v3, s5
	flat_load_b64 v[12:13], v[2:3] offset:8
.LBB241_6:
	s_load_b64 s[0:1], s[2:3], 0x30
	s_waitcnt lgkmcnt(0)
	s_cmp_eq_u64 s[8:9], 0
	s_cbranch_scc1 .LBB241_8
; %bb.7:
	s_load_b64 s[4:5], s[2:3], 0x10
	s_waitcnt lgkmcnt(0)
	s_load_b32 s4, s[4:5], 0x0
	s_mov_b32 s5, 0
	s_waitcnt lgkmcnt(0)
	s_add_i32 s4, s4, s50
	s_delay_alu instid0(SALU_CYCLE_1) | instskip(NEXT) | instid1(SALU_CYCLE_1)
	s_lshl_b64 s[4:5], s[4:5], 2
	s_add_u32 s4, s8, s4
	s_addc_u32 s5, s9, s5
	s_load_b32 s50, s[4:5], 0x0
.LBB241_8:
	s_mov_b64 s[34:35], 0
	s_and_not1_b32 vcc_lo, exec_lo, s54
	s_mov_b64 s[44:45], 0
	s_cbranch_vccz .LBB241_11
; %bb.9:
	s_and_not1_b32 vcc_lo, exec_lo, s54
	s_cbranch_vccz .LBB241_12
.LBB241_10:
	s_load_b128 s[36:39], s[2:3], 0x0
	s_waitcnt lgkmcnt(0)
	s_cmp_lt_i32 s37, 1
	s_cbranch_scc0 .LBB241_13
	s_branch .LBB241_100
.LBB241_11:
	s_waitcnt lgkmcnt(0)
	s_ashr_i32 s51, s50, 31
	s_delay_alu instid0(SALU_CYCLE_1) | instskip(NEXT) | instid1(SALU_CYCLE_1)
	s_lshl_b64 s[4:5], s[50:51], 3
	s_add_u32 s4, s0, s4
	s_addc_u32 s5, s1, s5
	s_load_b64 s[4:5], s[4:5], 0x0
	s_waitcnt lgkmcnt(0)
	s_sub_u32 s44, s4, s28
	s_subb_u32 s45, s5, 0
	s_and_not1_b32 vcc_lo, exec_lo, s54
	s_cbranch_vccnz .LBB241_10
.LBB241_12:
	s_waitcnt lgkmcnt(0)
	s_ashr_i32 s51, s50, 31
	s_delay_alu instid0(SALU_CYCLE_1) | instskip(NEXT) | instid1(SALU_CYCLE_1)
	s_lshl_b64 s[4:5], s[50:51], 3
	s_add_u32 s0, s0, s4
	s_addc_u32 s1, s1, s5
	s_load_b64 s[0:1], s[0:1], 0x8
	s_waitcnt lgkmcnt(0)
	s_sub_u32 s34, s0, s28
	s_subb_u32 s35, s1, 0
	s_load_b128 s[36:39], s[2:3], 0x0
	s_waitcnt lgkmcnt(0)
	s_cmp_lt_i32 s37, 1
	s_cbranch_scc1 .LBB241_100
.LBB241_13:
	s_clause 0x4
	s_load_b256 s[12:19], s[2:3], 0x70
	s_load_b64 s[46:47], s[2:3], 0xa0
	s_load_b128 s[40:43], s[2:3], 0x90
	s_load_b64 s[52:53], s[2:3], 0x58
	s_load_b256 s[20:27], s[2:3], 0x38
	v_bfe_u32 v7, v1, 3, 3
	v_dual_mov_b32 v0, 0 :: v_dual_and_b32 v41, 7, v1
	v_and_b32_e32 v6, 63, v1
	s_ashr_i32 s51, s50, 31
	s_delay_alu instid0(VALU_DEP_3) | instskip(NEXT) | instid1(VALU_DEP_3)
	v_mul_lo_u32 v2, v7, s38
	v_mul_lo_u32 v4, v41, s38
	v_dual_mov_b32 v3, v0 :: v_dual_lshlrev_b32 v42, 4, v1
	v_mov_b32_e32 v5, v0
	s_lshl_b64 s[6:7], s[50:51], 3
	v_max_i32_e32 v8, v41, v7
	v_dual_mov_b32 v66, 32 :: v_dual_lshlrev_b32 v7, 4, v7
	v_lshlrev_b64 v[2:3], 4, v[2:3]
	s_waitcnt lgkmcnt(0)
	s_add_u32 s2, s18, s6
	s_addc_u32 s3, s19, s7
	v_lshlrev_b64 v[4:5], 4, v[4:5]
	s_load_b64 s[4:5], s[2:3], 0x0
	v_cmp_gt_i32_e64 s2, s38, v8
	v_cmp_le_i32_e64 s3, s38, v8
	v_add_co_u32 v8, vcc_lo, s22, v2
	v_add_co_ci_u32_e32 v10, vcc_lo, s23, v3, vcc_lo
	v_add_co_u32 v11, vcc_lo, s42, v4
	v_add_co_ci_u32_e32 v20, vcc_lo, s43, v5, vcc_lo
	;; [unrolled: 2-line block ×3, first 2 shown]
	s_delay_alu instid0(VALU_DEP_4) | instskip(NEXT) | instid1(VALU_DEP_4)
	v_add_co_u32 v11, vcc_lo, v11, v7
	v_add_co_ci_u32_e32 v20, vcc_lo, 0, v20, vcc_lo
	v_lshlrev_b32_e32 v9, 4, v41
	s_waitcnt lgkmcnt(0)
	s_sub_u32 s22, s4, s30
	s_subb_u32 s23, s5, 0
	s_cmp_eq_u32 s36, 0
	v_lshrrev_b32_e32 v40, 6, v1
	v_add_co_u32 v21, vcc_lo, v21, v9
	v_add_co_ci_u32_e32 v22, vcc_lo, 0, v22, vcc_lo
	s_cselect_b32 vcc_lo, -1, 0
	v_cmp_gt_u32_e64 s0, 32, v1
	v_cmp_eq_u32_e64 s1, 0, v1
	s_delay_alu instid0(VALU_DEP_3) | instskip(SKIP_1) | instid1(VALU_DEP_1)
	v_cndmask_b32_e32 v56, v20, v22, vcc_lo
	v_add_co_u32 v44, s4, v8, v9
	v_add_co_ci_u32_e64 v45, s4, 0, v10, s4
	v_add_co_u32 v8, s4, s16, v4
	s_delay_alu instid0(VALU_DEP_1) | instskip(SKIP_1) | instid1(VALU_DEP_1)
	v_add_co_ci_u32_e64 v10, s4, s17, v5, s4
	v_sub_co_u32 v47, s4, v40, s31
	v_sub_co_ci_u32_e64 v48, null, 0, 0, s4
	s_delay_alu instid0(VALU_DEP_4) | instskip(NEXT) | instid1(VALU_DEP_1)
	v_add_co_u32 v8, s4, v8, v7
	v_add_co_ci_u32_e64 v10, s4, 0, v10, s4
	v_add_co_u32 v2, s4, s16, v2
	s_delay_alu instid0(VALU_DEP_1) | instskip(SKIP_1) | instid1(VALU_DEP_3)
	v_add_co_ci_u32_e64 v3, s4, s17, v3, s4
	v_lshl_or_b32 v51, v1, 2, 0x9000
	v_add_co_u32 v2, s4, v2, v9
	v_and_b32_e32 v46, 56, v1
	s_delay_alu instid0(VALU_DEP_4) | instskip(NEXT) | instid1(VALU_DEP_3)
	v_add_co_ci_u32_e64 v3, s4, 0, v3, s4
	v_cndmask_b32_e32 v59, v8, v2, vcc_lo
	v_and_b32_e32 v23, 31, v1
	v_or_b32_e32 v1, 0x400, v1
	s_delay_alu instid0(VALU_DEP_4)
	v_cndmask_b32_e32 v58, v10, v3, vcc_lo
	s_mov_b32 s49, 0
	v_cndmask_b32_e32 v57, v11, v21, vcc_lo
	s_mov_b32 s60, s49
	v_cmp_gt_u32_e64 s10, 0x700, v1
	s_mov_b32 s61, s49
	s_mov_b32 s62, s49
	;; [unrolled: 1-line block ×3, first 2 shown]
	v_lshlrev_b32_e32 v1, 10, v40
	v_lshlrev_b32_e32 v24, 2, v23
	v_add_co_u32 v2, vcc_lo, v4, s52
	v_add_co_ci_u32_e32 v3, vcc_lo, s53, v5, vcc_lo
	v_cmp_lt_i64_e64 s8, s[44:45], s[34:35]
	v_or3_b32 v60, v1, v7, 0x8000
	v_add_co_u32 v1, s11, v9, s52
	s_cmp_lg_u32 s36, 0
	v_add_co_u32 v25, s51, v23, -1
	v_add_co_u32 v20, vcc_lo, v2, 8
	v_add_co_ci_u32_e64 v2, null, 0, s53, s11
	s_cselect_b32 s36, -1, 0
	s_cmp_gt_i32 s38, 0
	v_add_co_ci_u32_e32 v21, vcc_lo, 0, v3, vcc_lo
	s_cselect_b32 s43, -1, 0
	s_add_u32 s18, s12, s6
	s_movk_i32 s11, 0xf80
	v_add_co_u32 v22, vcc_lo, v1, 8
	s_addc_u32 s19, s13, s7
	v_cmp_eq_u32_e64 s4, 63, v6
	v_or_b32_e32 v49, 0x9000, v24
	v_lshl_add_u32 v50, v25, 2, 0x9000
	s_and_b32 s54, s54, s8
	v_add_nc_u32_e32 v52, 0x8ff8, v24
	v_add_nc_u32_e32 v53, 0x8ff0, v24
	;; [unrolled: 1-line block ×3, first 2 shown]
	v_dual_mov_b32 v4, s60 :: v_dual_add_nc_u32 v55, 0x8fc0, v24
	v_mov_b32_e32 v25, s23
	v_or_b32_e32 v43, 0x8000, v42
	v_cmp_ne_u32_e64 s5, 0, v23
	v_cmp_lt_u32_e64 s6, 1, v23
	v_cmp_lt_u32_e64 s7, 3, v23
	;; [unrolled: 1-line block ×4, first 2 shown]
	s_add_u32 s55, s24, 8
	v_add_co_ci_u32_e32 v23, vcc_lo, 0, v2, vcc_lo
	v_and_or_b32 v61, v42, s11, 0x8000
	v_lshl_or_b32 v62, v40, 2, 0x9000
	v_dual_mov_b32 v24, s22 :: v_dual_mov_b32 v5, s61
	v_dual_mov_b32 v6, s62 :: v_dual_mov_b32 v7, s63
	v_mov_b32_e32 v63, 1
	v_cndmask_b32_e64 v64, 0, 1, s43
	v_mov_b32_e32 v65, 0
	s_mul_i32 s48, s38, s38
	s_addc_u32 s56, s25, 0
	s_mov_b32 s39, s49
	s_add_u32 s57, s40, -4
	s_mov_b32 s42, s29
	s_mov_b32 s50, s31
	s_addc_u32 s58, s41, -1
	s_lshl_b64 s[16:17], s[48:49], 4
	s_lshl_b64 s[22:23], s[38:39], 4
	s_branch .LBB241_15
.LBB241_14:                             ;   in Loop: Header=BB241_15 Depth=1
	s_set_inst_prefetch_distance 0x2
	s_or_b32 exec_lo, exec_lo, s11
	s_waitcnt_vscnt null, 0x0
	s_barrier
	buffer_gl0_inv
	ds_load_b32 v65, v0 offset:36992
	v_ashrrev_i32_e32 v2, 31, v1
	v_add_co_u32 v24, s11, v24, v1
	s_waitcnt lgkmcnt(0)
	s_barrier
	s_delay_alu instid0(VALU_DEP_2)
	v_add_co_ci_u32_e64 v25, s11, v25, v2, s11
	buffer_gl0_inv
	v_cmp_le_i32_e32 vcc_lo, s37, v65
	v_add_nc_u32_e32 v66, 32, v65
	s_cbranch_vccnz .LBB241_100
.LBB241_15:                             ; =>This Loop Header: Depth=1
                                        ;     Child Loop BB241_24 Depth 2
                                        ;       Child Loop BB241_37 Depth 3
                                        ;         Child Loop BB241_46 Depth 4
                                        ;         Child Loop BB241_51 Depth 4
	;; [unrolled: 1-line block ×4, first 2 shown]
                                        ;     Child Loop BB241_66 Depth 2
                                        ;       Child Loop BB241_71 Depth 3
                                        ;       Child Loop BB241_73 Depth 3
                                        ;     Child Loop BB241_78 Depth 2
                                        ;     Child Loop BB241_97 Depth 2
	s_and_saveexec_b32 s11, s0
	s_cbranch_execz .LBB241_17
; %bb.16:                               ;   in Loop: Header=BB241_15 Depth=1
	ds_store_b32 v51, v0
.LBB241_17:                             ;   in Loop: Header=BB241_15 Depth=1
	s_or_b32 exec_lo, exec_lo, s11
	ds_store_b128 v42, v[4:7]
	ds_store_b128 v42, v[4:7] offset:4096
	ds_store_b128 v42, v[4:7] offset:8192
	;; [unrolled: 1-line block ×4, first 2 shown]
	s_and_saveexec_b32 s11, s10
	s_delay_alu instid0(SALU_CYCLE_1)
	s_xor_b32 s11, exec_lo, s11
	s_cbranch_execz .LBB241_19
; %bb.18:                               ;   in Loop: Header=BB241_15 Depth=1
	ds_store_b128 v42, v[4:7] offset:20480
	ds_store_b128 v42, v[4:7] offset:24576
	;; [unrolled: 1-line block ×3, first 2 shown]
.LBB241_19:                             ;   in Loop: Header=BB241_15 Depth=1
	s_or_b32 exec_lo, exec_lo, s11
	s_and_saveexec_b32 s11, s1
	s_cbranch_execz .LBB241_21
; %bb.20:                               ;   in Loop: Header=BB241_15 Depth=1
	v_mov_b32_e32 v1, s37
	ds_store_b32 v0, v1 offset:36992
.LBB241_21:                             ;   in Loop: Header=BB241_15 Depth=1
	s_or_b32 exec_lo, exec_lo, s11
	v_mov_b32_e32 v67, s37
	s_and_not1_b32 vcc_lo, exec_lo, s54
	s_waitcnt vmcnt(0) lgkmcnt(0)
	s_barrier
	buffer_gl0_inv
	s_cbranch_vccnz .LBB241_61
; %bb.22:                               ;   in Loop: Header=BB241_15 Depth=1
	v_cmp_ne_u32_e64 s11, 0, v65
	v_mov_b32_e32 v67, s37
	s_mov_b64 s[40:41], s[44:45]
	s_branch .LBB241_24
.LBB241_23:                             ;   in Loop: Header=BB241_24 Depth=2
	s_or_b32 exec_lo, exec_lo, s13
	s_add_u32 s40, s40, 4
	s_addc_u32 s41, s41, 0
	s_delay_alu instid0(SALU_CYCLE_1) | instskip(NEXT) | instid1(VALU_DEP_1)
	v_cmp_lt_i64_e64 s12, s[40:41], s[34:35]
	s_and_b32 vcc_lo, exec_lo, s12
	s_cbranch_vccz .LBB241_61
.LBB241_24:                             ;   Parent Loop BB241_15 Depth=1
                                        ; =>  This Loop Header: Depth=2
                                        ;       Child Loop BB241_37 Depth 3
                                        ;         Child Loop BB241_46 Depth 4
                                        ;         Child Loop BB241_51 Depth 4
	;; [unrolled: 1-line block ×4, first 2 shown]
	v_add_co_u32 v8, s12, s40, v40
	s_delay_alu instid0(VALU_DEP_1) | instskip(NEXT) | instid1(VALU_DEP_1)
	v_add_co_ci_u32_e64 v9, null, s41, 0, s12
	s_waitcnt_vscnt null, 0x0
	s_barrier
	buffer_gl0_inv
	v_cmp_gt_i64_e64 s12, s[34:35], v[8:9]
	s_delay_alu instid0(VALU_DEP_1)
	s_and_saveexec_b32 s13, s12
	s_cbranch_execz .LBB241_29
; %bb.25:                               ;   in Loop: Header=BB241_24 Depth=2
	s_and_saveexec_b32 s39, s3
	s_delay_alu instid0(SALU_CYCLE_1)
	s_xor_b32 s39, exec_lo, s39
	s_cbranch_execz .LBB241_27
; %bb.26:                               ;   in Loop: Header=BB241_24 Depth=2
	v_mov_b32_e32 v1, v0
	v_mov_b32_e32 v2, v0
	;; [unrolled: 1-line block ×3, first 2 shown]
	ds_store_b128 v43, v[0:3]
.LBB241_27:                             ;   in Loop: Header=BB241_24 Depth=2
	s_and_not1_saveexec_b32 s39, s39
	s_cbranch_execz .LBB241_29
; %bb.28:                               ;   in Loop: Header=BB241_24 Depth=2
	v_mad_u64_u32 v[1:2], null, v8, s48, 0
	s_delay_alu instid0(VALU_DEP_1) | instskip(NEXT) | instid1(VALU_DEP_1)
	v_mad_u64_u32 v[10:11], null, v9, s48, v[2:3]
	v_mov_b32_e32 v2, v10
	s_delay_alu instid0(VALU_DEP_1) | instskip(NEXT) | instid1(VALU_DEP_1)
	v_lshlrev_b64 v[1:2], 4, v[1:2]
	v_add_co_u32 v1, vcc_lo, v44, v1
	s_delay_alu instid0(VALU_DEP_2)
	v_add_co_ci_u32_e32 v2, vcc_lo, v45, v2, vcc_lo
	global_load_b128 v[26:29], v[1:2], off
	s_waitcnt vmcnt(0)
	ds_store_2addr_b64 v43, v[26:27], v[28:29] offset1:1
.LBB241_29:                             ;   in Loop: Header=BB241_24 Depth=2
	s_or_b32 exec_lo, exec_lo, s13
	v_mov_b32_e32 v1, 0
	v_mov_b32_e32 v2, 0
	s_waitcnt lgkmcnt(0)
	s_barrier
	buffer_gl0_inv
	s_and_saveexec_b32 s39, s12
	s_cbranch_execz .LBB241_58
; %bb.30:                               ;   in Loop: Header=BB241_24 Depth=2
	v_lshlrev_b64 v[1:2], 2, v[8:9]
	s_delay_alu instid0(VALU_DEP_1) | instskip(NEXT) | instid1(VALU_DEP_2)
	v_add_co_u32 v1, vcc_lo, s20, v1
	v_add_co_ci_u32_e32 v2, vcc_lo, s21, v2, vcc_lo
	s_and_b32 vcc_lo, exec_lo, s11
	global_load_b32 v1, v[1:2], off
	s_waitcnt vmcnt(0)
	v_subrev_nc_u32_e32 v10, s28, v1
	s_delay_alu instid0(VALU_DEP_1)
	v_ashrrev_i32_e32 v11, 31, v10
	s_cbranch_vccz .LBB241_60
; %bb.31:                               ;   in Loop: Header=BB241_24 Depth=2
	v_lshlrev_b64 v[1:2], 3, v[8:9]
	s_delay_alu instid0(VALU_DEP_1) | instskip(NEXT) | instid1(VALU_DEP_2)
	v_add_co_u32 v1, vcc_lo, s46, v1
	v_add_co_ci_u32_e32 v2, vcc_lo, s47, v2, vcc_lo
	global_load_b64 v[1:2], v[1:2], off
	s_cbranch_execnz .LBB241_33
.LBB241_32:                             ;   in Loop: Header=BB241_24 Depth=2
	s_waitcnt vmcnt(0)
	s_delay_alu instid0(VALU_DEP_1) | instskip(NEXT) | instid1(VALU_DEP_1)
	v_lshlrev_b64 v[1:2], 3, v[10:11]
	v_add_co_u32 v1, vcc_lo, s24, v1
	s_delay_alu instid0(VALU_DEP_2)
	v_add_co_ci_u32_e32 v2, vcc_lo, s25, v2, vcc_lo
	global_load_b64 v[1:2], v[1:2], off
	s_waitcnt vmcnt(0)
	v_sub_co_u32 v1, vcc_lo, v1, s42
	v_subrev_co_ci_u32_e32 v2, vcc_lo, 0, v2, vcc_lo
.LBB241_33:                             ;   in Loop: Header=BB241_24 Depth=2
	v_lshlrev_b64 v[10:11], 3, v[10:11]
	s_mov_b32 s49, exec_lo
	s_delay_alu instid0(VALU_DEP_1) | instskip(NEXT) | instid1(VALU_DEP_2)
	v_add_co_u32 v10, vcc_lo, s55, v10
	v_add_co_ci_u32_e32 v11, vcc_lo, s56, v11, vcc_lo
	global_load_b64 v[10:11], v[10:11], off
	s_waitcnt vmcnt(0)
	v_sub_co_u32 v10, vcc_lo, v10, s42
	v_subrev_co_ci_u32_e32 v11, vcc_lo, 0, v11, vcc_lo
	s_delay_alu instid0(VALU_DEP_1)
	v_cmpx_lt_i64_e64 v[1:2], v[10:11]
	s_cbranch_execz .LBB241_57
; %bb.34:                               ;   in Loop: Header=BB241_24 Depth=2
	v_mad_u64_u32 v[26:27], null, s16, v1, v[20:21]
	v_mul_lo_u32 v3, s16, v2
	v_mul_lo_u32 v30, s17, v1
	v_mad_u64_u32 v[28:29], null, s16, v1, v[22:23]
	s_mov_b32 s52, 0
	s_delay_alu instid0(VALU_DEP_2) | instskip(NEXT) | instid1(VALU_DEP_2)
	v_add3_u32 v27, v30, v27, v3
	v_add3_u32 v29, v30, v29, v3
	v_dual_mov_b32 v31, v2 :: v_dual_mov_b32 v30, v1
	s_branch .LBB241_37
.LBB241_35:                             ;   in Loop: Header=BB241_37 Depth=3
	s_or_b32 exec_lo, exec_lo, s60
	s_delay_alu instid0(SALU_CYCLE_1)
	s_or_b32 s53, s53, exec_lo
.LBB241_36:                             ;   in Loop: Header=BB241_37 Depth=3
	s_or_b32 exec_lo, exec_lo, s59
	v_add_co_u32 v30, vcc_lo, v30, 1
	v_add_co_ci_u32_e32 v31, vcc_lo, 0, v31, vcc_lo
	v_add_co_u32 v26, s13, v26, s16
	s_xor_b32 s53, s53, -1
	s_delay_alu instid0(VALU_DEP_2)
	v_cmp_ge_i64_e32 vcc_lo, v[30:31], v[10:11]
	v_add_co_ci_u32_e64 v27, s13, s17, v27, s13
	s_or_b32 s13, s53, vcc_lo
	v_add_co_u32 v28, vcc_lo, v28, s16
	v_add_co_ci_u32_e32 v29, vcc_lo, s17, v29, vcc_lo
	s_and_b32 s13, exec_lo, s13
	s_delay_alu instid0(SALU_CYCLE_1) | instskip(NEXT) | instid1(SALU_CYCLE_1)
	s_or_b32 s52, s13, s52
	s_and_not1_b32 exec_lo, exec_lo, s52
	s_cbranch_execz .LBB241_56
.LBB241_37:                             ;   Parent Loop BB241_15 Depth=1
                                        ;     Parent Loop BB241_24 Depth=2
                                        ; =>    This Loop Header: Depth=3
                                        ;         Child Loop BB241_46 Depth 4
                                        ;         Child Loop BB241_51 Depth 4
	;; [unrolled: 1-line block ×4, first 2 shown]
	s_delay_alu instid0(VALU_DEP_1) | instskip(NEXT) | instid1(VALU_DEP_1)
	v_lshlrev_b64 v[32:33], 2, v[30:31]
                                        ; implicit-def: $sgpr53
	v_add_co_u32 v32, vcc_lo, s26, v32
	s_delay_alu instid0(VALU_DEP_2) | instskip(SKIP_3) | instid1(VALU_DEP_1)
	v_add_co_ci_u32_e32 v33, vcc_lo, s27, v33, vcc_lo
	global_load_b32 v3, v[32:33], off
	s_waitcnt vmcnt(0)
	v_subrev_nc_u32_e32 v3, s29, v3
	v_cmp_lt_i32_e64 s13, v3, v65
	v_cmp_ge_i32_e32 vcc_lo, v3, v66
	s_delay_alu instid0(VALU_DEP_2) | instskip(NEXT) | instid1(SALU_CYCLE_1)
	s_or_b32 s13, s13, vcc_lo
	s_and_saveexec_b32 s59, s13
	s_delay_alu instid0(SALU_CYCLE_1)
	s_xor_b32 s13, exec_lo, s59
	s_cbranch_execz .LBB241_41
; %bb.38:                               ;   in Loop: Header=BB241_37 Depth=3
	s_mov_b32 s53, -1
	s_and_saveexec_b32 s59, vcc_lo
; %bb.39:                               ;   in Loop: Header=BB241_37 Depth=3
	v_min_i32_e32 v67, v3, v67
	v_dual_mov_b32 v1, v30 :: v_dual_mov_b32 v2, v31
	s_xor_b32 s53, exec_lo, -1
; %bb.40:                               ;   in Loop: Header=BB241_37 Depth=3
	s_or_b32 exec_lo, exec_lo, s59
	s_delay_alu instid0(SALU_CYCLE_1)
	s_and_b32 s53, s53, exec_lo
                                        ; implicit-def: $vgpr3
.LBB241_41:                             ;   in Loop: Header=BB241_37 Depth=3
	s_and_not1_saveexec_b32 s59, s13
	s_cbranch_execz .LBB241_36
; %bb.42:                               ;   in Loop: Header=BB241_37 Depth=3
	v_sub_nc_u32_e32 v3, v3, v65
	s_delay_alu instid0(VALU_DEP_1)
	v_lshlrev_b32_e32 v32, 2, v3
	ds_store_b32 v32, v63 offset:36864
	s_and_saveexec_b32 s60, s2
	s_cbranch_execz .LBB241_35
; %bb.43:                               ;   in Loop: Header=BB241_37 Depth=3
	v_cmp_ne_u32_e64 s13, 1, v64
	s_and_not1_b32 vcc_lo, exec_lo, s36
	s_cbranch_vccnz .LBB241_48
; %bb.44:                               ;   in Loop: Header=BB241_37 Depth=3
	v_mov_b32_e32 v32, 0
	v_mov_b32_e32 v33, 0
	s_and_b32 vcc_lo, exec_lo, s13
	s_delay_alu instid0(VALU_DEP_1)
	v_dual_mov_b32 v35, v33 :: v_dual_mov_b32 v34, v32
	s_cbranch_vccnz .LBB241_47
; %bb.45:                               ;   in Loop: Header=BB241_37 Depth=3
	v_dual_mov_b32 v32, 0 :: v_dual_mov_b32 v37, v27
	v_dual_mov_b32 v33, 0 :: v_dual_mov_b32 v36, v26
	v_mov_b32_e32 v38, v60
	s_mov_b32 s13, s38
	s_delay_alu instid0(VALU_DEP_2)
	v_dual_mov_b32 v35, v33 :: v_dual_mov_b32 v34, v32
	.p2align	6
.LBB241_46:                             ;   Parent Loop BB241_15 Depth=1
                                        ;     Parent Loop BB241_24 Depth=2
                                        ;       Parent Loop BB241_37 Depth=3
                                        ; =>      This Inner Loop Header: Depth=4
	global_load_b128 v[68:71], v[36:37], off offset:-8
	ds_load_b128 v[72:75], v38
	v_add_co_u32 v36, vcc_lo, v36, 16
	v_add_nc_u32_e32 v38, 0x80, v38
	v_add_co_ci_u32_e32 v37, vcc_lo, 0, v37, vcc_lo
	s_add_i32 s13, s13, -1
	s_delay_alu instid0(SALU_CYCLE_1) | instskip(SKIP_3) | instid1(VALU_DEP_2)
	s_cmp_lg_u32 s13, 0
	s_waitcnt vmcnt(0) lgkmcnt(0)
	v_fma_f64 v[32:33], v[72:73], v[68:69], v[32:33]
	v_fma_f64 v[34:35], v[74:75], v[68:69], v[34:35]
	v_fma_f64 v[32:33], -v[74:75], v[70:71], v[32:33]
	s_delay_alu instid0(VALU_DEP_2)
	v_fma_f64 v[34:35], v[72:73], v[70:71], v[34:35]
	s_cbranch_scc1 .LBB241_46
.LBB241_47:                             ;   in Loop: Header=BB241_37 Depth=3
	s_cbranch_execz .LBB241_49
	s_branch .LBB241_52
.LBB241_48:                             ;   in Loop: Header=BB241_37 Depth=3
                                        ; implicit-def: $vgpr32_vgpr33
                                        ; implicit-def: $vgpr34_vgpr35
.LBB241_49:                             ;   in Loop: Header=BB241_37 Depth=3
	v_mov_b32_e32 v32, 0
	v_mov_b32_e32 v33, 0
	s_and_not1_b32 vcc_lo, exec_lo, s43
	s_delay_alu instid0(VALU_DEP_1)
	v_dual_mov_b32 v35, v33 :: v_dual_mov_b32 v34, v32
	s_cbranch_vccnz .LBB241_52
; %bb.50:                               ;   in Loop: Header=BB241_37 Depth=3
	v_dual_mov_b32 v32, 0 :: v_dual_mov_b32 v37, v29
	v_dual_mov_b32 v33, 0 :: v_dual_mov_b32 v38, v61
	v_mov_b32_e32 v36, v28
	s_mov_b32 s13, s38
	s_delay_alu instid0(VALU_DEP_2)
	v_dual_mov_b32 v35, v33 :: v_dual_mov_b32 v34, v32
	.p2align	6
.LBB241_51:                             ;   Parent Loop BB241_15 Depth=1
                                        ;     Parent Loop BB241_24 Depth=2
                                        ;       Parent Loop BB241_37 Depth=3
                                        ; =>      This Inner Loop Header: Depth=4
	global_load_b128 v[68:71], v[36:37], off offset:-8
	ds_load_b128 v[72:75], v38
	v_add_co_u32 v36, vcc_lo, v36, s22
	v_add_co_ci_u32_e32 v37, vcc_lo, s23, v37, vcc_lo
	v_add_nc_u32_e32 v38, 16, v38
	s_add_i32 s13, s13, -1
	s_delay_alu instid0(SALU_CYCLE_1) | instskip(SKIP_3) | instid1(VALU_DEP_2)
	s_cmp_eq_u32 s13, 0
	s_waitcnt vmcnt(0) lgkmcnt(0)
	v_fma_f64 v[32:33], v[72:73], v[68:69], v[32:33]
	v_fma_f64 v[34:35], v[74:75], v[68:69], v[34:35]
	v_fma_f64 v[32:33], -v[74:75], v[70:71], v[32:33]
	s_delay_alu instid0(VALU_DEP_2)
	v_fma_f64 v[34:35], v[72:73], v[70:71], v[34:35]
	s_cbranch_scc0 .LBB241_51
.LBB241_52:                             ;   in Loop: Header=BB241_37 Depth=3
	s_delay_alu instid0(VALU_DEP_1) | instskip(SKIP_2) | instid1(VALU_DEP_1)
	v_mul_f64 v[36:37], v[34:35], -v[16:17]
	v_lshlrev_b32_e32 v3, 6, v3
	s_mov_b32 s13, 0
	v_or3_b32 v3, v3, v46, v41
	s_delay_alu instid0(VALU_DEP_1)
	v_lshlrev_b32_e32 v3, 4, v3
	ds_load_b64 v[38:39], v3
	v_fma_f64 v[36:37], v[14:15], v[32:33], v[36:37]
.LBB241_53:                             ;   Parent Loop BB241_15 Depth=1
                                        ;     Parent Loop BB241_24 Depth=2
                                        ;       Parent Loop BB241_37 Depth=3
                                        ; =>      This Inner Loop Header: Depth=4
	s_waitcnt lgkmcnt(0)
	s_delay_alu instid0(VALU_DEP_1)
	v_add_f64 v[68:69], v[38:39], v[36:37]
	ds_cmpstore_rtn_b64 v[68:69], v3, v[68:69], v[38:39]
	s_waitcnt lgkmcnt(0)
	v_cmp_eq_u64_e32 vcc_lo, v[68:69], v[38:39]
	v_dual_mov_b32 v38, v68 :: v_dual_mov_b32 v39, v69
	s_or_b32 s13, vcc_lo, s13
	s_delay_alu instid0(SALU_CYCLE_1)
	s_and_not1_b32 exec_lo, exec_lo, s13
	s_cbranch_execnz .LBB241_53
; %bb.54:                               ;   in Loop: Header=BB241_37 Depth=3
	s_or_b32 exec_lo, exec_lo, s13
	v_mul_f64 v[34:35], v[14:15], v[34:35]
	s_mov_b32 s13, 0
	s_delay_alu instid0(VALU_DEP_1)
	v_fma_f64 v[32:33], v[16:17], v[32:33], v[34:35]
	ds_load_b64 v[34:35], v3 offset:8
.LBB241_55:                             ;   Parent Loop BB241_15 Depth=1
                                        ;     Parent Loop BB241_24 Depth=2
                                        ;       Parent Loop BB241_37 Depth=3
                                        ; =>      This Inner Loop Header: Depth=4
	s_waitcnt lgkmcnt(0)
	v_add_f64 v[36:37], v[34:35], v[32:33]
	ds_cmpstore_rtn_b64 v[36:37], v3, v[36:37], v[34:35] offset:8
	s_waitcnt lgkmcnt(0)
	v_cmp_eq_u64_e32 vcc_lo, v[36:37], v[34:35]
	v_dual_mov_b32 v34, v36 :: v_dual_mov_b32 v35, v37
	s_or_b32 s13, vcc_lo, s13
	s_delay_alu instid0(SALU_CYCLE_1)
	s_and_not1_b32 exec_lo, exec_lo, s13
	s_cbranch_execnz .LBB241_55
	s_branch .LBB241_35
.LBB241_56:                             ;   in Loop: Header=BB241_24 Depth=2
	s_or_b32 exec_lo, exec_lo, s52
.LBB241_57:                             ;   in Loop: Header=BB241_24 Depth=2
	s_delay_alu instid0(SALU_CYCLE_1)
	s_or_b32 exec_lo, exec_lo, s49
.LBB241_58:                             ;   in Loop: Header=BB241_24 Depth=2
	s_delay_alu instid0(SALU_CYCLE_1)
	s_or_b32 exec_lo, exec_lo, s39
	s_waitcnt lgkmcnt(0)
	s_barrier
	buffer_gl0_inv
	s_and_saveexec_b32 s13, s12
	s_cbranch_execz .LBB241_23
; %bb.59:                               ;   in Loop: Header=BB241_24 Depth=2
	v_lshlrev_b64 v[8:9], 3, v[8:9]
	s_delay_alu instid0(VALU_DEP_1) | instskip(NEXT) | instid1(VALU_DEP_2)
	v_add_co_u32 v8, vcc_lo, s46, v8
	v_add_co_ci_u32_e32 v9, vcc_lo, s47, v9, vcc_lo
	global_store_b64 v[8:9], v[1:2], off
	s_branch .LBB241_23
.LBB241_60:                             ;   in Loop: Header=BB241_24 Depth=2
                                        ; implicit-def: $vgpr1_vgpr2
	s_branch .LBB241_32
.LBB241_61:                             ;   in Loop: Header=BB241_15 Depth=1
	s_and_not1_b32 vcc_lo, exec_lo, s33
	s_cbranch_vccnz .LBB241_76
; %bb.62:                               ;   in Loop: Header=BB241_15 Depth=1
	s_load_b128 s[60:63], s[18:19], 0x0
	s_mov_b32 s13, exec_lo
	s_waitcnt lgkmcnt(0)
	v_add_co_u32 v1, vcc_lo, s60, v47
	v_add_co_ci_u32_e32 v2, vcc_lo, s61, v48, vcc_lo
	s_sub_u32 s40, s62, s50
	s_subb_u32 s41, s63, 0
	s_delay_alu instid0(VALU_DEP_1) | instid1(SALU_CYCLE_1)
	v_cmpx_gt_i64_e64 s[40:41], v[1:2]
	s_cbranch_execz .LBB241_75
; %bb.63:                               ;   in Loop: Header=BB241_15 Depth=1
	s_mov_b32 s39, 0
	s_branch .LBB241_66
.LBB241_64:                             ;   in Loop: Header=BB241_66 Depth=2
	s_or_b32 exec_lo, exec_lo, s49
	s_delay_alu instid0(SALU_CYCLE_1)
	s_or_b32 s11, s11, exec_lo
.LBB241_65:                             ;   in Loop: Header=BB241_66 Depth=2
	s_or_b32 exec_lo, exec_lo, s12
	v_add_co_u32 v1, vcc_lo, v1, 4
	v_add_co_ci_u32_e32 v2, vcc_lo, 0, v2, vcc_lo
	s_xor_b32 s11, s11, -1
	s_delay_alu instid0(VALU_DEP_1) | instskip(SKIP_1) | instid1(SALU_CYCLE_1)
	v_cmp_le_i64_e32 vcc_lo, s[40:41], v[1:2]
	s_or_b32 s11, s11, vcc_lo
	s_and_b32 s11, exec_lo, s11
	s_delay_alu instid0(SALU_CYCLE_1) | instskip(NEXT) | instid1(SALU_CYCLE_1)
	s_or_b32 s39, s11, s39
	s_and_not1_b32 exec_lo, exec_lo, s39
	s_cbranch_execz .LBB241_74
.LBB241_66:                             ;   Parent Loop BB241_15 Depth=1
                                        ; =>  This Loop Header: Depth=2
                                        ;       Child Loop BB241_71 Depth 3
                                        ;       Child Loop BB241_73 Depth 3
	v_lshlrev_b64 v[8:9], 2, v[1:2]
	s_delay_alu instid0(VALU_DEP_1) | instskip(NEXT) | instid1(VALU_DEP_2)
	v_add_co_u32 v8, vcc_lo, s14, v8
	v_add_co_ci_u32_e32 v9, vcc_lo, s15, v9, vcc_lo
	global_load_b32 v3, v[8:9], off
	s_waitcnt vmcnt(0)
	v_subrev_nc_u32_e32 v3, s31, v3
	s_delay_alu instid0(VALU_DEP_1) | instskip(SKIP_2) | instid1(VALU_DEP_2)
	v_cmp_lt_i32_e64 s11, v3, v65
	v_cmp_ge_i32_e64 s12, v3, v66
	v_cmp_lt_i32_e32 vcc_lo, v3, v66
	s_or_b32 s12, s11, s12
                                        ; implicit-def: $sgpr11
	s_delay_alu instid0(SALU_CYCLE_1) | instskip(NEXT) | instid1(SALU_CYCLE_1)
	s_and_saveexec_b32 s49, s12
	s_xor_b32 s12, exec_lo, s49
; %bb.67:                               ;   in Loop: Header=BB241_66 Depth=2
	v_min_i32_e32 v3, v3, v67
	s_and_b32 s11, vcc_lo, exec_lo
	s_delay_alu instid0(VALU_DEP_1)
	v_cndmask_b32_e32 v67, v3, v67, vcc_lo
                                        ; implicit-def: $vgpr3
; %bb.68:                               ;   in Loop: Header=BB241_66 Depth=2
	s_and_not1_saveexec_b32 s12, s12
	s_cbranch_execz .LBB241_65
; %bb.69:                               ;   in Loop: Header=BB241_66 Depth=2
	v_sub_nc_u32_e32 v3, v3, v65
	s_delay_alu instid0(VALU_DEP_1)
	v_lshlrev_b32_e32 v8, 2, v3
	ds_store_b32 v8, v63 offset:36864
	s_and_saveexec_b32 s49, s2
	s_cbranch_execz .LBB241_64
; %bb.70:                               ;   in Loop: Header=BB241_66 Depth=2
	v_mad_u64_u32 v[8:9], null, v1, s48, 0
	v_lshlrev_b32_e32 v3, 6, v3
	s_mov_b32 s52, 0
	s_delay_alu instid0(VALU_DEP_1) | instskip(NEXT) | instid1(VALU_DEP_3)
	v_or3_b32 v3, v3, v46, v41
	v_mad_u64_u32 v[10:11], null, v2, s48, v[9:10]
	s_delay_alu instid0(VALU_DEP_2) | instskip(NEXT) | instid1(VALU_DEP_2)
	v_lshlrev_b32_e32 v3, 4, v3
	v_mov_b32_e32 v9, v10
	ds_load_b64 v[28:29], v3
	v_lshlrev_b64 v[8:9], 4, v[8:9]
	s_delay_alu instid0(VALU_DEP_1) | instskip(NEXT) | instid1(VALU_DEP_2)
	v_add_co_u32 v8, vcc_lo, v59, v8
	v_add_co_ci_u32_e32 v9, vcc_lo, v58, v9, vcc_lo
	global_load_b128 v[8:11], v[8:9], off
	s_waitcnt vmcnt(0)
	v_mul_f64 v[26:27], v[10:11], -v[12:13]
	s_delay_alu instid0(VALU_DEP_1)
	v_fma_f64 v[26:27], v[18:19], v[8:9], v[26:27]
.LBB241_71:                             ;   Parent Loop BB241_15 Depth=1
                                        ;     Parent Loop BB241_66 Depth=2
                                        ; =>    This Inner Loop Header: Depth=3
	s_waitcnt lgkmcnt(0)
	s_delay_alu instid0(VALU_DEP_1)
	v_add_f64 v[30:31], v[28:29], v[26:27]
	ds_cmpstore_rtn_b64 v[30:31], v3, v[30:31], v[28:29]
	s_waitcnt lgkmcnt(0)
	v_cmp_eq_u64_e32 vcc_lo, v[30:31], v[28:29]
	v_dual_mov_b32 v28, v30 :: v_dual_mov_b32 v29, v31
	s_or_b32 s52, vcc_lo, s52
	s_delay_alu instid0(SALU_CYCLE_1)
	s_and_not1_b32 exec_lo, exec_lo, s52
	s_cbranch_execnz .LBB241_71
; %bb.72:                               ;   in Loop: Header=BB241_66 Depth=2
	s_or_b32 exec_lo, exec_lo, s52
	v_mul_f64 v[10:11], v[18:19], v[10:11]
	s_mov_b32 s52, 0
	s_delay_alu instid0(VALU_DEP_1)
	v_fma_f64 v[8:9], v[12:13], v[8:9], v[10:11]
	ds_load_b64 v[10:11], v3 offset:8
.LBB241_73:                             ;   Parent Loop BB241_15 Depth=1
                                        ;     Parent Loop BB241_66 Depth=2
                                        ; =>    This Inner Loop Header: Depth=3
	s_waitcnt lgkmcnt(0)
	v_add_f64 v[26:27], v[10:11], v[8:9]
	ds_cmpstore_rtn_b64 v[26:27], v3, v[26:27], v[10:11] offset:8
	s_waitcnt lgkmcnt(0)
	v_cmp_eq_u64_e32 vcc_lo, v[26:27], v[10:11]
	v_dual_mov_b32 v10, v26 :: v_dual_mov_b32 v11, v27
	s_or_b32 s52, vcc_lo, s52
	s_delay_alu instid0(SALU_CYCLE_1)
	s_and_not1_b32 exec_lo, exec_lo, s52
	s_cbranch_execnz .LBB241_73
	s_branch .LBB241_64
.LBB241_74:                             ;   in Loop: Header=BB241_15 Depth=1
	s_or_b32 exec_lo, exec_lo, s39
.LBB241_75:                             ;   in Loop: Header=BB241_15 Depth=1
	s_delay_alu instid0(SALU_CYCLE_1)
	s_or_b32 exec_lo, exec_lo, s13
.LBB241_76:                             ;   in Loop: Header=BB241_15 Depth=1
	s_and_saveexec_b32 s11, s4
	s_cbranch_execz .LBB241_81
; %bb.77:                               ;   in Loop: Header=BB241_15 Depth=1
	s_mov_b32 s13, exec_lo
	s_brev_b32 s12, -2
.LBB241_78:                             ;   Parent Loop BB241_15 Depth=1
                                        ; =>  This Inner Loop Header: Depth=2
	s_ctz_i32_b32 s39, s13
	s_delay_alu instid0(SALU_CYCLE_1) | instskip(SKIP_1) | instid1(SALU_CYCLE_1)
	v_readlane_b32 s40, v67, s39
	s_lshl_b32 s39, 1, s39
	s_and_not1_b32 s13, s13, s39
	s_delay_alu instid0(VALU_DEP_1)
	s_min_i32 s12, s12, s40
	s_cmp_lg_u32 s13, 0
	s_cbranch_scc1 .LBB241_78
; %bb.79:                               ;   in Loop: Header=BB241_15 Depth=1
	v_mbcnt_lo_u32_b32 v1, exec_lo, 0
	s_mov_b32 s13, exec_lo
	s_delay_alu instid0(VALU_DEP_1)
	v_cmpx_eq_u32_e32 0, v1
	s_xor_b32 s13, exec_lo, s13
	s_cbranch_execz .LBB241_81
; %bb.80:                               ;   in Loop: Header=BB241_15 Depth=1
	v_mov_b32_e32 v1, s12
	ds_min_i32 v0, v1 offset:36992
.LBB241_81:                             ;   in Loop: Header=BB241_15 Depth=1
	s_or_b32 exec_lo, exec_lo, s11
	s_waitcnt lgkmcnt(0)
	s_waitcnt_vscnt null, 0x0
	s_barrier
	buffer_gl0_inv
	ds_load_b32 v2, v49
	s_waitcnt lgkmcnt(0)
	s_barrier
	buffer_gl0_inv
	s_and_saveexec_b32 s11, s5
	s_cbranch_execz .LBB241_83
; %bb.82:                               ;   in Loop: Header=BB241_15 Depth=1
	ds_load_b32 v1, v50
	s_waitcnt lgkmcnt(0)
	v_add_nc_u32_e32 v2, v1, v2
.LBB241_83:                             ;   in Loop: Header=BB241_15 Depth=1
	s_or_b32 exec_lo, exec_lo, s11
	s_barrier
	buffer_gl0_inv
	ds_store_b32 v49, v2
	s_waitcnt lgkmcnt(0)
	s_barrier
	buffer_gl0_inv
	s_and_saveexec_b32 s11, s6
	s_cbranch_execz .LBB241_85
; %bb.84:                               ;   in Loop: Header=BB241_15 Depth=1
	ds_load_b32 v1, v52
	s_waitcnt lgkmcnt(0)
	v_add_nc_u32_e32 v2, v1, v2
.LBB241_85:                             ;   in Loop: Header=BB241_15 Depth=1
	s_or_b32 exec_lo, exec_lo, s11
	s_barrier
	buffer_gl0_inv
	ds_store_b32 v49, v2
	;; [unrolled: 14-line block ×5, first 2 shown]
	s_waitcnt lgkmcnt(0)
	s_barrier
	buffer_gl0_inv
	ds_load_b32 v1, v0 offset:36988
	v_mov_b32_e32 v3, 0
	s_and_saveexec_b32 s11, s51
	s_cbranch_execz .LBB241_93
; %bb.92:                               ;   in Loop: Header=BB241_15 Depth=1
	ds_load_b32 v3, v50
.LBB241_93:                             ;   in Loop: Header=BB241_15 Depth=1
	s_or_b32 exec_lo, exec_lo, s11
	s_waitcnt lgkmcnt(0)
	v_cmp_eq_u32_e32 vcc_lo, v2, v3
	s_barrier
	buffer_gl0_inv
	s_and_b32 s12, s51, vcc_lo
	s_delay_alu instid0(SALU_CYCLE_1)
	s_and_saveexec_b32 s11, s12
	s_cbranch_execz .LBB241_95
; %bb.94:                               ;   in Loop: Header=BB241_15 Depth=1
	ds_store_b32 v49, v0
.LBB241_95:                             ;   in Loop: Header=BB241_15 Depth=1
	s_or_b32 exec_lo, exec_lo, s11
	v_add_co_u32 v2, vcc_lo, v24, -1
	v_add_co_ci_u32_e32 v3, vcc_lo, -1, v25, vcc_lo
	v_dual_mov_b32 v9, v62 :: v_dual_add_nc_u32 v8, s30, v65
	v_dual_mov_b32 v10, v42 :: v_dual_mov_b32 v11, v40
	s_mov_b32 s11, 0
	s_waitcnt lgkmcnt(0)
	s_barrier
	buffer_gl0_inv
	s_set_inst_prefetch_distance 0x1
	s_branch .LBB241_97
	.p2align	6
.LBB241_96:                             ;   in Loop: Header=BB241_97 Depth=2
	s_or_b32 exec_lo, exec_lo, s12
	v_add_nc_u32_e32 v26, 4, v11
	v_cmp_lt_u32_e32 vcc_lo, 27, v11
	v_add_nc_u32_e32 v10, 0x1000, v10
	v_add_nc_u32_e32 v9, 16, v9
	s_delay_alu instid0(VALU_DEP_4) | instskip(SKIP_1) | instid1(SALU_CYCLE_1)
	v_mov_b32_e32 v11, v26
	s_or_b32 s11, vcc_lo, s11
	s_and_not1_b32 exec_lo, exec_lo, s11
	s_cbranch_execz .LBB241_14
.LBB241_97:                             ;   Parent Loop BB241_15 Depth=1
                                        ; =>  This Inner Loop Header: Depth=2
	ds_load_b32 v26, v9
	s_mov_b32 s12, exec_lo
	s_waitcnt lgkmcnt(0)
	v_cmpx_ne_u32_e32 0, v26
	s_cbranch_execz .LBB241_96
; %bb.98:                               ;   in Loop: Header=BB241_97 Depth=2
	v_ashrrev_i32_e32 v27, 31, v26
	v_add_co_u32 v28, vcc_lo, v24, v26
	v_add_nc_u32_e32 v30, v8, v11
	s_delay_alu instid0(VALU_DEP_3) | instskip(NEXT) | instid1(VALU_DEP_1)
	v_add_co_ci_u32_e32 v29, vcc_lo, v25, v27, vcc_lo
	v_lshlrev_b64 v[28:29], 2, v[28:29]
	s_delay_alu instid0(VALU_DEP_1) | instskip(NEXT) | instid1(VALU_DEP_2)
	v_add_co_u32 v28, vcc_lo, s57, v28
	v_add_co_ci_u32_e32 v29, vcc_lo, s58, v29, vcc_lo
	global_store_b32 v[28:29], v30, off
	s_and_b32 exec_lo, exec_lo, s2
	s_cbranch_execz .LBB241_96
; %bb.99:                               ;   in Loop: Header=BB241_97 Depth=2
	v_add_co_u32 v26, vcc_lo, v2, v26
	v_add_co_ci_u32_e32 v27, vcc_lo, v3, v27, vcc_lo
	s_delay_alu instid0(VALU_DEP_2) | instskip(NEXT) | instid1(VALU_DEP_1)
	v_mad_u64_u32 v[30:31], null, v26, s48, 0
	v_mov_b32_e32 v26, v31
	s_delay_alu instid0(VALU_DEP_1) | instskip(SKIP_2) | instid1(VALU_DEP_1)
	v_mad_u64_u32 v[31:32], null, v27, s48, v[26:27]
	ds_load_2addr_b64 v[26:29], v10 offset1:1
	v_lshlrev_b64 v[30:31], 4, v[30:31]
	v_add_co_u32 v30, vcc_lo, v57, v30
	s_delay_alu instid0(VALU_DEP_2)
	v_add_co_ci_u32_e32 v31, vcc_lo, v56, v31, vcc_lo
	s_waitcnt lgkmcnt(0)
	global_store_b128 v[30:31], v[26:29], off
	s_branch .LBB241_96
.LBB241_100:
	s_endpgm
	.section	.rodata,"a",@progbits
	.p2align	6, 0x0
	.amdhsa_kernel _ZN9rocsparseL38bsrgemm_block_per_row_atomic_multipassILj256ELj32ELj8Eli21rocsparse_complex_numIdEEEv20rocsparse_direction_T3_S4_PKS4_S6_NS_24const_host_device_scalarIT4_EEPKT2_S6_PKS8_SC_S6_SE_S9_SC_S6_SE_SC_PS4_PS8_PSA_21rocsparse_index_base_SI_SI_SI_bbb
		.amdhsa_group_segment_fixed_size 41096
		.amdhsa_private_segment_fixed_size 0
		.amdhsa_kernarg_size 188
		.amdhsa_user_sgpr_count 15
		.amdhsa_user_sgpr_dispatch_ptr 1
		.amdhsa_user_sgpr_queue_ptr 0
		.amdhsa_user_sgpr_kernarg_segment_ptr 1
		.amdhsa_user_sgpr_dispatch_id 0
		.amdhsa_user_sgpr_private_segment_size 0
		.amdhsa_wavefront_size32 1
		.amdhsa_uses_dynamic_stack 0
		.amdhsa_enable_private_segment 0
		.amdhsa_system_sgpr_workgroup_id_x 1
		.amdhsa_system_sgpr_workgroup_id_y 0
		.amdhsa_system_sgpr_workgroup_id_z 0
		.amdhsa_system_sgpr_workgroup_info 0
		.amdhsa_system_vgpr_workitem_id 2
		.amdhsa_next_free_vgpr 76
		.amdhsa_next_free_sgpr 64
		.amdhsa_reserve_vcc 1
		.amdhsa_float_round_mode_32 0
		.amdhsa_float_round_mode_16_64 0
		.amdhsa_float_denorm_mode_32 3
		.amdhsa_float_denorm_mode_16_64 3
		.amdhsa_dx10_clamp 1
		.amdhsa_ieee_mode 1
		.amdhsa_fp16_overflow 0
		.amdhsa_workgroup_processor_mode 1
		.amdhsa_memory_ordered 1
		.amdhsa_forward_progress 0
		.amdhsa_shared_vgpr_count 0
		.amdhsa_exception_fp_ieee_invalid_op 0
		.amdhsa_exception_fp_denorm_src 0
		.amdhsa_exception_fp_ieee_div_zero 0
		.amdhsa_exception_fp_ieee_overflow 0
		.amdhsa_exception_fp_ieee_underflow 0
		.amdhsa_exception_fp_ieee_inexact 0
		.amdhsa_exception_int_div_zero 0
	.end_amdhsa_kernel
	.section	.text._ZN9rocsparseL38bsrgemm_block_per_row_atomic_multipassILj256ELj32ELj8Eli21rocsparse_complex_numIdEEEv20rocsparse_direction_T3_S4_PKS4_S6_NS_24const_host_device_scalarIT4_EEPKT2_S6_PKS8_SC_S6_SE_S9_SC_S6_SE_SC_PS4_PS8_PSA_21rocsparse_index_base_SI_SI_SI_bbb,"axG",@progbits,_ZN9rocsparseL38bsrgemm_block_per_row_atomic_multipassILj256ELj32ELj8Eli21rocsparse_complex_numIdEEEv20rocsparse_direction_T3_S4_PKS4_S6_NS_24const_host_device_scalarIT4_EEPKT2_S6_PKS8_SC_S6_SE_S9_SC_S6_SE_SC_PS4_PS8_PSA_21rocsparse_index_base_SI_SI_SI_bbb,comdat
.Lfunc_end241:
	.size	_ZN9rocsparseL38bsrgemm_block_per_row_atomic_multipassILj256ELj32ELj8Eli21rocsparse_complex_numIdEEEv20rocsparse_direction_T3_S4_PKS4_S6_NS_24const_host_device_scalarIT4_EEPKT2_S6_PKS8_SC_S6_SE_S9_SC_S6_SE_SC_PS4_PS8_PSA_21rocsparse_index_base_SI_SI_SI_bbb, .Lfunc_end241-_ZN9rocsparseL38bsrgemm_block_per_row_atomic_multipassILj256ELj32ELj8Eli21rocsparse_complex_numIdEEEv20rocsparse_direction_T3_S4_PKS4_S6_NS_24const_host_device_scalarIT4_EEPKT2_S6_PKS8_SC_S6_SE_S9_SC_S6_SE_SC_PS4_PS8_PSA_21rocsparse_index_base_SI_SI_SI_bbb
                                        ; -- End function
	.section	.AMDGPU.csdata,"",@progbits
; Kernel info:
; codeLenInByte = 4464
; NumSgprs: 66
; NumVgprs: 76
; ScratchSize: 0
; MemoryBound: 0
; FloatMode: 240
; IeeeMode: 1
; LDSByteSize: 41096 bytes/workgroup (compile time only)
; SGPRBlocks: 8
; VGPRBlocks: 9
; NumSGPRsForWavesPerEU: 66
; NumVGPRsForWavesPerEU: 76
; Occupancy: 6
; WaveLimiterHint : 1
; COMPUTE_PGM_RSRC2:SCRATCH_EN: 0
; COMPUTE_PGM_RSRC2:USER_SGPR: 15
; COMPUTE_PGM_RSRC2:TRAP_HANDLER: 0
; COMPUTE_PGM_RSRC2:TGID_X_EN: 1
; COMPUTE_PGM_RSRC2:TGID_Y_EN: 0
; COMPUTE_PGM_RSRC2:TGID_Z_EN: 0
; COMPUTE_PGM_RSRC2:TIDIG_COMP_CNT: 2
	.section	.text._ZN9rocsparseL31bsrgemm_block_per_row_multipassILj256ELj8ELj16Eli21rocsparse_complex_numIdEEEv20rocsparse_direction_T3_S4_PKS4_S6_NS_24const_host_device_scalarIT4_EEPKT2_S6_PKS8_SC_S6_SE_S9_SC_S6_SE_SC_PS4_PS8_PSA_21rocsparse_index_base_SI_SI_SI_bbb,"axG",@progbits,_ZN9rocsparseL31bsrgemm_block_per_row_multipassILj256ELj8ELj16Eli21rocsparse_complex_numIdEEEv20rocsparse_direction_T3_S4_PKS4_S6_NS_24const_host_device_scalarIT4_EEPKT2_S6_PKS8_SC_S6_SE_S9_SC_S6_SE_SC_PS4_PS8_PSA_21rocsparse_index_base_SI_SI_SI_bbb,comdat
	.globl	_ZN9rocsparseL31bsrgemm_block_per_row_multipassILj256ELj8ELj16Eli21rocsparse_complex_numIdEEEv20rocsparse_direction_T3_S4_PKS4_S6_NS_24const_host_device_scalarIT4_EEPKT2_S6_PKS8_SC_S6_SE_S9_SC_S6_SE_SC_PS4_PS8_PSA_21rocsparse_index_base_SI_SI_SI_bbb ; -- Begin function _ZN9rocsparseL31bsrgemm_block_per_row_multipassILj256ELj8ELj16Eli21rocsparse_complex_numIdEEEv20rocsparse_direction_T3_S4_PKS4_S6_NS_24const_host_device_scalarIT4_EEPKT2_S6_PKS8_SC_S6_SE_S9_SC_S6_SE_SC_PS4_PS8_PSA_21rocsparse_index_base_SI_SI_SI_bbb
	.p2align	8
	.type	_ZN9rocsparseL31bsrgemm_block_per_row_multipassILj256ELj8ELj16Eli21rocsparse_complex_numIdEEEv20rocsparse_direction_T3_S4_PKS4_S6_NS_24const_host_device_scalarIT4_EEPKT2_S6_PKS8_SC_S6_SE_S9_SC_S6_SE_SC_PS4_PS8_PSA_21rocsparse_index_base_SI_SI_SI_bbb,@function
_ZN9rocsparseL31bsrgemm_block_per_row_multipassILj256ELj8ELj16Eli21rocsparse_complex_numIdEEEv20rocsparse_direction_T3_S4_PKS4_S6_NS_24const_host_device_scalarIT4_EEPKT2_S6_PKS8_SC_S6_SE_S9_SC_S6_SE_SC_PS4_PS8_PSA_21rocsparse_index_base_SI_SI_SI_bbb: ; @_ZN9rocsparseL31bsrgemm_block_per_row_multipassILj256ELj8ELj16Eli21rocsparse_complex_numIdEEEv20rocsparse_direction_T3_S4_PKS4_S6_NS_24const_host_device_scalarIT4_EEPKT2_S6_PKS8_SC_S6_SE_S9_SC_S6_SE_SC_PS4_PS8_PSA_21rocsparse_index_base_SI_SI_SI_bbb
; %bb.0:
	s_mov_b32 s42, s15
	s_load_b32 s12, s[2:3], 0xb8
	s_load_b64 s[14:15], s[0:1], 0x4
	v_and_b32_e32 v42, 0x3ff, v0
	s_clause 0x1
	s_load_b128 s[8:11], s[2:3], 0x20
	s_load_b128 s[4:7], s[2:3], 0x60
	v_mov_b32_e32 v6, 0
	v_mov_b32_e32 v7, 0
	v_bfe_u32 v2, v0, 10, 10
	s_load_b128 s[20:23], s[2:3], 0xa8
	v_bfe_u32 v0, v0, 20, 10
	s_delay_alu instid0(VALU_DEP_3)
	v_dual_mov_b32 v4, v6 :: v_dual_mov_b32 v5, v7
	v_dual_mov_b32 v9, v7 :: v_dual_mov_b32 v8, v6
	s_waitcnt lgkmcnt(0)
	s_bitcmp1_b32 s12, 0
	s_cselect_b32 s49, -1, 0
	s_bitcmp1_b32 s12, 16
	v_mov_b32_e32 v11, s5
	s_cselect_b32 s0, -1, 0
	s_lshr_b32 s1, s14, 16
	s_delay_alu instid0(SALU_CYCLE_1) | instskip(NEXT) | instid1(SALU_CYCLE_1)
	s_mul_i32 s1, s1, s15
	v_mul_lo_u32 v1, s1, v42
	s_xor_b32 s1, s0, -1
	s_bitcmp0_b32 s12, 0
	s_delay_alu instid0(VALU_DEP_1) | instskip(NEXT) | instid1(VALU_DEP_1)
	v_mad_u32_u24 v1, v2, s15, v1
	v_add_lshl_u32 v0, v1, v0, 3
	v_dual_mov_b32 v1, s8 :: v_dual_mov_b32 v2, s9
	s_delay_alu instid0(VALU_DEP_2)
	v_dual_mov_b32 v10, s4 :: v_dual_add_nc_u32 v3, 8, v0
	ds_store_2addr_stride64_b64 v3, v[10:11], v[1:2] offset0:64 offset1:68
	s_cbranch_scc1 .LBB242_3
; %bb.1:
	s_mov_b64 s[14:15], src_shared_base
	s_and_b32 s13, s0, exec_lo
	s_cselect_b32 s13, s15, s9
	s_delay_alu instid0(SALU_CYCLE_1) | instskip(SKIP_2) | instid1(VALU_DEP_2)
	v_dual_mov_b32 v2, s13 :: v_dual_add_nc_u32 v1, 0x8808, v0
	v_dual_mov_b32 v8, s10 :: v_dual_mov_b32 v9, s11
	s_and_not1_b32 vcc_lo, exec_lo, s1
	v_cndmask_b32_e64 v1, s8, v1, s0
	flat_load_b64 v[4:5], v[1:2]
	s_cbranch_vccnz .LBB242_3
; %bb.2:
	v_dual_mov_b32 v1, s8 :: v_dual_mov_b32 v2, s9
	flat_load_b64 v[8:9], v[1:2] offset:8
.LBB242_3:
	s_load_b64 s[8:9], s[2:3], 0x18
	s_bitcmp1_b32 s12, 8
	v_dual_mov_b32 v11, v7 :: v_dual_mov_b32 v10, v6
	s_cselect_b32 s33, -1, 0
	s_bfe_u32 s10, s12, 0x10008
	s_delay_alu instid0(SALU_CYCLE_1)
	s_cmp_eq_u32 s10, 0
	s_cbranch_scc1 .LBB242_6
; %bb.4:
	s_mov_b64 s[10:11], src_shared_base
	s_and_b32 s10, s0, exec_lo
	s_cselect_b32 s10, s11, s5
	s_delay_alu instid0(SALU_CYCLE_1) | instskip(SKIP_2) | instid1(VALU_DEP_2)
	v_dual_mov_b32 v1, s10 :: v_dual_add_nc_u32 v0, 0x8008, v0
	v_dual_mov_b32 v6, s6 :: v_dual_mov_b32 v7, s7
	s_and_not1_b32 vcc_lo, exec_lo, s1
	v_cndmask_b32_e64 v0, s4, v0, s0
	flat_load_b64 v[10:11], v[0:1]
	s_cbranch_vccnz .LBB242_6
; %bb.5:
	v_dual_mov_b32 v0, s4 :: v_dual_mov_b32 v1, s5
	flat_load_b64 v[6:7], v[0:1] offset:8
.LBB242_6:
	s_load_b64 s[0:1], s[2:3], 0x30
	s_waitcnt lgkmcnt(0)
	s_cmp_eq_u64 s[8:9], 0
	s_cbranch_scc1 .LBB242_8
; %bb.7:
	s_load_b64 s[4:5], s[2:3], 0x10
	s_waitcnt lgkmcnt(0)
	s_load_b32 s4, s[4:5], 0x0
	s_mov_b32 s5, 0
	s_waitcnt lgkmcnt(0)
	s_add_i32 s4, s4, s42
	s_delay_alu instid0(SALU_CYCLE_1) | instskip(NEXT) | instid1(SALU_CYCLE_1)
	s_lshl_b64 s[4:5], s[4:5], 2
	s_add_u32 s4, s8, s4
	s_addc_u32 s5, s9, s5
	s_load_b32 s42, s[4:5], 0x0
.LBB242_8:
	s_mov_b64 s[34:35], 0
	s_and_not1_b32 vcc_lo, exec_lo, s49
	s_mov_b64 s[36:37], 0
	s_cbranch_vccz .LBB242_11
; %bb.9:
	s_and_not1_b32 vcc_lo, exec_lo, s49
	s_cbranch_vccz .LBB242_12
.LBB242_10:
	s_load_b128 s[24:27], s[2:3], 0x0
	s_waitcnt lgkmcnt(0)
	s_cmp_lt_i32 s25, 1
	s_cbranch_scc0 .LBB242_13
	s_branch .LBB242_96
.LBB242_11:
	s_waitcnt lgkmcnt(0)
	s_ashr_i32 s43, s42, 31
	s_delay_alu instid0(SALU_CYCLE_1) | instskip(NEXT) | instid1(SALU_CYCLE_1)
	s_lshl_b64 s[4:5], s[42:43], 3
	s_add_u32 s4, s0, s4
	s_addc_u32 s5, s1, s5
	s_load_b64 s[4:5], s[4:5], 0x0
	s_waitcnt lgkmcnt(0)
	s_sub_u32 s36, s4, s20
	s_subb_u32 s37, s5, 0
	s_and_not1_b32 vcc_lo, exec_lo, s49
	s_cbranch_vccnz .LBB242_10
.LBB242_12:
	s_waitcnt lgkmcnt(0)
	s_ashr_i32 s43, s42, 31
	s_delay_alu instid0(SALU_CYCLE_1) | instskip(NEXT) | instid1(SALU_CYCLE_1)
	s_lshl_b64 s[4:5], s[42:43], 3
	s_add_u32 s0, s0, s4
	s_addc_u32 s1, s1, s5
	s_load_b64 s[0:1], s[0:1], 0x8
	s_waitcnt lgkmcnt(0)
	s_sub_u32 s34, s0, s20
	s_subb_u32 s35, s1, 0
	s_load_b128 s[24:27], s[2:3], 0x0
	s_waitcnt lgkmcnt(0)
	s_cmp_lt_i32 s25, 1
	s_cbranch_scc1 .LBB242_96
.LBB242_13:
	s_clause 0x4
	s_load_b256 s[12:19], s[2:3], 0x70
	s_load_b64 s[38:39], s[2:3], 0xa0
	s_load_b128 s[28:31], s[2:3], 0x90
	s_load_b64 s[44:45], s[2:3], 0x58
	s_load_b256 s[4:11], s[2:3], 0x38
	v_and_b32_e32 v43, 15, v42
	s_ashr_i32 s43, s42, 31
	v_lshrrev_b32_e32 v14, 4, v42
	s_lshl_b64 s[42:43], s[42:43], 3
	v_dual_mov_b32 v13, 0 :: v_dual_and_b32 v44, 0xf0, v42
	v_mul_lo_u32 v12, v43, s26
	s_delay_alu instid0(VALU_DEP_3) | instskip(NEXT) | instid1(VALU_DEP_3)
	v_mul_lo_u32 v0, v14, s26
	v_dual_mov_b32 v1, v13 :: v_dual_lshlrev_b32 v20, 4, v43
	v_cmp_gt_i32_e64 s1, s26, v14
	v_cmp_gt_u32_e32 vcc_lo, s26, v43
	v_cmp_lt_i64_e64 s27, s[36:37], s[34:35]
	s_mul_i32 s40, s26, s26
	v_lshlrev_b64 v[2:3], 4, v[12:13]
	s_waitcnt lgkmcnt(0)
	s_add_u32 s2, s18, s42
	s_addc_u32 s3, s19, s43
	v_lshlrev_b64 v[0:1], 4, v[0:1]
	s_load_b64 s[18:19], s[2:3], 0x0
	s_mov_b32 s41, 0
	v_add_co_u32 v12, s2, s16, v2
	s_delay_alu instid0(VALU_DEP_1) | instskip(NEXT) | instid1(VALU_DEP_3)
	v_add_co_ci_u32_e64 v14, s2, s17, v3, s2
	v_add_co_u32 v15, s2, s16, v0
	s_delay_alu instid0(VALU_DEP_1) | instskip(NEXT) | instid1(VALU_DEP_4)
	v_add_co_ci_u32_e64 v16, s2, s17, v1, s2
	v_add_co_u32 v17, s2, v12, v44
	s_delay_alu instid0(VALU_DEP_1)
	v_add_co_ci_u32_e64 v14, s2, 0, v14, s2
	s_mov_b32 s60, s41
	s_mov_b32 s61, s41
	;; [unrolled: 1-line block ×4, first 2 shown]
	v_cmp_gt_u32_e64 s0, 8, v42
	s_mov_b32 s56, 8
	s_waitcnt lgkmcnt(0)
	s_sub_u32 s2, s18, s22
	s_subb_u32 s3, s19, 0
	s_and_b32 s46, vcc_lo, s1
	v_add_co_u32 v12, s1, s30, v2
	s_delay_alu instid0(VALU_DEP_1) | instskip(SKIP_1) | instid1(VALU_DEP_3)
	v_add_co_ci_u32_e64 v18, s1, s31, v3, s1
	v_add_co_u32 v15, vcc_lo, v15, v20
	v_add_co_u32 v12, s1, v12, v44
	s_cmp_eq_u32 s24, 0
	s_delay_alu instid0(VALU_DEP_3)
	v_add_co_ci_u32_e64 v45, s1, 0, v18, s1
	v_add_co_ci_u32_e32 v16, vcc_lo, 0, v16, vcc_lo
	v_add_co_u32 v19, s1, s30, v0
	s_cselect_b32 vcc_lo, -1, 0
	s_cmp_lg_u32 s24, 0
	v_add_co_ci_u32_e64 v21, s1, s31, v1, s1
	s_cselect_b32 s24, -1, 0
	s_cmp_gt_i32 s26, 0
	v_add_co_u32 v46, s1, v19, v20
	s_cselect_b32 s48, -1, 0
	s_add_u32 s16, s12, s42
	s_addc_u32 s17, s13, s43
	s_and_b32 s49, s49, s27
	v_add_co_ci_u32_e64 v47, s1, 0, v21, s1
	s_add_u32 s50, s8, 8
	s_addc_u32 s51, s9, 0
	s_mul_i32 s1, s37, s40
	s_mul_hi_u32 s12, s36, s40
	s_add_u32 s52, s28, -4
	s_addc_u32 s53, s29, -1
	s_add_i32 s13, s12, s1
	s_mul_i32 s12, s36, s40
	v_cndmask_b32_e32 v22, v17, v15, vcc_lo
	v_or_b32_e32 v18, v44, v43
	s_lshl_b64 s[12:13], s[12:13], 4
	v_cndmask_b32_e32 v23, v14, v16, vcc_lo
	s_add_u32 s12, s6, s12
	v_or_b32_e32 v14, 0x400, v42
	v_lshlrev_b32_e32 v18, 4, v18
	s_addc_u32 s13, s7, s13
	v_add_co_u32 v15, s1, s12, v44
	s_delay_alu instid0(VALU_DEP_1) | instskip(SKIP_2) | instid1(VALU_DEP_4)
	v_add_co_ci_u32_e64 v16, null, s13, 0, s1
	v_dual_cndmask_b32 v56, v45, v47 :: v_dual_cndmask_b32 v57, v12, v46
	v_cmp_gt_u32_e64 s1, 0x700, v14
	v_add_co_u32 v14, vcc_lo, v15, 8
	s_delay_alu instid0(VALU_DEP_4) | instskip(SKIP_4) | instid1(VALU_DEP_4)
	v_add_co_ci_u32_e32 v15, vcc_lo, 0, v16, vcc_lo
	v_add_co_u32 v2, vcc_lo, v2, s44
	v_add_co_ci_u32_e32 v3, vcc_lo, s45, v3, vcc_lo
	v_add_co_u32 v0, vcc_lo, s12, v0
	;; [unrolled: 2-line block ×3, first 2 shown]
	s_delay_alu instid0(VALU_DEP_4)
	v_add_co_ci_u32_e32 v17, vcc_lo, 0, v3, vcc_lo
	v_or_b32_e32 v49, 0x1000, v18
	v_or_b32_e32 v50, 0x2000, v18
	;; [unrolled: 1-line block ×6, first 2 shown]
	v_add_co_u32 v18, vcc_lo, v0, 8
	v_add_co_u32 v0, s12, v20, s44
	v_add_co_ci_u32_e32 v19, vcc_lo, 0, v1, vcc_lo
	v_add_co_ci_u32_e64 v1, null, 0, s45, s12
	v_dual_mov_b32 v25, s3 :: v_dual_lshlrev_b32 v48, 4, v42
	s_delay_alu instid0(VALU_DEP_4)
	v_add_co_u32 v20, vcc_lo, v0, 8
	s_mov_b32 s18, s23
	s_mov_b32 s19, s41
	;; [unrolled: 1-line block ×3, first 2 shown]
	v_add_co_ci_u32_e32 v21, vcc_lo, 0, v1, vcc_lo
	s_lshl_b64 s[12:13], s[18:19], 2
	v_add_co_u32 v22, vcc_lo, v22, 8
	s_lshl_b64 s[6:7], s[40:41], 4
	s_lshl_b64 s[30:31], s[26:27], 4
	v_dual_mov_b32 v0, s60 :: v_dual_mov_b32 v3, s63
	v_or_b32_e32 v52, 0x4000, v48
	s_sub_u32 s19, s14, s12
	v_add_co_ci_u32_e32 v23, vcc_lo, 0, v23, vcc_lo
	v_dual_mov_b32 v24, s2 :: v_dual_mov_b32 v1, s61
	v_dual_mov_b32 v2, s62 :: v_dual_mov_b32 v59, 1
	v_cndmask_b32_e64 v58, 0, 1, s48
	s_subb_u32 s27, s15, s13
	s_sub_u32 s54, 1, s23
	s_mov_b32 s47, s21
	s_subb_u32 s55, 0, 0
	s_branch .LBB242_16
.LBB242_14:                             ;   in Loop: Header=BB242_16 Depth=1
	s_or_b32 exec_lo, exec_lo, s2
.LBB242_15:                             ;   in Loop: Header=BB242_16 Depth=1
	s_min_i32 s41, s57, s25
	s_delay_alu instid0(VALU_DEP_1)
	v_dual_mov_b32 v24, v26 :: v_dual_mov_b32 v25, v27
	s_add_i32 s56, s41, 8
	s_cmp_lt_i32 s57, s25
	s_waitcnt_vscnt null, 0x0
	s_barrier
	buffer_gl0_inv
	s_barrier
	buffer_gl0_inv
	s_cbranch_scc0 .LBB242_96
.LBB242_16:                             ; =>This Loop Header: Depth=1
                                        ;     Child Loop BB242_22 Depth 2
                                        ;       Child Loop BB242_27 Depth 3
                                        ;         Child Loop BB242_36 Depth 4
                                        ;         Child Loop BB242_41 Depth 4
                                        ;     Child Loop BB242_55 Depth 2
	s_and_saveexec_b32 s2, s0
	s_cbranch_execz .LBB242_18
; %bb.17:                               ;   in Loop: Header=BB242_16 Depth=1
	ds_store_b8 v42, v13 offset:32768
.LBB242_18:                             ;   in Loop: Header=BB242_16 Depth=1
	s_or_b32 exec_lo, exec_lo, s2
	ds_store_b128 v48, v[0:3]
	ds_store_b128 v48, v[0:3] offset:4096
	ds_store_b128 v48, v[0:3] offset:8192
	;; [unrolled: 1-line block ×4, first 2 shown]
	s_and_saveexec_b32 s2, s1
	s_delay_alu instid0(SALU_CYCLE_1)
	s_xor_b32 s2, exec_lo, s2
	s_cbranch_execz .LBB242_20
; %bb.19:                               ;   in Loop: Header=BB242_16 Depth=1
	ds_store_b128 v48, v[0:3] offset:20480
	ds_store_b128 v48, v[0:3] offset:24576
	;; [unrolled: 1-line block ×3, first 2 shown]
.LBB242_20:                             ;   in Loop: Header=BB242_16 Depth=1
	s_or_b32 exec_lo, exec_lo, s2
	s_delay_alu instid0(SALU_CYCLE_1)
	s_and_not1_b32 vcc_lo, exec_lo, s49
	s_mov_b32 s57, s25
	s_waitcnt vmcnt(0) lgkmcnt(0)
	s_barrier
	buffer_gl0_inv
	s_cbranch_vccnz .LBB242_50
; %bb.21:                               ;   in Loop: Header=BB242_16 Depth=1
	v_dual_mov_b32 v27, v19 :: v_dual_mov_b32 v26, v18
	v_dual_mov_b32 v29, v15 :: v_dual_mov_b32 v28, v14
	s_cmp_lg_u32 s41, 0
	s_mov_b32 s59, s25
	s_cselect_b32 s58, -1, 0
	s_mov_b64 s[12:13], s[36:37]
.LBB242_22:                             ;   Parent Loop BB242_16 Depth=1
                                        ; =>  This Loop Header: Depth=2
                                        ;       Child Loop BB242_27 Depth 3
                                        ;         Child Loop BB242_36 Depth 4
                                        ;         Child Loop BB242_41 Depth 4
	s_delay_alu instid0(SALU_CYCLE_1) | instskip(NEXT) | instid1(SALU_CYCLE_1)
	s_lshl_b64 s[2:3], s[12:13], 2
	s_add_u32 s2, s4, s2
	s_addc_u32 s3, s5, s3
	s_and_b32 vcc_lo, exec_lo, s58
	s_load_b32 s2, s[2:3], 0x0
	s_waitcnt lgkmcnt(0)
	s_sub_i32 s2, s2, s20
	s_cbranch_vccz .LBB242_49
; %bb.23:                               ;   in Loop: Header=BB242_22 Depth=2
	s_lshl_b64 s[14:15], s[12:13], 3
	s_delay_alu instid0(SALU_CYCLE_1)
	s_add_u32 s14, s38, s14
	s_addc_u32 s15, s39, s15
	s_ashr_i32 s3, s2, 31
	global_load_b64 v[30:31], v13, s[14:15]
	s_waitcnt vmcnt(0)
	v_readfirstlane_b32 s14, v30
	v_readfirstlane_b32 s15, v31
	s_cbranch_execnz .LBB242_25
.LBB242_24:                             ;   in Loop: Header=BB242_22 Depth=2
	s_ashr_i32 s3, s2, 31
	s_delay_alu instid0(SALU_CYCLE_1) | instskip(NEXT) | instid1(SALU_CYCLE_1)
	s_lshl_b64 s[14:15], s[2:3], 3
	s_add_u32 s14, s8, s14
	s_addc_u32 s15, s9, s15
	s_load_b64 s[14:15], s[14:15], 0x0
	s_waitcnt lgkmcnt(0)
	s_sub_u32 s14, s14, s47
	s_subb_u32 s15, s15, 0
.LBB242_25:                             ;   in Loop: Header=BB242_22 Depth=2
	s_lshl_b64 s[2:3], s[2:3], 3
	s_delay_alu instid0(SALU_CYCLE_1)
	s_add_u32 s2, s50, s2
	s_addc_u32 s3, s51, s3
	s_load_b64 s[2:3], s[2:3], 0x0
	s_waitcnt lgkmcnt(0)
	s_sub_u32 s42, s2, s47
	s_subb_u32 s43, s3, 0
	s_delay_alu instid0(SALU_CYCLE_1) | instskip(NEXT) | instid1(VALU_DEP_1)
	v_cmp_ge_i64_e64 s2, s[14:15], s[42:43]
	s_and_b32 vcc_lo, exec_lo, s2
	s_cbranch_vccnz .LBB242_46
; %bb.26:                               ;   in Loop: Header=BB242_22 Depth=2
	v_mad_u64_u32 v[30:31], null, s6, s14, v[16:17]
	v_mad_u64_u32 v[32:33], null, s6, s14, v[20:21]
	s_mul_i32 s2, s7, s14
	s_mul_i32 s3, s6, s15
	s_mov_b64 s[44:45], s[14:15]
	s_add_i32 s3, s3, s2
	s_delay_alu instid0(VALU_DEP_2) | instid1(SALU_CYCLE_1)
	v_add_nc_u32_e32 v31, s3, v31
	s_delay_alu instid0(VALU_DEP_2)
	v_add_nc_u32_e32 v33, s3, v33
.LBB242_27:                             ;   Parent Loop BB242_16 Depth=1
                                        ;     Parent Loop BB242_22 Depth=2
                                        ; =>    This Loop Header: Depth=3
                                        ;         Child Loop BB242_36 Depth 4
                                        ;         Child Loop BB242_41 Depth 4
	s_lshl_b64 s[2:3], s[44:45], 2
	s_mov_b32 s62, -1
	s_add_u32 s2, s10, s2
	s_addc_u32 s3, s11, s3
                                        ; implicit-def: $sgpr57
                                        ; implicit-def: $sgpr60
	s_load_b32 s2, s[2:3], 0x0
	s_waitcnt lgkmcnt(0)
	s_sub_i32 s61, s2, s21
	s_delay_alu instid0(SALU_CYCLE_1) | instskip(SKIP_3) | instid1(SALU_CYCLE_1)
	s_cmp_lt_i32 s61, s41
	s_cselect_b32 s2, -1, 0
	s_cmp_ge_i32 s61, s56
	s_cselect_b32 s63, -1, 0
	s_or_b32 s2, s2, s63
	s_delay_alu instid0(SALU_CYCLE_1)
	s_and_b32 vcc_lo, exec_lo, s2
                                        ; implicit-def: $sgpr2_sgpr3
	s_cbranch_vccz .LBB242_31
; %bb.28:                               ;   in Loop: Header=BB242_27 Depth=3
	s_mov_b32 s60, -1
	s_and_not1_b32 vcc_lo, exec_lo, s63
	s_mov_b32 s57, s59
	s_mov_b64 s[2:3], s[14:15]
	s_cbranch_vccnz .LBB242_30
; %bb.29:                               ;   in Loop: Header=BB242_27 Depth=3
	s_min_i32 s57, s61, s59
	s_mov_b32 s60, 0
	s_mov_b64 s[2:3], s[44:45]
.LBB242_30:                             ;   in Loop: Header=BB242_27 Depth=3
	s_mov_b32 s62, 0
.LBB242_31:                             ;   in Loop: Header=BB242_27 Depth=3
	s_delay_alu instid0(SALU_CYCLE_1)
	s_and_not1_b32 vcc_lo, exec_lo, s62
	s_cbranch_vccnz .LBB242_44
; %bb.32:                               ;   in Loop: Header=BB242_27 Depth=3
	s_sub_i32 s57, s61, s41
	s_delay_alu instid0(SALU_CYCLE_1)
	v_mov_b32_e32 v34, s57
	ds_store_b8 v34, v59 offset:32768
	s_and_saveexec_b32 s3, s46
	s_cbranch_execz .LBB242_43
; %bb.33:                               ;   in Loop: Header=BB242_27 Depth=3
	v_cmp_ne_u32_e64 s2, 1, v58
	s_and_not1_b32 vcc_lo, exec_lo, s24
	s_cbranch_vccnz .LBB242_38
; %bb.34:                               ;   in Loop: Header=BB242_27 Depth=3
	v_mov_b32_e32 v34, 0
	v_mov_b32_e32 v35, 0
	s_and_b32 vcc_lo, exec_lo, s2
	s_delay_alu instid0(VALU_DEP_1)
	v_dual_mov_b32 v37, v35 :: v_dual_mov_b32 v36, v34
	s_cbranch_vccnz .LBB242_37
; %bb.35:                               ;   in Loop: Header=BB242_27 Depth=3
	v_dual_mov_b32 v34, 0 :: v_dual_mov_b32 v39, v31
	v_dual_mov_b32 v35, 0 :: v_dual_mov_b32 v38, v30
	;; [unrolled: 1-line block ×3, first 2 shown]
	s_mov_b32 s2, s26
	s_delay_alu instid0(VALU_DEP_2)
	v_dual_mov_b32 v37, v35 :: v_dual_mov_b32 v36, v34
	.p2align	6
.LBB242_36:                             ;   Parent Loop BB242_16 Depth=1
                                        ;     Parent Loop BB242_22 Depth=2
                                        ;       Parent Loop BB242_27 Depth=3
                                        ; =>      This Inner Loop Header: Depth=4
	global_load_b128 v[60:63], v[40:41], off offset:-8
	global_load_b128 v[64:67], v[38:39], off offset:-8
	v_add_co_u32 v40, vcc_lo, v40, s30
	v_add_co_ci_u32_e32 v41, vcc_lo, s31, v41, vcc_lo
	v_add_co_u32 v38, vcc_lo, v38, 16
	v_add_co_ci_u32_e32 v39, vcc_lo, 0, v39, vcc_lo
	s_add_i32 s2, s2, -1
	s_delay_alu instid0(SALU_CYCLE_1) | instskip(SKIP_3) | instid1(VALU_DEP_2)
	s_cmp_lg_u32 s2, 0
	s_waitcnt vmcnt(0)
	v_fma_f64 v[34:35], v[60:61], v[64:65], v[34:35]
	v_fma_f64 v[36:37], v[62:63], v[64:65], v[36:37]
	v_fma_f64 v[34:35], -v[62:63], v[66:67], v[34:35]
	s_delay_alu instid0(VALU_DEP_2)
	v_fma_f64 v[36:37], v[60:61], v[66:67], v[36:37]
	s_cbranch_scc1 .LBB242_36
.LBB242_37:                             ;   in Loop: Header=BB242_27 Depth=3
	s_cbranch_execz .LBB242_39
	s_branch .LBB242_42
.LBB242_38:                             ;   in Loop: Header=BB242_27 Depth=3
                                        ; implicit-def: $vgpr34_vgpr35
                                        ; implicit-def: $vgpr36_vgpr37
.LBB242_39:                             ;   in Loop: Header=BB242_27 Depth=3
	v_mov_b32_e32 v34, 0
	v_mov_b32_e32 v35, 0
	s_and_not1_b32 vcc_lo, exec_lo, s48
	s_delay_alu instid0(VALU_DEP_1)
	v_dual_mov_b32 v37, v35 :: v_dual_mov_b32 v36, v34
	s_cbranch_vccnz .LBB242_42
; %bb.40:                               ;   in Loop: Header=BB242_27 Depth=3
	v_dual_mov_b32 v34, 0 :: v_dual_mov_b32 v39, v33
	v_dual_mov_b32 v35, 0 :: v_dual_mov_b32 v38, v32
	v_dual_mov_b32 v41, v27 :: v_dual_mov_b32 v40, v26
	s_mov_b32 s2, s26
	s_delay_alu instid0(VALU_DEP_2)
	v_dual_mov_b32 v37, v35 :: v_dual_mov_b32 v36, v34
	.p2align	6
.LBB242_41:                             ;   Parent Loop BB242_16 Depth=1
                                        ;     Parent Loop BB242_22 Depth=2
                                        ;       Parent Loop BB242_27 Depth=3
                                        ; =>      This Inner Loop Header: Depth=4
	global_load_b128 v[60:63], v[40:41], off offset:-8
	global_load_b128 v[64:67], v[38:39], off offset:-8
	v_add_co_u32 v40, vcc_lo, v40, 16
	v_add_co_ci_u32_e32 v41, vcc_lo, 0, v41, vcc_lo
	v_add_co_u32 v38, vcc_lo, v38, s30
	v_add_co_ci_u32_e32 v39, vcc_lo, s31, v39, vcc_lo
	s_add_i32 s2, s2, -1
	s_delay_alu instid0(SALU_CYCLE_1) | instskip(SKIP_3) | instid1(VALU_DEP_2)
	s_cmp_eq_u32 s2, 0
	s_waitcnt vmcnt(0)
	v_fma_f64 v[34:35], v[60:61], v[64:65], v[34:35]
	v_fma_f64 v[36:37], v[62:63], v[64:65], v[36:37]
	v_fma_f64 v[34:35], -v[62:63], v[66:67], v[34:35]
	s_delay_alu instid0(VALU_DEP_2)
	v_fma_f64 v[36:37], v[60:61], v[66:67], v[36:37]
	s_cbranch_scc0 .LBB242_41
.LBB242_42:                             ;   in Loop: Header=BB242_27 Depth=3
	s_lshl_b32 s2, s57, 8
	s_delay_alu instid0(SALU_CYCLE_1) | instskip(NEXT) | instid1(VALU_DEP_1)
	v_or3_b32 v38, s2, v44, v43
	v_lshlrev_b32_e32 v60, 4, v38
	ds_load_b128 v[38:41], v60
	s_waitcnt lgkmcnt(0)
	v_fma_f64 v[38:39], v[4:5], v[34:35], v[38:39]
	v_fma_f64 v[40:41], v[8:9], v[34:35], v[40:41]
	s_delay_alu instid0(VALU_DEP_2) | instskip(NEXT) | instid1(VALU_DEP_2)
	v_fma_f64 v[34:35], -v[8:9], v[36:37], v[38:39]
	v_fma_f64 v[36:37], v[4:5], v[36:37], v[40:41]
	ds_store_b128 v60, v[34:37]
.LBB242_43:                             ;   in Loop: Header=BB242_27 Depth=3
	s_or_b32 exec_lo, exec_lo, s3
	s_mov_b32 s60, -1
	s_mov_b32 s57, s59
	s_mov_b64 s[2:3], s[14:15]
	s_waitcnt lgkmcnt(0)
	s_waitcnt_vscnt null, 0x0
	s_barrier
	buffer_gl0_inv
.LBB242_44:                             ;   in Loop: Header=BB242_27 Depth=3
	s_add_u32 s44, s44, 1
	s_addc_u32 s45, s45, 0
	v_add_co_u32 v30, vcc_lo, v30, s6
	v_cmp_lt_i64_e64 s14, s[44:45], s[42:43]
	v_add_co_ci_u32_e32 v31, vcc_lo, s7, v31, vcc_lo
	v_add_co_u32 v32, vcc_lo, v32, s6
	v_add_co_ci_u32_e32 v33, vcc_lo, s7, v33, vcc_lo
	s_delay_alu instid0(VALU_DEP_4) | instskip(NEXT) | instid1(SALU_CYCLE_1)
	s_and_b32 s14, s60, s14
	s_and_b32 vcc_lo, exec_lo, s14
	s_cbranch_vccz .LBB242_47
; %bb.45:                               ;   in Loop: Header=BB242_27 Depth=3
	s_mov_b32 s59, s57
	s_mov_b64 s[14:15], s[2:3]
	s_branch .LBB242_27
.LBB242_46:                             ;   in Loop: Header=BB242_22 Depth=2
	s_mov_b32 s57, s59
	s_mov_b64 s[2:3], s[14:15]
.LBB242_47:                             ;   in Loop: Header=BB242_22 Depth=2
	s_lshl_b64 s[14:15], s[12:13], 3
	v_add_co_u32 v28, vcc_lo, v28, s6
	s_add_u32 s14, s38, s14
	s_addc_u32 s15, s39, s15
	s_add_u32 s12, s12, 1
	s_addc_u32 s13, s13, 0
	v_dual_mov_b32 v31, s3 :: v_dual_mov_b32 v30, s2
	v_cmp_lt_i64_e64 s2, s[12:13], s[34:35]
	v_add_co_ci_u32_e32 v29, vcc_lo, s7, v29, vcc_lo
	v_add_co_u32 v26, vcc_lo, v26, s6
	v_add_co_ci_u32_e32 v27, vcc_lo, s7, v27, vcc_lo
	s_delay_alu instid0(VALU_DEP_4)
	s_and_b32 vcc_lo, exec_lo, s2
	global_store_b64 v13, v[30:31], s[14:15]
	s_cbranch_vccz .LBB242_50
; %bb.48:                               ;   in Loop: Header=BB242_22 Depth=2
	s_mov_b32 s59, s57
	s_branch .LBB242_22
.LBB242_49:                             ;   in Loop: Header=BB242_22 Depth=2
                                        ; implicit-def: $sgpr14_sgpr15
	s_branch .LBB242_24
.LBB242_50:                             ;   in Loop: Header=BB242_16 Depth=1
	s_and_not1_b32 vcc_lo, exec_lo, s33
	s_cbranch_vccnz .LBB242_60
; %bb.51:                               ;   in Loop: Header=BB242_16 Depth=1
	s_load_b128 s[12:15], s[16:17], 0x0
	s_waitcnt lgkmcnt(0)
	v_cmp_ge_i64_e64 s2, s[12:13], s[14:15]
	s_delay_alu instid0(VALU_DEP_1)
	s_and_b32 vcc_lo, exec_lo, s2
	s_cbranch_vccnz .LBB242_60
; %bb.52:                               ;   in Loop: Header=BB242_16 Depth=1
	s_sub_u32 s2, s14, s18
	s_subb_u32 s3, s15, 0
	s_sub_u32 s42, s12, s18
	s_subb_u32 s43, s13, 0
	v_mad_u64_u32 v[26:27], null, s6, s42, v[22:23]
	s_lshl_b64 s[14:15], s[12:13], 2
	s_mul_i32 s42, s7, s42
	s_mul_i32 s43, s6, s43
	s_add_u32 s14, s19, s14
	s_addc_u32 s15, s27, s15
	s_add_u32 s12, s54, s12
	s_delay_alu instid0(VALU_DEP_1)
	v_add3_u32 v27, s43, s42, v27
	s_addc_u32 s13, s55, s13
	s_branch .LBB242_55
.LBB242_53:                             ;   in Loop: Header=BB242_55 Depth=2
	s_or_b32 exec_lo, exec_lo, s42
	s_mov_b32 s43, -1
	s_mov_b32 s42, s57
	s_waitcnt lgkmcnt(0)
	s_waitcnt_vscnt null, 0x0
	s_barrier
	buffer_gl0_inv
.LBB242_54:                             ;   in Loop: Header=BB242_55 Depth=2
	v_cmp_lt_i64_e64 s44, s[12:13], s[2:3]
	v_add_co_u32 v26, vcc_lo, v26, s6
	v_add_co_ci_u32_e32 v27, vcc_lo, s7, v27, vcc_lo
	s_mov_b32 s57, s42
	s_delay_alu instid0(VALU_DEP_3)
	s_and_b32 s43, s43, s44
	s_add_u32 s14, s14, 4
	s_addc_u32 s15, s15, 0
	s_add_u32 s12, s12, 1
	s_addc_u32 s13, s13, 0
	s_and_b32 vcc_lo, exec_lo, s43
	s_cbranch_vccz .LBB242_60
.LBB242_55:                             ;   Parent Loop BB242_16 Depth=1
                                        ; =>  This Inner Loop Header: Depth=2
	s_load_b32 s42, s[14:15], 0x0
	s_waitcnt lgkmcnt(0)
	s_sub_i32 s44, s42, s23
	s_delay_alu instid0(SALU_CYCLE_1)
	s_cmp_lt_i32 s44, s41
	s_cselect_b32 s42, -1, 0
	s_cmp_lt_i32 s44, s56
	s_cselect_b32 s43, -1, 0
	s_cmp_ge_i32 s44, s56
	s_cselect_b32 s45, -1, 0
	s_delay_alu instid0(SALU_CYCLE_1)
	s_or_b32 s42, s42, s45
	s_mov_b32 s45, -1
	s_and_b32 vcc_lo, exec_lo, s42
                                        ; implicit-def: $sgpr42
	s_cbranch_vccz .LBB242_57
; %bb.56:                               ;   in Loop: Header=BB242_55 Depth=2
	s_min_i32 s42, s44, s57
	s_and_b32 s45, s43, exec_lo
	s_cselect_b32 s42, s57, s42
	s_mov_b32 s45, 0
.LBB242_57:                             ;   in Loop: Header=BB242_55 Depth=2
	s_delay_alu instid0(SALU_CYCLE_1)
	s_and_not1_b32 vcc_lo, exec_lo, s45
	s_cbranch_vccnz .LBB242_54
; %bb.58:                               ;   in Loop: Header=BB242_55 Depth=2
	s_sub_i32 s43, s44, s41
	s_delay_alu instid0(SALU_CYCLE_1)
	v_mov_b32_e32 v28, s43
	ds_store_b8 v28, v59 offset:32768
	s_and_saveexec_b32 s42, s46
	s_cbranch_execz .LBB242_53
; %bb.59:                               ;   in Loop: Header=BB242_55 Depth=2
	global_load_b128 v[28:31], v[26:27], off offset:-8
	s_lshl_b32 s43, s43, 8
	s_delay_alu instid0(SALU_CYCLE_1) | instskip(NEXT) | instid1(VALU_DEP_1)
	v_or3_b32 v32, s43, v44, v43
	v_lshlrev_b32_e32 v36, 4, v32
	ds_load_b128 v[32:35], v36
	s_waitcnt vmcnt(0) lgkmcnt(0)
	v_fma_f64 v[32:33], v[10:11], v[28:29], v[32:33]
	v_fma_f64 v[34:35], v[6:7], v[28:29], v[34:35]
	s_delay_alu instid0(VALU_DEP_2) | instskip(NEXT) | instid1(VALU_DEP_2)
	v_fma_f64 v[28:29], -v[6:7], v[30:31], v[32:33]
	v_fma_f64 v[30:31], v[10:11], v[30:31], v[34:35]
	ds_store_b128 v36, v[28:31]
	s_branch .LBB242_53
.LBB242_60:                             ;   in Loop: Header=BB242_16 Depth=1
	s_waitcnt_vscnt null, 0x0
	s_barrier
	buffer_gl0_inv
	ds_load_u8 v26, v13 offset:32768
	s_add_i32 s3, s41, s22
	s_mov_b32 s12, 0
	s_waitcnt lgkmcnt(0)
	v_cmp_eq_u32_e32 vcc_lo, 0, v26
	s_cbranch_vccnz .LBB242_64
; %bb.61:                               ;   in Loop: Header=BB242_16 Depth=1
	v_lshlrev_b64 v[26:27], 2, v[24:25]
	v_mov_b32_e32 v28, s3
	s_delay_alu instid0(VALU_DEP_2) | instskip(NEXT) | instid1(VALU_DEP_3)
	v_add_co_u32 v26, vcc_lo, s28, v26
	v_add_co_ci_u32_e32 v27, vcc_lo, s29, v27, vcc_lo
	global_store_b32 v[26:27], v28, off
	s_and_saveexec_b32 s2, s46
	s_cbranch_execz .LBB242_63
; %bb.62:                               ;   in Loop: Header=BB242_16 Depth=1
	v_mad_u64_u32 v[30:31], null, v24, s40, 0
	s_delay_alu instid0(VALU_DEP_1) | instskip(NEXT) | instid1(VALU_DEP_1)
	v_mov_b32_e32 v26, v31
	v_mad_u64_u32 v[31:32], null, v25, s40, v[26:27]
	ds_load_2addr_b64 v[26:29], v48 offset1:1
	v_lshlrev_b64 v[30:31], 4, v[30:31]
	s_delay_alu instid0(VALU_DEP_1) | instskip(NEXT) | instid1(VALU_DEP_2)
	v_add_co_u32 v30, vcc_lo, v57, v30
	v_add_co_ci_u32_e32 v31, vcc_lo, v56, v31, vcc_lo
	s_waitcnt lgkmcnt(0)
	global_store_b128 v[30:31], v[26:29], off
.LBB242_63:                             ;   in Loop: Header=BB242_16 Depth=1
	s_or_b32 exec_lo, exec_lo, s2
	s_mov_b32 s12, 1
.LBB242_64:                             ;   in Loop: Header=BB242_16 Depth=1
	ds_load_u8 v26, v13 offset:32769
	v_add_co_u32 v28, s2, v24, -1
	s_delay_alu instid0(VALU_DEP_1)
	v_add_co_ci_u32_e64 v29, s2, -1, v25, s2
	s_waitcnt lgkmcnt(0)
	v_cmp_eq_u32_e32 vcc_lo, 0, v26
	s_cbranch_vccz .LBB242_70
; %bb.65:                               ;   in Loop: Header=BB242_16 Depth=1
	ds_load_u8 v26, v13 offset:32770
	s_waitcnt lgkmcnt(0)
	v_cmp_eq_u32_e32 vcc_lo, 0, v26
	s_cbranch_vccz .LBB242_73
.LBB242_66:                             ;   in Loop: Header=BB242_16 Depth=1
	ds_load_u8 v26, v13 offset:32771
	s_waitcnt lgkmcnt(0)
	v_cmp_eq_u32_e32 vcc_lo, 0, v26
	s_cbranch_vccz .LBB242_76
.LBB242_67:                             ;   in Loop: Header=BB242_16 Depth=1
	ds_load_u8 v26, v13 offset:32772
	s_waitcnt lgkmcnt(0)
	v_cmp_eq_u32_e32 vcc_lo, 0, v26
	s_cbranch_vccz .LBB242_79
.LBB242_68:                             ;   in Loop: Header=BB242_16 Depth=1
	ds_load_u8 v26, v13 offset:32773
	s_waitcnt lgkmcnt(0)
	v_cmp_eq_u32_e32 vcc_lo, 0, v26
	s_cbranch_vccz .LBB242_82
.LBB242_69:                             ;   in Loop: Header=BB242_16 Depth=1
	ds_load_u8 v26, v13 offset:32774
	s_waitcnt lgkmcnt(0)
	v_cmp_eq_u32_e32 vcc_lo, 0, v26
	s_cbranch_vccz .LBB242_85
	s_branch .LBB242_88
.LBB242_70:                             ;   in Loop: Header=BB242_16 Depth=1
	s_add_i32 s12, s12, 1
	s_add_i32 s2, s3, 1
	v_add_co_u32 v26, vcc_lo, v24, s12
	v_add_co_ci_u32_e32 v27, vcc_lo, 0, v25, vcc_lo
	v_mov_b32_e32 v30, s2
	s_delay_alu instid0(VALU_DEP_2) | instskip(NEXT) | instid1(VALU_DEP_1)
	v_lshlrev_b64 v[26:27], 2, v[26:27]
	v_add_co_u32 v26, vcc_lo, s52, v26
	s_delay_alu instid0(VALU_DEP_2)
	v_add_co_ci_u32_e32 v27, vcc_lo, s53, v27, vcc_lo
	global_store_b32 v[26:27], v30, off
	s_and_saveexec_b32 s2, s46
	s_cbranch_execz .LBB242_72
; %bb.71:                               ;   in Loop: Header=BB242_16 Depth=1
	v_add_co_u32 v30, vcc_lo, v28, s12
	v_add_co_ci_u32_e32 v31, vcc_lo, 0, v29, vcc_lo
	s_delay_alu instid0(VALU_DEP_2) | instskip(NEXT) | instid1(VALU_DEP_1)
	v_mad_u64_u32 v[26:27], null, v30, s40, 0
	v_mad_u64_u32 v[34:35], null, v31, s40, v[27:28]
	ds_load_2addr_b64 v[30:33], v49 offset1:1
	v_mov_b32_e32 v27, v34
	s_delay_alu instid0(VALU_DEP_1) | instskip(NEXT) | instid1(VALU_DEP_1)
	v_lshlrev_b64 v[26:27], 4, v[26:27]
	v_add_co_u32 v26, vcc_lo, v57, v26
	s_delay_alu instid0(VALU_DEP_2)
	v_add_co_ci_u32_e32 v27, vcc_lo, v56, v27, vcc_lo
	s_waitcnt lgkmcnt(0)
	global_store_b128 v[26:27], v[30:33], off
.LBB242_72:                             ;   in Loop: Header=BB242_16 Depth=1
	s_or_b32 exec_lo, exec_lo, s2
	ds_load_u8 v26, v13 offset:32770
	s_waitcnt lgkmcnt(0)
	v_cmp_eq_u32_e32 vcc_lo, 0, v26
	s_cbranch_vccnz .LBB242_66
.LBB242_73:                             ;   in Loop: Header=BB242_16 Depth=1
	s_add_i32 s12, s12, 1
	s_add_i32 s2, s3, 2
	v_add_co_u32 v26, vcc_lo, v24, s12
	v_add_co_ci_u32_e32 v27, vcc_lo, 0, v25, vcc_lo
	v_mov_b32_e32 v30, s2
	s_delay_alu instid0(VALU_DEP_2) | instskip(NEXT) | instid1(VALU_DEP_1)
	v_lshlrev_b64 v[26:27], 2, v[26:27]
	v_add_co_u32 v26, vcc_lo, s52, v26
	s_delay_alu instid0(VALU_DEP_2)
	v_add_co_ci_u32_e32 v27, vcc_lo, s53, v27, vcc_lo
	global_store_b32 v[26:27], v30, off
	s_and_saveexec_b32 s2, s46
	s_cbranch_execz .LBB242_75
; %bb.74:                               ;   in Loop: Header=BB242_16 Depth=1
	v_add_co_u32 v30, vcc_lo, v28, s12
	v_add_co_ci_u32_e32 v31, vcc_lo, 0, v29, vcc_lo
	s_delay_alu instid0(VALU_DEP_2) | instskip(NEXT) | instid1(VALU_DEP_1)
	v_mad_u64_u32 v[26:27], null, v30, s40, 0
	v_mad_u64_u32 v[34:35], null, v31, s40, v[27:28]
	ds_load_2addr_b64 v[30:33], v50 offset1:1
	v_mov_b32_e32 v27, v34
	s_delay_alu instid0(VALU_DEP_1) | instskip(NEXT) | instid1(VALU_DEP_1)
	v_lshlrev_b64 v[26:27], 4, v[26:27]
	v_add_co_u32 v26, vcc_lo, v57, v26
	s_delay_alu instid0(VALU_DEP_2)
	v_add_co_ci_u32_e32 v27, vcc_lo, v56, v27, vcc_lo
	s_waitcnt lgkmcnt(0)
	global_store_b128 v[26:27], v[30:33], off
.LBB242_75:                             ;   in Loop: Header=BB242_16 Depth=1
	s_or_b32 exec_lo, exec_lo, s2
	ds_load_u8 v26, v13 offset:32771
	s_waitcnt lgkmcnt(0)
	v_cmp_eq_u32_e32 vcc_lo, 0, v26
	s_cbranch_vccnz .LBB242_67
.LBB242_76:                             ;   in Loop: Header=BB242_16 Depth=1
	s_add_i32 s12, s12, 1
	s_add_i32 s2, s3, 3
	v_add_co_u32 v26, vcc_lo, v24, s12
	v_add_co_ci_u32_e32 v27, vcc_lo, 0, v25, vcc_lo
	v_mov_b32_e32 v30, s2
	s_delay_alu instid0(VALU_DEP_2) | instskip(NEXT) | instid1(VALU_DEP_1)
	v_lshlrev_b64 v[26:27], 2, v[26:27]
	v_add_co_u32 v26, vcc_lo, s52, v26
	s_delay_alu instid0(VALU_DEP_2)
	v_add_co_ci_u32_e32 v27, vcc_lo, s53, v27, vcc_lo
	global_store_b32 v[26:27], v30, off
	s_and_saveexec_b32 s2, s46
	s_cbranch_execz .LBB242_78
; %bb.77:                               ;   in Loop: Header=BB242_16 Depth=1
	v_add_co_u32 v30, vcc_lo, v28, s12
	v_add_co_ci_u32_e32 v31, vcc_lo, 0, v29, vcc_lo
	s_delay_alu instid0(VALU_DEP_2) | instskip(NEXT) | instid1(VALU_DEP_1)
	v_mad_u64_u32 v[26:27], null, v30, s40, 0
	v_mad_u64_u32 v[34:35], null, v31, s40, v[27:28]
	ds_load_2addr_b64 v[30:33], v51 offset1:1
	v_mov_b32_e32 v27, v34
	s_delay_alu instid0(VALU_DEP_1) | instskip(NEXT) | instid1(VALU_DEP_1)
	v_lshlrev_b64 v[26:27], 4, v[26:27]
	v_add_co_u32 v26, vcc_lo, v57, v26
	s_delay_alu instid0(VALU_DEP_2)
	v_add_co_ci_u32_e32 v27, vcc_lo, v56, v27, vcc_lo
	s_waitcnt lgkmcnt(0)
	global_store_b128 v[26:27], v[30:33], off
.LBB242_78:                             ;   in Loop: Header=BB242_16 Depth=1
	s_or_b32 exec_lo, exec_lo, s2
	ds_load_u8 v26, v13 offset:32772
	s_waitcnt lgkmcnt(0)
	v_cmp_eq_u32_e32 vcc_lo, 0, v26
	s_cbranch_vccnz .LBB242_68
.LBB242_79:                             ;   in Loop: Header=BB242_16 Depth=1
	s_add_i32 s12, s12, 1
	s_add_i32 s2, s3, 4
	v_add_co_u32 v26, vcc_lo, v24, s12
	v_add_co_ci_u32_e32 v27, vcc_lo, 0, v25, vcc_lo
	v_mov_b32_e32 v30, s2
	s_delay_alu instid0(VALU_DEP_2) | instskip(NEXT) | instid1(VALU_DEP_1)
	v_lshlrev_b64 v[26:27], 2, v[26:27]
	v_add_co_u32 v26, vcc_lo, s52, v26
	s_delay_alu instid0(VALU_DEP_2)
	v_add_co_ci_u32_e32 v27, vcc_lo, s53, v27, vcc_lo
	global_store_b32 v[26:27], v30, off
	s_and_saveexec_b32 s2, s46
	s_cbranch_execz .LBB242_81
; %bb.80:                               ;   in Loop: Header=BB242_16 Depth=1
	v_add_co_u32 v30, vcc_lo, v28, s12
	v_add_co_ci_u32_e32 v31, vcc_lo, 0, v29, vcc_lo
	s_delay_alu instid0(VALU_DEP_2) | instskip(NEXT) | instid1(VALU_DEP_1)
	v_mad_u64_u32 v[26:27], null, v30, s40, 0
	v_mad_u64_u32 v[34:35], null, v31, s40, v[27:28]
	ds_load_2addr_b64 v[30:33], v52 offset1:1
	v_mov_b32_e32 v27, v34
	s_delay_alu instid0(VALU_DEP_1) | instskip(NEXT) | instid1(VALU_DEP_1)
	v_lshlrev_b64 v[26:27], 4, v[26:27]
	v_add_co_u32 v26, vcc_lo, v57, v26
	s_delay_alu instid0(VALU_DEP_2)
	v_add_co_ci_u32_e32 v27, vcc_lo, v56, v27, vcc_lo
	s_waitcnt lgkmcnt(0)
	global_store_b128 v[26:27], v[30:33], off
.LBB242_81:                             ;   in Loop: Header=BB242_16 Depth=1
	s_or_b32 exec_lo, exec_lo, s2
	ds_load_u8 v26, v13 offset:32773
	s_waitcnt lgkmcnt(0)
	v_cmp_eq_u32_e32 vcc_lo, 0, v26
	s_cbranch_vccnz .LBB242_69
.LBB242_82:                             ;   in Loop: Header=BB242_16 Depth=1
	s_add_i32 s12, s12, 1
	s_add_i32 s2, s3, 5
	v_add_co_u32 v26, vcc_lo, v24, s12
	v_add_co_ci_u32_e32 v27, vcc_lo, 0, v25, vcc_lo
	v_mov_b32_e32 v30, s2
	s_delay_alu instid0(VALU_DEP_2) | instskip(NEXT) | instid1(VALU_DEP_1)
	v_lshlrev_b64 v[26:27], 2, v[26:27]
	v_add_co_u32 v26, vcc_lo, s52, v26
	s_delay_alu instid0(VALU_DEP_2)
	v_add_co_ci_u32_e32 v27, vcc_lo, s53, v27, vcc_lo
	global_store_b32 v[26:27], v30, off
	s_and_saveexec_b32 s2, s46
	s_cbranch_execz .LBB242_84
; %bb.83:                               ;   in Loop: Header=BB242_16 Depth=1
	v_add_co_u32 v30, vcc_lo, v28, s12
	v_add_co_ci_u32_e32 v31, vcc_lo, 0, v29, vcc_lo
	s_delay_alu instid0(VALU_DEP_2) | instskip(NEXT) | instid1(VALU_DEP_1)
	v_mad_u64_u32 v[26:27], null, v30, s40, 0
	v_mad_u64_u32 v[34:35], null, v31, s40, v[27:28]
	ds_load_2addr_b64 v[30:33], v53 offset1:1
	v_mov_b32_e32 v27, v34
	s_delay_alu instid0(VALU_DEP_1) | instskip(NEXT) | instid1(VALU_DEP_1)
	v_lshlrev_b64 v[26:27], 4, v[26:27]
	v_add_co_u32 v26, vcc_lo, v57, v26
	s_delay_alu instid0(VALU_DEP_2)
	v_add_co_ci_u32_e32 v27, vcc_lo, v56, v27, vcc_lo
	s_waitcnt lgkmcnt(0)
	global_store_b128 v[26:27], v[30:33], off
.LBB242_84:                             ;   in Loop: Header=BB242_16 Depth=1
	s_or_b32 exec_lo, exec_lo, s2
	ds_load_u8 v26, v13 offset:32774
	s_waitcnt lgkmcnt(0)
	v_cmp_eq_u32_e32 vcc_lo, 0, v26
	s_cbranch_vccnz .LBB242_88
.LBB242_85:                             ;   in Loop: Header=BB242_16 Depth=1
	s_add_i32 s12, s12, 1
	s_add_i32 s2, s3, 6
	v_add_co_u32 v26, vcc_lo, v24, s12
	v_add_co_ci_u32_e32 v27, vcc_lo, 0, v25, vcc_lo
	v_mov_b32_e32 v30, s2
	s_delay_alu instid0(VALU_DEP_2) | instskip(NEXT) | instid1(VALU_DEP_1)
	v_lshlrev_b64 v[26:27], 2, v[26:27]
	v_add_co_u32 v26, vcc_lo, s52, v26
	s_delay_alu instid0(VALU_DEP_2)
	v_add_co_ci_u32_e32 v27, vcc_lo, s53, v27, vcc_lo
	global_store_b32 v[26:27], v30, off
	s_and_saveexec_b32 s2, s46
	s_cbranch_execz .LBB242_87
; %bb.86:                               ;   in Loop: Header=BB242_16 Depth=1
	v_add_co_u32 v30, vcc_lo, v28, s12
	v_add_co_ci_u32_e32 v31, vcc_lo, 0, v29, vcc_lo
	s_delay_alu instid0(VALU_DEP_2) | instskip(NEXT) | instid1(VALU_DEP_1)
	v_mad_u64_u32 v[26:27], null, v30, s40, 0
	v_mad_u64_u32 v[34:35], null, v31, s40, v[27:28]
	ds_load_2addr_b64 v[30:33], v54 offset1:1
	v_mov_b32_e32 v27, v34
	s_delay_alu instid0(VALU_DEP_1) | instskip(NEXT) | instid1(VALU_DEP_1)
	v_lshlrev_b64 v[26:27], 4, v[26:27]
	v_add_co_u32 v26, vcc_lo, v57, v26
	s_delay_alu instid0(VALU_DEP_2)
	v_add_co_ci_u32_e32 v27, vcc_lo, v56, v27, vcc_lo
	s_waitcnt lgkmcnt(0)
	global_store_b128 v[26:27], v[30:33], off
.LBB242_87:                             ;   in Loop: Header=BB242_16 Depth=1
	s_or_b32 exec_lo, exec_lo, s2
.LBB242_88:                             ;   in Loop: Header=BB242_16 Depth=1
	ds_load_u8 v26, v13 offset:32775
	s_waitcnt lgkmcnt(0)
	v_and_b32_e32 v26, 1, v26
	s_delay_alu instid0(VALU_DEP_1)
	v_cmp_eq_u32_e32 vcc_lo, 1, v26
	s_cbranch_vccnz .LBB242_90
; %bb.89:                               ;   in Loop: Header=BB242_16 Depth=1
	v_add_co_u32 v26, vcc_lo, s12, v24
	v_add_co_ci_u32_e32 v27, vcc_lo, 0, v25, vcc_lo
	s_cbranch_execnz .LBB242_15
	s_branch .LBB242_91
.LBB242_90:                             ;   in Loop: Header=BB242_16 Depth=1
                                        ; implicit-def: $vgpr26_vgpr27
.LBB242_91:                             ;   in Loop: Header=BB242_16 Depth=1
	s_add_i32 s12, s12, 1
	s_add_i32 s2, s3, 7
	v_add_co_u32 v26, vcc_lo, v24, s12
	v_add_co_ci_u32_e32 v27, vcc_lo, 0, v25, vcc_lo
	v_mov_b32_e32 v30, s2
	s_delay_alu instid0(VALU_DEP_2) | instskip(NEXT) | instid1(VALU_DEP_1)
	v_lshlrev_b64 v[24:25], 2, v[26:27]
	v_add_co_u32 v24, vcc_lo, s52, v24
	s_delay_alu instid0(VALU_DEP_2)
	v_add_co_ci_u32_e32 v25, vcc_lo, s53, v25, vcc_lo
	global_store_b32 v[24:25], v30, off
	s_and_saveexec_b32 s2, s46
	s_cbranch_execz .LBB242_14
; %bb.92:                               ;   in Loop: Header=BB242_16 Depth=1
	v_add_co_u32 v28, vcc_lo, v28, s12
	v_add_co_ci_u32_e32 v30, vcc_lo, 0, v29, vcc_lo
	s_and_not1_b32 vcc_lo, exec_lo, s24
	s_delay_alu instid0(VALU_DEP_2) | instskip(NEXT) | instid1(VALU_DEP_1)
	v_mad_u64_u32 v[24:25], null, v28, s40, 0
	v_mad_u64_u32 v[28:29], null, v30, s40, v[25:26]
	s_delay_alu instid0(VALU_DEP_1) | instskip(NEXT) | instid1(VALU_DEP_1)
	v_mov_b32_e32 v25, v28
	v_lshlrev_b64 v[24:25], 4, v[24:25]
	s_cbranch_vccnz .LBB242_94
; %bb.93:                               ;   in Loop: Header=BB242_16 Depth=1
	ds_load_2addr_b64 v[28:31], v55 offset1:1
	v_add_co_u32 v32, vcc_lo, v12, v24
	v_add_co_ci_u32_e32 v33, vcc_lo, v45, v25, vcc_lo
	s_waitcnt lgkmcnt(0)
	global_store_b128 v[32:33], v[28:31], off
	s_cbranch_execnz .LBB242_14
	s_branch .LBB242_95
.LBB242_94:                             ;   in Loop: Header=BB242_16 Depth=1
.LBB242_95:                             ;   in Loop: Header=BB242_16 Depth=1
	ds_load_2addr_b64 v[28:31], v55 offset1:1
	v_add_co_u32 v24, vcc_lo, v46, v24
	v_add_co_ci_u32_e32 v25, vcc_lo, v47, v25, vcc_lo
	s_waitcnt lgkmcnt(0)
	global_store_b128 v[24:25], v[28:31], off
	s_branch .LBB242_14
.LBB242_96:
	s_endpgm
	.section	.rodata,"a",@progbits
	.p2align	6, 0x0
	.amdhsa_kernel _ZN9rocsparseL31bsrgemm_block_per_row_multipassILj256ELj8ELj16Eli21rocsparse_complex_numIdEEEv20rocsparse_direction_T3_S4_PKS4_S6_NS_24const_host_device_scalarIT4_EEPKT2_S6_PKS8_SC_S6_SE_S9_SC_S6_SE_SC_PS4_PS8_PSA_21rocsparse_index_base_SI_SI_SI_bbb
		.amdhsa_group_segment_fixed_size 36872
		.amdhsa_private_segment_fixed_size 0
		.amdhsa_kernarg_size 188
		.amdhsa_user_sgpr_count 15
		.amdhsa_user_sgpr_dispatch_ptr 1
		.amdhsa_user_sgpr_queue_ptr 0
		.amdhsa_user_sgpr_kernarg_segment_ptr 1
		.amdhsa_user_sgpr_dispatch_id 0
		.amdhsa_user_sgpr_private_segment_size 0
		.amdhsa_wavefront_size32 1
		.amdhsa_uses_dynamic_stack 0
		.amdhsa_enable_private_segment 0
		.amdhsa_system_sgpr_workgroup_id_x 1
		.amdhsa_system_sgpr_workgroup_id_y 0
		.amdhsa_system_sgpr_workgroup_id_z 0
		.amdhsa_system_sgpr_workgroup_info 0
		.amdhsa_system_vgpr_workitem_id 2
		.amdhsa_next_free_vgpr 68
		.amdhsa_next_free_sgpr 64
		.amdhsa_reserve_vcc 1
		.amdhsa_float_round_mode_32 0
		.amdhsa_float_round_mode_16_64 0
		.amdhsa_float_denorm_mode_32 3
		.amdhsa_float_denorm_mode_16_64 3
		.amdhsa_dx10_clamp 1
		.amdhsa_ieee_mode 1
		.amdhsa_fp16_overflow 0
		.amdhsa_workgroup_processor_mode 1
		.amdhsa_memory_ordered 1
		.amdhsa_forward_progress 0
		.amdhsa_shared_vgpr_count 0
		.amdhsa_exception_fp_ieee_invalid_op 0
		.amdhsa_exception_fp_denorm_src 0
		.amdhsa_exception_fp_ieee_div_zero 0
		.amdhsa_exception_fp_ieee_overflow 0
		.amdhsa_exception_fp_ieee_underflow 0
		.amdhsa_exception_fp_ieee_inexact 0
		.amdhsa_exception_int_div_zero 0
	.end_amdhsa_kernel
	.section	.text._ZN9rocsparseL31bsrgemm_block_per_row_multipassILj256ELj8ELj16Eli21rocsparse_complex_numIdEEEv20rocsparse_direction_T3_S4_PKS4_S6_NS_24const_host_device_scalarIT4_EEPKT2_S6_PKS8_SC_S6_SE_S9_SC_S6_SE_SC_PS4_PS8_PSA_21rocsparse_index_base_SI_SI_SI_bbb,"axG",@progbits,_ZN9rocsparseL31bsrgemm_block_per_row_multipassILj256ELj8ELj16Eli21rocsparse_complex_numIdEEEv20rocsparse_direction_T3_S4_PKS4_S6_NS_24const_host_device_scalarIT4_EEPKT2_S6_PKS8_SC_S6_SE_S9_SC_S6_SE_SC_PS4_PS8_PSA_21rocsparse_index_base_SI_SI_SI_bbb,comdat
.Lfunc_end242:
	.size	_ZN9rocsparseL31bsrgemm_block_per_row_multipassILj256ELj8ELj16Eli21rocsparse_complex_numIdEEEv20rocsparse_direction_T3_S4_PKS4_S6_NS_24const_host_device_scalarIT4_EEPKT2_S6_PKS8_SC_S6_SE_S9_SC_S6_SE_SC_PS4_PS8_PSA_21rocsparse_index_base_SI_SI_SI_bbb, .Lfunc_end242-_ZN9rocsparseL31bsrgemm_block_per_row_multipassILj256ELj8ELj16Eli21rocsparse_complex_numIdEEEv20rocsparse_direction_T3_S4_PKS4_S6_NS_24const_host_device_scalarIT4_EEPKT2_S6_PKS8_SC_S6_SE_S9_SC_S6_SE_SC_PS4_PS8_PSA_21rocsparse_index_base_SI_SI_SI_bbb
                                        ; -- End function
	.section	.AMDGPU.csdata,"",@progbits
; Kernel info:
; codeLenInByte = 4624
; NumSgprs: 66
; NumVgprs: 68
; ScratchSize: 0
; MemoryBound: 1
; FloatMode: 240
; IeeeMode: 1
; LDSByteSize: 36872 bytes/workgroup (compile time only)
; SGPRBlocks: 8
; VGPRBlocks: 8
; NumSGPRsForWavesPerEU: 66
; NumVGPRsForWavesPerEU: 68
; Occupancy: 6
; WaveLimiterHint : 1
; COMPUTE_PGM_RSRC2:SCRATCH_EN: 0
; COMPUTE_PGM_RSRC2:USER_SGPR: 15
; COMPUTE_PGM_RSRC2:TRAP_HANDLER: 0
; COMPUTE_PGM_RSRC2:TGID_X_EN: 1
; COMPUTE_PGM_RSRC2:TGID_Y_EN: 0
; COMPUTE_PGM_RSRC2:TGID_Z_EN: 0
; COMPUTE_PGM_RSRC2:TIDIG_COMP_CNT: 2
	.section	.text._ZN9rocsparseL31bsrgemm_block_per_row_multipassILj256ELj2ELj32Eli21rocsparse_complex_numIdEEEv20rocsparse_direction_T3_S4_PKS4_S6_NS_24const_host_device_scalarIT4_EEPKT2_S6_PKS8_SC_S6_SE_S9_SC_S6_SE_SC_PS4_PS8_PSA_21rocsparse_index_base_SI_SI_SI_bbb,"axG",@progbits,_ZN9rocsparseL31bsrgemm_block_per_row_multipassILj256ELj2ELj32Eli21rocsparse_complex_numIdEEEv20rocsparse_direction_T3_S4_PKS4_S6_NS_24const_host_device_scalarIT4_EEPKT2_S6_PKS8_SC_S6_SE_S9_SC_S6_SE_SC_PS4_PS8_PSA_21rocsparse_index_base_SI_SI_SI_bbb,comdat
	.globl	_ZN9rocsparseL31bsrgemm_block_per_row_multipassILj256ELj2ELj32Eli21rocsparse_complex_numIdEEEv20rocsparse_direction_T3_S4_PKS4_S6_NS_24const_host_device_scalarIT4_EEPKT2_S6_PKS8_SC_S6_SE_S9_SC_S6_SE_SC_PS4_PS8_PSA_21rocsparse_index_base_SI_SI_SI_bbb ; -- Begin function _ZN9rocsparseL31bsrgemm_block_per_row_multipassILj256ELj2ELj32Eli21rocsparse_complex_numIdEEEv20rocsparse_direction_T3_S4_PKS4_S6_NS_24const_host_device_scalarIT4_EEPKT2_S6_PKS8_SC_S6_SE_S9_SC_S6_SE_SC_PS4_PS8_PSA_21rocsparse_index_base_SI_SI_SI_bbb
	.p2align	8
	.type	_ZN9rocsparseL31bsrgemm_block_per_row_multipassILj256ELj2ELj32Eli21rocsparse_complex_numIdEEEv20rocsparse_direction_T3_S4_PKS4_S6_NS_24const_host_device_scalarIT4_EEPKT2_S6_PKS8_SC_S6_SE_S9_SC_S6_SE_SC_PS4_PS8_PSA_21rocsparse_index_base_SI_SI_SI_bbb,@function
_ZN9rocsparseL31bsrgemm_block_per_row_multipassILj256ELj2ELj32Eli21rocsparse_complex_numIdEEEv20rocsparse_direction_T3_S4_PKS4_S6_NS_24const_host_device_scalarIT4_EEPKT2_S6_PKS8_SC_S6_SE_S9_SC_S6_SE_SC_PS4_PS8_PSA_21rocsparse_index_base_SI_SI_SI_bbb: ; @_ZN9rocsparseL31bsrgemm_block_per_row_multipassILj256ELj2ELj32Eli21rocsparse_complex_numIdEEEv20rocsparse_direction_T3_S4_PKS4_S6_NS_24const_host_device_scalarIT4_EEPKT2_S6_PKS8_SC_S6_SE_S9_SC_S6_SE_SC_PS4_PS8_PSA_21rocsparse_index_base_SI_SI_SI_bbb
; %bb.0:
	s_mov_b32 s42, s15
	s_load_b32 s12, s[2:3], 0xb8
	s_load_b64 s[14:15], s[0:1], 0x4
	v_and_b32_e32 v56, 0x3ff, v0
	s_clause 0x1
	s_load_b128 s[8:11], s[2:3], 0x20
	s_load_b128 s[4:7], s[2:3], 0x60
	v_mov_b32_e32 v6, 0
	v_mov_b32_e32 v7, 0
	v_bfe_u32 v2, v0, 10, 10
	s_load_b128 s[20:23], s[2:3], 0xa8
	v_bfe_u32 v0, v0, 20, 10
	s_delay_alu instid0(VALU_DEP_3)
	v_dual_mov_b32 v4, v6 :: v_dual_mov_b32 v5, v7
	v_dual_mov_b32 v9, v7 :: v_dual_mov_b32 v8, v6
	s_waitcnt lgkmcnt(0)
	s_bitcmp1_b32 s12, 0
	s_cselect_b32 s48, -1, 0
	s_bitcmp1_b32 s12, 16
	v_mov_b32_e32 v11, s5
	s_cselect_b32 s0, -1, 0
	s_lshr_b32 s1, s14, 16
	s_delay_alu instid0(SALU_CYCLE_1) | instskip(NEXT) | instid1(SALU_CYCLE_1)
	s_mul_i32 s1, s1, s15
	v_mul_lo_u32 v1, s1, v56
	s_xor_b32 s1, s0, -1
	s_bitcmp0_b32 s12, 0
	s_delay_alu instid0(VALU_DEP_1) | instskip(NEXT) | instid1(VALU_DEP_1)
	v_mad_u32_u24 v1, v2, s15, v1
	v_add_lshl_u32 v0, v1, v0, 3
	v_dual_mov_b32 v1, s8 :: v_dual_mov_b32 v2, s9
	s_delay_alu instid0(VALU_DEP_2)
	v_dual_mov_b32 v10, s4 :: v_dual_add_nc_u32 v3, 8, v0
	ds_store_2addr_stride64_b64 v3, v[10:11], v[1:2] offset0:64 offset1:68
	s_cbranch_scc1 .LBB243_3
; %bb.1:
	s_mov_b64 s[14:15], src_shared_base
	s_and_b32 s13, s0, exec_lo
	s_cselect_b32 s13, s15, s9
	s_delay_alu instid0(SALU_CYCLE_1) | instskip(SKIP_2) | instid1(VALU_DEP_2)
	v_dual_mov_b32 v2, s13 :: v_dual_add_nc_u32 v1, 0x8808, v0
	v_dual_mov_b32 v8, s10 :: v_dual_mov_b32 v9, s11
	s_and_not1_b32 vcc_lo, exec_lo, s1
	v_cndmask_b32_e64 v1, s8, v1, s0
	flat_load_b64 v[4:5], v[1:2]
	s_cbranch_vccnz .LBB243_3
; %bb.2:
	v_dual_mov_b32 v1, s8 :: v_dual_mov_b32 v2, s9
	flat_load_b64 v[8:9], v[1:2] offset:8
.LBB243_3:
	s_load_b64 s[8:9], s[2:3], 0x18
	s_bitcmp1_b32 s12, 8
	v_dual_mov_b32 v11, v7 :: v_dual_mov_b32 v10, v6
	s_cselect_b32 s33, -1, 0
	s_bfe_u32 s10, s12, 0x10008
	s_delay_alu instid0(SALU_CYCLE_1)
	s_cmp_eq_u32 s10, 0
	s_cbranch_scc1 .LBB243_6
; %bb.4:
	s_mov_b64 s[10:11], src_shared_base
	s_and_b32 s10, s0, exec_lo
	s_cselect_b32 s10, s11, s5
	s_delay_alu instid0(SALU_CYCLE_1) | instskip(SKIP_2) | instid1(VALU_DEP_2)
	v_dual_mov_b32 v1, s10 :: v_dual_add_nc_u32 v0, 0x8008, v0
	v_dual_mov_b32 v6, s6 :: v_dual_mov_b32 v7, s7
	s_and_not1_b32 vcc_lo, exec_lo, s1
	v_cndmask_b32_e64 v0, s4, v0, s0
	flat_load_b64 v[10:11], v[0:1]
	s_cbranch_vccnz .LBB243_6
; %bb.5:
	v_dual_mov_b32 v0, s4 :: v_dual_mov_b32 v1, s5
	flat_load_b64 v[6:7], v[0:1] offset:8
.LBB243_6:
	s_load_b64 s[0:1], s[2:3], 0x30
	s_waitcnt lgkmcnt(0)
	s_cmp_eq_u64 s[8:9], 0
	s_cbranch_scc1 .LBB243_8
; %bb.7:
	s_load_b64 s[4:5], s[2:3], 0x10
	s_waitcnt lgkmcnt(0)
	s_load_b32 s4, s[4:5], 0x0
	s_mov_b32 s5, 0
	s_waitcnt lgkmcnt(0)
	s_add_i32 s4, s4, s42
	s_delay_alu instid0(SALU_CYCLE_1) | instskip(NEXT) | instid1(SALU_CYCLE_1)
	s_lshl_b64 s[4:5], s[4:5], 2
	s_add_u32 s4, s8, s4
	s_addc_u32 s5, s9, s5
	s_load_b32 s42, s[4:5], 0x0
.LBB243_8:
	s_mov_b64 s[34:35], 0
	s_and_not1_b32 vcc_lo, exec_lo, s48
	s_mov_b64 s[36:37], 0
	s_cbranch_vccz .LBB243_11
; %bb.9:
	s_and_not1_b32 vcc_lo, exec_lo, s48
	s_cbranch_vccz .LBB243_12
.LBB243_10:
	s_load_b128 s[24:27], s[2:3], 0x0
	s_waitcnt lgkmcnt(0)
	s_cmp_lt_i32 s25, 1
	s_cbranch_scc0 .LBB243_13
	s_branch .LBB243_125
.LBB243_11:
	s_waitcnt lgkmcnt(0)
	s_ashr_i32 s43, s42, 31
	s_delay_alu instid0(SALU_CYCLE_1) | instskip(NEXT) | instid1(SALU_CYCLE_1)
	s_lshl_b64 s[4:5], s[42:43], 3
	s_add_u32 s4, s0, s4
	s_addc_u32 s5, s1, s5
	s_load_b64 s[4:5], s[4:5], 0x0
	s_waitcnt lgkmcnt(0)
	s_sub_u32 s36, s4, s20
	s_subb_u32 s37, s5, 0
	s_and_not1_b32 vcc_lo, exec_lo, s48
	s_cbranch_vccnz .LBB243_10
.LBB243_12:
	s_waitcnt lgkmcnt(0)
	s_ashr_i32 s43, s42, 31
	s_delay_alu instid0(SALU_CYCLE_1) | instskip(NEXT) | instid1(SALU_CYCLE_1)
	s_lshl_b64 s[4:5], s[42:43], 3
	s_add_u32 s0, s0, s4
	s_addc_u32 s1, s1, s5
	s_load_b64 s[0:1], s[0:1], 0x8
	s_waitcnt lgkmcnt(0)
	s_sub_u32 s34, s0, s20
	s_subb_u32 s35, s1, 0
	s_load_b128 s[24:27], s[2:3], 0x0
	s_waitcnt lgkmcnt(0)
	s_cmp_lt_i32 s25, 1
	s_cbranch_scc1 .LBB243_125
.LBB243_13:
	s_clause 0x4
	s_load_b256 s[4:11], s[2:3], 0x70
	s_load_b64 s[38:39], s[2:3], 0xa0
	s_load_b128 s[28:31], s[2:3], 0x90
	s_load_b64 s[44:45], s[2:3], 0x58
	s_load_b256 s[12:19], s[2:3], 0x38
	s_ashr_i32 s43, s42, 31
	v_lshrrev_b32_e32 v2, 3, v56
	s_lshl_b64 s[42:43], s[42:43], 3
	v_mov_b32_e32 v13, 0
	s_mov_b32 s41, 0
	v_cmp_lt_i64_e64 s27, s[36:37], s[34:35]
	v_lshlrev_b32_e32 v58, 5, v2
	v_mul_lo_u32 v12, v2, s26
	s_mov_b32 s64, s41
	s_mov_b32 s65, s41
	;; [unrolled: 1-line block ×4, first 2 shown]
	v_lshlrev_b32_e32 v27, 4, v2
	v_cmp_gt_i32_e32 vcc_lo, s26, v2
	s_mul_i32 s40, s26, s26
	s_waitcnt lgkmcnt(0)
	s_add_u32 s0, s10, s42
	s_addc_u32 s1, s11, s43
	v_lshlrev_b64 v[0:1], 4, v[12:13]
	s_load_b64 s[46:47], s[0:1], 0x0
	v_add_co_u32 v61, s3, s30, v27
	s_delay_alu instid0(VALU_DEP_1)
	v_add_co_ci_u32_e64 v62, null, s31, 0, s3
	s_mov_b32 s10, s23
	s_mov_b32 s11, s41
	v_cmp_gt_u32_e64 s0, 2, v56
	v_lshlrev_b32_e32 v72, 4, v56
	v_mov_b32_e32 v96, 1
	s_mov_b32 s63, 2
	s_mov_b32 s50, s21
	v_mov_b32_e32 v3, v13
	v_mov_b32_e32 v23, v13
	v_mov_b32_e32 v25, v13
	s_waitcnt lgkmcnt(0)
	s_sub_u32 s46, s46, s22
	s_subb_u32 s47, s47, 0
	v_and_b32_e32 v57, 7, v56
	s_cmp_eq_u32 s24, 0
	s_delay_alu instid0(VALU_DEP_1)
	v_mul_lo_u32 v12, v57, s26
	v_lshlrev_b32_e32 v26, 4, v57
	v_or_b32_e32 v16, 8, v57
	v_cmp_gt_u32_e64 s2, s26, v57
	v_or_b32_e32 v17, 16, v57
	v_or_b32_e32 v18, 24, v57
	v_add_co_u32 v59, s1, v0, v26
	v_lshlrev_b64 v[14:15], 4, v[12:13]
	v_add_co_ci_u32_e64 v60, s1, 0, v1, s1
	v_cmp_gt_u32_e64 s3, s26, v16
	v_or_b32_e32 v16, v58, v16
	s_delay_alu instid0(VALU_DEP_4) | instskip(NEXT) | instid1(VALU_DEP_1)
	v_add_co_u32 v28, s1, v27, v14
	v_add_co_ci_u32_e64 v29, s1, 0, v15, s1
	s_cselect_b32 s1, -1, 0
	s_cmp_lg_u32 s24, 0
	v_lshl_or_b32 v69, v16, 4, 0x4000
	s_cselect_b32 s24, -1, 0
	s_cmp_gt_i32 s26, 0
	v_or_b32_e32 v16, 0x400, v56
	s_cselect_b32 s51, -1, 0
	s_add_u32 s42, s4, s42
	v_add_co_u32 v63, s4, s30, v0
	s_addc_u32 s43, s5, s43
	v_add_co_ci_u32_e64 v64, s4, s31, v1, s4
	s_and_b32 s53, vcc_lo, s2
	s_and_b32 s54, vcc_lo, s3
	v_cmp_gt_u32_e64 s2, s26, v17
	v_cmp_gt_u32_e64 s3, s26, v18
	s_lshl_b32 s4, s26, 3
	s_and_b32 s52, s48, s27
	v_add_nc_u32_e32 v2, s4, v12
	s_and_b32 s55, vcc_lo, s2
	s_and_b32 s56, vcc_lo, s3
	s_add_u32 s57, s16, 8
	s_addc_u32 s58, s17, 0
	s_mul_i32 s2, s37, s40
	s_mul_hi_u32 s3, s36, s40
	v_add_nc_u32_e32 v22, s4, v2
	s_add_u32 s59, s28, -4
	s_addc_u32 s60, s29, -1
	s_add_i32 s3, s3, s2
	s_mul_i32 s2, s36, s40
	v_or_b32_e32 v17, v58, v17
	s_lshl_b64 s[2:3], s[2:3], 4
	v_or_b32_e32 v18, v58, v18
	v_add_nc_u32_e32 v24, s4, v22
	s_add_u32 s4, s14, s2
	v_lshl_or_b32 v70, v17, 4, 0x4000
	s_addc_u32 s3, s15, s3
	v_add_co_u32 v17, s2, s4, v27
	v_lshl_or_b32 v71, v18, 4, 0x4000
	v_add_co_ci_u32_e64 v18, null, s3, 0, s2
	v_cmp_gt_u32_e64 s2, 0x700, v16
	s_delay_alu instid0(VALU_DEP_4) | instskip(NEXT) | instid1(VALU_DEP_3)
	v_add_co_u32 v16, vcc_lo, v17, 8
	v_add_co_ci_u32_e32 v17, vcc_lo, 0, v18, vcc_lo
	v_add_co_u32 v18, vcc_lo, v14, s44
	v_add_co_ci_u32_e32 v19, vcc_lo, s45, v15, vcc_lo
	;; [unrolled: 2-line block ×3, first 2 shown]
	s_delay_alu instid0(VALU_DEP_4)
	v_add_co_u32 v73, vcc_lo, v18, 8
	v_lshlrev_b64 v[20:21], 4, v[2:3]
	v_add_co_ci_u32_e32 v74, vcc_lo, 0, v19, vcc_lo
	v_add_co_u32 v18, vcc_lo, v0, 8
	v_add_co_u32 v0, s3, v26, s44
	v_add_co_ci_u32_e32 v19, vcc_lo, 0, v1, vcc_lo
	v_add_co_ci_u32_e64 v1, null, 0, s45, s3
	v_add_co_u32 v2, vcc_lo, v20, s44
	v_add_co_ci_u32_e32 v3, vcc_lo, s45, v21, vcc_lo
	v_add_co_u32 v75, vcc_lo, v0, 8
	s_delay_alu instid0(VALU_DEP_4) | instskip(NEXT) | instid1(VALU_DEP_4)
	v_add_co_ci_u32_e32 v76, vcc_lo, 0, v1, vcc_lo
	v_add_co_u32 v77, vcc_lo, v2, 8
	v_lshlrev_b64 v[22:23], 4, v[22:23]
	v_add_co_ci_u32_e32 v78, vcc_lo, 0, v3, vcc_lo
	v_add_co_u32 v79, vcc_lo, 0x80, v0
	v_add_co_ci_u32_e32 v80, vcc_lo, 0, v1, vcc_lo
	s_delay_alu instid0(VALU_DEP_4) | instskip(SKIP_2) | instid1(VALU_DEP_3)
	v_add_co_u32 v2, vcc_lo, v22, s44
	v_add_co_ci_u32_e32 v3, vcc_lo, s45, v23, vcc_lo
	v_lshlrev_b64 v[24:25], 4, v[24:25]
	v_add_co_u32 v81, vcc_lo, v2, 8
	s_delay_alu instid0(VALU_DEP_3) | instskip(SKIP_1) | instid1(VALU_DEP_3)
	v_add_co_ci_u32_e32 v82, vcc_lo, 0, v3, vcc_lo
	s_mov_b32 s27, s41
	v_add_co_u32 v2, vcc_lo, v24, s44
	s_delay_alu instid0(VALU_DEP_4) | instskip(SKIP_2) | instid1(VALU_DEP_4)
	v_add_co_ci_u32_e32 v3, vcc_lo, s45, v25, vcc_lo
	v_add_co_u32 v83, vcc_lo, 0x100, v0
	v_add_co_ci_u32_e32 v84, vcc_lo, 0, v1, vcc_lo
	v_add_co_u32 v85, vcc_lo, v2, 8
	s_delay_alu instid0(VALU_DEP_4)
	v_add_co_ci_u32_e32 v86, vcc_lo, 0, v3, vcc_lo
	v_add_co_u32 v87, vcc_lo, 0x180, v0
	v_add_co_ci_u32_e32 v88, vcc_lo, 0, v1, vcc_lo
	v_dual_mov_b32 v0, s64 :: v_dual_mov_b32 v1, s65
	v_add_co_u32 v89, vcc_lo, v27, v20
	v_add_co_ci_u32_e32 v90, vcc_lo, 0, v21, vcc_lo
	v_add_co_u32 v91, vcc_lo, v27, v22
	v_add_co_ci_u32_e32 v92, vcc_lo, 0, v23, vcc_lo
	v_add_co_u32 v93, vcc_lo, v27, v24
	v_mov_b32_e32 v26, s46
	v_or_b32_e32 v12, v58, v57
	s_lshl_b64 s[4:5], s[10:11], 2
	s_lshl_b64 s[14:15], s[40:41], 4
	;; [unrolled: 1-line block ×3, first 2 shown]
	s_sub_u32 s11, s6, s4
	v_dual_mov_b32 v27, s47 :: v_dual_lshlrev_b32 v12, 4, v12
	v_add_co_ci_u32_e32 v94, vcc_lo, 0, v25, vcc_lo
	v_mov_b32_e32 v2, s66
	s_delay_alu instid0(VALU_DEP_3)
	v_or_b32_e32 v65, 0x80, v12
	v_or_b32_e32 v66, 0x100, v12
	;; [unrolled: 1-line block ×4, first 2 shown]
	v_mov_b32_e32 v3, s67
	v_cndmask_b32_e64 v95, 0, 1, s51
	v_cndmask_b32_e64 v97, v29, v60, s1
	v_cndmask_b32_e64 v98, v28, v59, s1
	s_subb_u32 s27, s7, s5
	s_sub_u32 s61, 1, s23
	s_subb_u32 s62, 0, 0
	s_branch .LBB243_16
.LBB243_14:                             ;   in Loop: Header=BB243_16 Depth=1
	s_or_b32 exec_lo, exec_lo, s4
.LBB243_15:                             ;   in Loop: Header=BB243_16 Depth=1
	s_min_i32 s41, s3, s25
	s_delay_alu instid0(VALU_DEP_1)
	v_dual_mov_b32 v26, v28 :: v_dual_mov_b32 v27, v29
	s_add_i32 s63, s41, 2
	s_cmp_lt_i32 s3, s25
	s_waitcnt_vscnt null, 0x0
	s_barrier
	buffer_gl0_inv
	s_barrier
	buffer_gl0_inv
	s_cbranch_scc0 .LBB243_125
.LBB243_16:                             ; =>This Loop Header: Depth=1
                                        ;     Child Loop BB243_22 Depth 2
                                        ;       Child Loop BB243_27 Depth 3
                                        ;         Child Loop BB243_39 Depth 4
                                        ;         Child Loop BB243_44 Depth 4
	;; [unrolled: 1-line block ×8, first 2 shown]
                                        ;     Child Loop BB243_86 Depth 2
	s_and_saveexec_b32 s3, s0
	s_cbranch_execz .LBB243_18
; %bb.17:                               ;   in Loop: Header=BB243_16 Depth=1
	ds_store_b8 v56, v13 offset:32768
.LBB243_18:                             ;   in Loop: Header=BB243_16 Depth=1
	s_or_b32 exec_lo, exec_lo, s3
	ds_store_b128 v72, v[0:3]
	ds_store_b128 v72, v[0:3] offset:4096
	ds_store_b128 v72, v[0:3] offset:8192
	;; [unrolled: 1-line block ×4, first 2 shown]
	s_and_saveexec_b32 s3, s2
	s_delay_alu instid0(SALU_CYCLE_1)
	s_xor_b32 s3, exec_lo, s3
	s_cbranch_execz .LBB243_20
; %bb.19:                               ;   in Loop: Header=BB243_16 Depth=1
	ds_store_b128 v72, v[0:3] offset:20480
	ds_store_b128 v72, v[0:3] offset:24576
	ds_store_b128 v72, v[0:3] offset:28672
.LBB243_20:                             ;   in Loop: Header=BB243_16 Depth=1
	s_or_b32 exec_lo, exec_lo, s3
	s_delay_alu instid0(SALU_CYCLE_1)
	s_and_not1_b32 vcc_lo, exec_lo, s52
	s_mov_b32 s3, s25
	s_waitcnt vmcnt(0) lgkmcnt(0)
	s_barrier
	buffer_gl0_inv
	s_cbranch_vccnz .LBB243_83
; %bb.21:                               ;   in Loop: Header=BB243_16 Depth=1
	v_dual_mov_b32 v29, v19 :: v_dual_mov_b32 v28, v18
	v_dual_mov_b32 v31, v17 :: v_dual_mov_b32 v30, v16
	s_cmp_lg_u32 s41, 0
	s_mov_b32 s65, s25
	s_cselect_b32 s64, -1, 0
	s_mov_b64 s[4:5], s[36:37]
.LBB243_22:                             ;   Parent Loop BB243_16 Depth=1
                                        ; =>  This Loop Header: Depth=2
                                        ;       Child Loop BB243_27 Depth 3
                                        ;         Child Loop BB243_39 Depth 4
                                        ;         Child Loop BB243_44 Depth 4
	;; [unrolled: 1-line block ×8, first 2 shown]
	s_delay_alu instid0(SALU_CYCLE_1) | instskip(NEXT) | instid1(SALU_CYCLE_1)
	s_lshl_b64 s[6:7], s[4:5], 2
	s_add_u32 s6, s12, s6
	s_addc_u32 s7, s13, s7
	s_and_b32 vcc_lo, exec_lo, s64
	s_load_b32 s3, s[6:7], 0x0
	s_waitcnt lgkmcnt(0)
	s_sub_i32 s6, s3, s20
	s_cbranch_vccz .LBB243_82
; %bb.23:                               ;   in Loop: Header=BB243_22 Depth=2
	s_lshl_b64 s[44:45], s[4:5], 3
	s_delay_alu instid0(SALU_CYCLE_1)
	s_add_u32 s44, s38, s44
	s_addc_u32 s45, s39, s45
	s_ashr_i32 s7, s6, 31
	global_load_b64 v[32:33], v13, s[44:45]
	s_waitcnt vmcnt(0)
	v_readfirstlane_b32 s44, v32
	v_readfirstlane_b32 s45, v33
	s_cbranch_execnz .LBB243_25
.LBB243_24:                             ;   in Loop: Header=BB243_22 Depth=2
	s_ashr_i32 s7, s6, 31
	s_delay_alu instid0(SALU_CYCLE_1) | instskip(NEXT) | instid1(SALU_CYCLE_1)
	s_lshl_b64 s[44:45], s[6:7], 3
	s_add_u32 s44, s16, s44
	s_addc_u32 s45, s17, s45
	s_load_b64 s[44:45], s[44:45], 0x0
	s_waitcnt lgkmcnt(0)
	s_sub_u32 s44, s44, s50
	s_subb_u32 s45, s45, 0
.LBB243_25:                             ;   in Loop: Header=BB243_22 Depth=2
	s_lshl_b64 s[6:7], s[6:7], 3
	s_delay_alu instid0(SALU_CYCLE_1)
	s_add_u32 s6, s57, s6
	s_addc_u32 s7, s58, s7
	s_load_b64 s[6:7], s[6:7], 0x0
	s_waitcnt lgkmcnt(0)
	s_sub_u32 s6, s6, s50
	s_subb_u32 s7, s7, 0
	s_delay_alu instid0(SALU_CYCLE_1) | instskip(NEXT) | instid1(VALU_DEP_1)
	v_cmp_ge_i64_e64 s3, s[44:45], s[6:7]
	s_and_b32 vcc_lo, exec_lo, s3
	s_cbranch_vccnz .LBB243_79
; %bb.26:                               ;   in Loop: Header=BB243_22 Depth=2
	s_mul_i32 s3, s14, s45
	s_mul_hi_u32 s46, s14, s44
	s_mul_i32 s47, s15, s44
	s_add_i32 s3, s46, s3
	s_mul_i32 s46, s14, s44
	s_add_i32 s3, s3, s47
	v_add_co_u32 v32, vcc_lo, v73, s46
	v_add_co_ci_u32_e32 v33, vcc_lo, s3, v74, vcc_lo
	v_add_co_u32 v34, vcc_lo, v75, s46
	v_add_co_ci_u32_e32 v35, vcc_lo, s3, v76, vcc_lo
	;; [unrolled: 2-line block ×8, first 2 shown]
	s_mov_b64 s[46:47], s[44:45]
.LBB243_27:                             ;   Parent Loop BB243_16 Depth=1
                                        ;     Parent Loop BB243_22 Depth=2
                                        ; =>    This Loop Header: Depth=3
                                        ;         Child Loop BB243_39 Depth 4
                                        ;         Child Loop BB243_44 Depth 4
	;; [unrolled: 1-line block ×8, first 2 shown]
	s_delay_alu instid0(SALU_CYCLE_1)
	s_lshl_b64 s[48:49], s[46:47], 2
	s_mov_b32 s68, -1
	s_add_u32 s48, s18, s48
	s_addc_u32 s49, s19, s49
                                        ; implicit-def: $sgpr66
	s_load_b32 s3, s[48:49], 0x0
                                        ; implicit-def: $sgpr48_sgpr49
	s_waitcnt lgkmcnt(0)
	s_sub_i32 s67, s3, s21
	s_delay_alu instid0(SALU_CYCLE_1) | instskip(SKIP_3) | instid1(SALU_CYCLE_1)
	s_cmp_lt_i32 s67, s41
	s_cselect_b32 s3, -1, 0
	s_cmp_ge_i32 s67, s63
	s_cselect_b32 s69, -1, 0
	s_or_b32 s3, s3, s69
	s_delay_alu instid0(SALU_CYCLE_1)
	s_and_b32 vcc_lo, exec_lo, s3
                                        ; implicit-def: $sgpr3
	s_cbranch_vccz .LBB243_31
; %bb.28:                               ;   in Loop: Header=BB243_27 Depth=3
	s_mov_b32 s66, -1
	s_and_not1_b32 vcc_lo, exec_lo, s69
	s_mov_b32 s3, s65
	s_mov_b64 s[48:49], s[44:45]
	s_cbranch_vccnz .LBB243_30
; %bb.29:                               ;   in Loop: Header=BB243_27 Depth=3
	s_min_i32 s3, s67, s65
	s_mov_b32 s66, 0
	s_mov_b64 s[48:49], s[46:47]
.LBB243_30:                             ;   in Loop: Header=BB243_27 Depth=3
	s_mov_b32 s68, 0
.LBB243_31:                             ;   in Loop: Header=BB243_27 Depth=3
	s_delay_alu instid0(SALU_CYCLE_1)
	s_and_not1_b32 vcc_lo, exec_lo, s68
	s_cbranch_vccnz .LBB243_77
; %bb.32:                               ;   in Loop: Header=BB243_27 Depth=3
	s_sub_i32 s3, s67, s41
	s_delay_alu instid0(SALU_CYCLE_1)
	v_mov_b32_e32 v48, s3
	v_lshl_or_b32 v99, s3, 10, v58
	ds_store_b8 v48, v96 offset:32768
	s_and_saveexec_b32 s48, s53
	s_cbranch_execnz .LBB243_36
; %bb.33:                               ;   in Loop: Header=BB243_27 Depth=3
	s_or_b32 exec_lo, exec_lo, s48
	s_and_saveexec_b32 s3, s54
	s_cbranch_execnz .LBB243_46
.LBB243_34:                             ;   in Loop: Header=BB243_27 Depth=3
	s_or_b32 exec_lo, exec_lo, s3
	s_and_saveexec_b32 s3, s55
	s_cbranch_execnz .LBB243_56
.LBB243_35:                             ;   in Loop: Header=BB243_27 Depth=3
	s_or_b32 exec_lo, exec_lo, s3
	s_and_saveexec_b32 s3, s56
	s_cbranch_execnz .LBB243_66
	s_branch .LBB243_76
.LBB243_36:                             ;   in Loop: Header=BB243_27 Depth=3
	v_cmp_ne_u32_e64 s3, 1, v95
	s_and_not1_b32 vcc_lo, exec_lo, s24
	s_cbranch_vccnz .LBB243_41
; %bb.37:                               ;   in Loop: Header=BB243_27 Depth=3
	v_mov_b32_e32 v48, 0
	v_mov_b32_e32 v49, 0
	s_and_b32 vcc_lo, exec_lo, s3
	s_delay_alu instid0(VALU_DEP_1)
	v_dual_mov_b32 v51, v49 :: v_dual_mov_b32 v50, v48
	s_cbranch_vccnz .LBB243_40
; %bb.38:                               ;   in Loop: Header=BB243_27 Depth=3
	v_dual_mov_b32 v48, 0 :: v_dual_mov_b32 v53, v33
	v_dual_mov_b32 v49, 0 :: v_dual_mov_b32 v52, v32
	v_dual_mov_b32 v55, v31 :: v_dual_mov_b32 v54, v30
	s_mov_b32 s3, s26
	s_delay_alu instid0(VALU_DEP_2)
	v_dual_mov_b32 v51, v49 :: v_dual_mov_b32 v50, v48
	.p2align	6
.LBB243_39:                             ;   Parent Loop BB243_16 Depth=1
                                        ;     Parent Loop BB243_22 Depth=2
                                        ;       Parent Loop BB243_27 Depth=3
                                        ; =>      This Inner Loop Header: Depth=4
	global_load_b128 v[100:103], v[54:55], off offset:-8
	global_load_b128 v[104:107], v[52:53], off offset:-8
	v_add_co_u32 v54, vcc_lo, v54, s30
	v_add_co_ci_u32_e32 v55, vcc_lo, s31, v55, vcc_lo
	v_add_co_u32 v52, vcc_lo, v52, 16
	v_add_co_ci_u32_e32 v53, vcc_lo, 0, v53, vcc_lo
	s_add_i32 s3, s3, -1
	s_delay_alu instid0(SALU_CYCLE_1) | instskip(SKIP_3) | instid1(VALU_DEP_2)
	s_cmp_lg_u32 s3, 0
	s_waitcnt vmcnt(0)
	v_fma_f64 v[48:49], v[100:101], v[104:105], v[48:49]
	v_fma_f64 v[50:51], v[102:103], v[104:105], v[50:51]
	v_fma_f64 v[48:49], -v[102:103], v[106:107], v[48:49]
	s_delay_alu instid0(VALU_DEP_2)
	v_fma_f64 v[50:51], v[100:101], v[106:107], v[50:51]
	s_cbranch_scc1 .LBB243_39
.LBB243_40:                             ;   in Loop: Header=BB243_27 Depth=3
	s_cbranch_execz .LBB243_42
	s_branch .LBB243_45
.LBB243_41:                             ;   in Loop: Header=BB243_27 Depth=3
                                        ; implicit-def: $vgpr48_vgpr49
                                        ; implicit-def: $vgpr50_vgpr51
.LBB243_42:                             ;   in Loop: Header=BB243_27 Depth=3
	v_mov_b32_e32 v48, 0
	v_mov_b32_e32 v49, 0
	s_and_not1_b32 vcc_lo, exec_lo, s51
	s_delay_alu instid0(VALU_DEP_1)
	v_dual_mov_b32 v51, v49 :: v_dual_mov_b32 v50, v48
	s_cbranch_vccnz .LBB243_45
; %bb.43:                               ;   in Loop: Header=BB243_27 Depth=3
	v_dual_mov_b32 v48, 0 :: v_dual_mov_b32 v53, v35
	v_dual_mov_b32 v49, 0 :: v_dual_mov_b32 v52, v34
	;; [unrolled: 1-line block ×3, first 2 shown]
	s_mov_b32 s3, s26
	s_delay_alu instid0(VALU_DEP_2)
	v_dual_mov_b32 v51, v49 :: v_dual_mov_b32 v50, v48
	.p2align	6
.LBB243_44:                             ;   Parent Loop BB243_16 Depth=1
                                        ;     Parent Loop BB243_22 Depth=2
                                        ;       Parent Loop BB243_27 Depth=3
                                        ; =>      This Inner Loop Header: Depth=4
	global_load_b128 v[100:103], v[54:55], off offset:-8
	global_load_b128 v[104:107], v[52:53], off offset:-8
	v_add_co_u32 v54, vcc_lo, v54, 16
	v_add_co_ci_u32_e32 v55, vcc_lo, 0, v55, vcc_lo
	v_add_co_u32 v52, vcc_lo, v52, s30
	v_add_co_ci_u32_e32 v53, vcc_lo, s31, v53, vcc_lo
	s_add_i32 s3, s3, -1
	s_delay_alu instid0(SALU_CYCLE_1) | instskip(SKIP_3) | instid1(VALU_DEP_2)
	s_cmp_eq_u32 s3, 0
	s_waitcnt vmcnt(0)
	v_fma_f64 v[48:49], v[100:101], v[104:105], v[48:49]
	v_fma_f64 v[50:51], v[102:103], v[104:105], v[50:51]
	v_fma_f64 v[48:49], -v[102:103], v[106:107], v[48:49]
	s_delay_alu instid0(VALU_DEP_2)
	v_fma_f64 v[50:51], v[100:101], v[106:107], v[50:51]
	s_cbranch_scc0 .LBB243_44
.LBB243_45:                             ;   in Loop: Header=BB243_27 Depth=3
	v_or_b32_e32 v52, v99, v57
	s_delay_alu instid0(VALU_DEP_1) | instskip(SKIP_4) | instid1(VALU_DEP_2)
	v_lshlrev_b32_e32 v100, 4, v52
	ds_load_b128 v[52:55], v100
	s_waitcnt lgkmcnt(0)
	v_fma_f64 v[52:53], v[4:5], v[48:49], v[52:53]
	v_fma_f64 v[54:55], v[8:9], v[48:49], v[54:55]
	v_fma_f64 v[48:49], -v[8:9], v[50:51], v[52:53]
	s_delay_alu instid0(VALU_DEP_2)
	v_fma_f64 v[50:51], v[4:5], v[50:51], v[54:55]
	ds_store_b128 v100, v[48:51]
	s_or_b32 exec_lo, exec_lo, s48
	s_and_saveexec_b32 s3, s54
	s_cbranch_execz .LBB243_34
.LBB243_46:                             ;   in Loop: Header=BB243_27 Depth=3
	s_and_not1_b32 vcc_lo, exec_lo, s24
	s_cbranch_vccnz .LBB243_51
; %bb.47:                               ;   in Loop: Header=BB243_27 Depth=3
	v_mov_b32_e32 v48, 0
	v_mov_b32_e32 v49, 0
	s_and_not1_b32 vcc_lo, exec_lo, s51
	s_delay_alu instid0(VALU_DEP_1)
	v_dual_mov_b32 v51, v49 :: v_dual_mov_b32 v50, v48
	s_cbranch_vccnz .LBB243_50
; %bb.48:                               ;   in Loop: Header=BB243_27 Depth=3
	v_dual_mov_b32 v48, 0 :: v_dual_mov_b32 v53, v37
	v_dual_mov_b32 v49, 0 :: v_dual_mov_b32 v52, v36
	;; [unrolled: 1-line block ×3, first 2 shown]
	s_mov_b32 s48, s26
	s_delay_alu instid0(VALU_DEP_2)
	v_dual_mov_b32 v51, v49 :: v_dual_mov_b32 v50, v48
	.p2align	6
.LBB243_49:                             ;   Parent Loop BB243_16 Depth=1
                                        ;     Parent Loop BB243_22 Depth=2
                                        ;       Parent Loop BB243_27 Depth=3
                                        ; =>      This Inner Loop Header: Depth=4
	global_load_b128 v[100:103], v[54:55], off offset:-8
	global_load_b128 v[104:107], v[52:53], off offset:-8
	v_add_co_u32 v54, vcc_lo, v54, s30
	v_add_co_ci_u32_e32 v55, vcc_lo, s31, v55, vcc_lo
	v_add_co_u32 v52, vcc_lo, v52, 16
	v_add_co_ci_u32_e32 v53, vcc_lo, 0, v53, vcc_lo
	s_add_i32 s48, s48, -1
	s_delay_alu instid0(SALU_CYCLE_1) | instskip(SKIP_3) | instid1(VALU_DEP_2)
	s_cmp_eq_u32 s48, 0
	s_waitcnt vmcnt(0)
	v_fma_f64 v[48:49], v[100:101], v[104:105], v[48:49]
	v_fma_f64 v[50:51], v[102:103], v[104:105], v[50:51]
	v_fma_f64 v[48:49], -v[102:103], v[106:107], v[48:49]
	s_delay_alu instid0(VALU_DEP_2)
	v_fma_f64 v[50:51], v[100:101], v[106:107], v[50:51]
	s_cbranch_scc0 .LBB243_49
.LBB243_50:                             ;   in Loop: Header=BB243_27 Depth=3
	s_cbranch_execz .LBB243_52
	s_branch .LBB243_55
.LBB243_51:                             ;   in Loop: Header=BB243_27 Depth=3
                                        ; implicit-def: $vgpr48_vgpr49
                                        ; implicit-def: $vgpr50_vgpr51
.LBB243_52:                             ;   in Loop: Header=BB243_27 Depth=3
	v_mov_b32_e32 v48, 0
	v_mov_b32_e32 v49, 0
	s_and_not1_b32 vcc_lo, exec_lo, s51
	s_delay_alu instid0(VALU_DEP_1)
	v_dual_mov_b32 v51, v49 :: v_dual_mov_b32 v50, v48
	s_cbranch_vccnz .LBB243_55
; %bb.53:                               ;   in Loop: Header=BB243_27 Depth=3
	v_dual_mov_b32 v48, 0 :: v_dual_mov_b32 v53, v29
	v_dual_mov_b32 v49, 0 :: v_dual_mov_b32 v52, v28
	;; [unrolled: 1-line block ×3, first 2 shown]
	s_mov_b32 s48, s26
	s_delay_alu instid0(VALU_DEP_2)
	v_dual_mov_b32 v51, v49 :: v_dual_mov_b32 v50, v48
	.p2align	6
.LBB243_54:                             ;   Parent Loop BB243_16 Depth=1
                                        ;     Parent Loop BB243_22 Depth=2
                                        ;       Parent Loop BB243_27 Depth=3
                                        ; =>      This Inner Loop Header: Depth=4
	global_load_b128 v[100:103], v[52:53], off offset:-8
	global_load_b128 v[104:107], v[54:55], off
	v_add_co_u32 v54, vcc_lo, v54, s30
	v_add_co_ci_u32_e32 v55, vcc_lo, s31, v55, vcc_lo
	v_add_co_u32 v52, vcc_lo, v52, 16
	v_add_co_ci_u32_e32 v53, vcc_lo, 0, v53, vcc_lo
	s_add_i32 s48, s48, -1
	s_delay_alu instid0(SALU_CYCLE_1) | instskip(SKIP_3) | instid1(VALU_DEP_2)
	s_cmp_eq_u32 s48, 0
	s_waitcnt vmcnt(0)
	v_fma_f64 v[48:49], v[100:101], v[104:105], v[48:49]
	v_fma_f64 v[50:51], v[102:103], v[104:105], v[50:51]
	v_fma_f64 v[48:49], -v[102:103], v[106:107], v[48:49]
	s_delay_alu instid0(VALU_DEP_2)
	v_fma_f64 v[50:51], v[100:101], v[106:107], v[50:51]
	s_cbranch_scc0 .LBB243_54
.LBB243_55:                             ;   in Loop: Header=BB243_27 Depth=3
	v_add_lshl_u32 v100, v99, v57, 4
	ds_load_b128 v[52:55], v100 offset:128
	s_waitcnt lgkmcnt(0)
	v_fma_f64 v[52:53], v[4:5], v[48:49], v[52:53]
	v_fma_f64 v[54:55], v[8:9], v[48:49], v[54:55]
	s_delay_alu instid0(VALU_DEP_2) | instskip(NEXT) | instid1(VALU_DEP_2)
	v_fma_f64 v[48:49], -v[8:9], v[50:51], v[52:53]
	v_fma_f64 v[50:51], v[4:5], v[50:51], v[54:55]
	ds_store_b128 v100, v[48:51] offset:128
	s_or_b32 exec_lo, exec_lo, s3
	s_and_saveexec_b32 s3, s55
	s_cbranch_execz .LBB243_35
.LBB243_56:                             ;   in Loop: Header=BB243_27 Depth=3
	s_and_not1_b32 vcc_lo, exec_lo, s24
	s_cbranch_vccnz .LBB243_61
; %bb.57:                               ;   in Loop: Header=BB243_27 Depth=3
	v_mov_b32_e32 v48, 0
	v_mov_b32_e32 v49, 0
	s_and_not1_b32 vcc_lo, exec_lo, s51
	s_delay_alu instid0(VALU_DEP_1)
	v_dual_mov_b32 v51, v49 :: v_dual_mov_b32 v50, v48
	s_cbranch_vccnz .LBB243_60
; %bb.58:                               ;   in Loop: Header=BB243_27 Depth=3
	v_dual_mov_b32 v48, 0 :: v_dual_mov_b32 v53, v41
	v_dual_mov_b32 v49, 0 :: v_dual_mov_b32 v52, v40
	;; [unrolled: 1-line block ×3, first 2 shown]
	s_mov_b32 s48, s26
	s_delay_alu instid0(VALU_DEP_2)
	v_dual_mov_b32 v51, v49 :: v_dual_mov_b32 v50, v48
	.p2align	6
.LBB243_59:                             ;   Parent Loop BB243_16 Depth=1
                                        ;     Parent Loop BB243_22 Depth=2
                                        ;       Parent Loop BB243_27 Depth=3
                                        ; =>      This Inner Loop Header: Depth=4
	global_load_b128 v[100:103], v[54:55], off offset:-8
	global_load_b128 v[104:107], v[52:53], off offset:-8
	v_add_co_u32 v54, vcc_lo, v54, s30
	v_add_co_ci_u32_e32 v55, vcc_lo, s31, v55, vcc_lo
	v_add_co_u32 v52, vcc_lo, v52, 16
	v_add_co_ci_u32_e32 v53, vcc_lo, 0, v53, vcc_lo
	s_add_i32 s48, s48, -1
	s_delay_alu instid0(SALU_CYCLE_1) | instskip(SKIP_3) | instid1(VALU_DEP_2)
	s_cmp_eq_u32 s48, 0
	s_waitcnt vmcnt(0)
	v_fma_f64 v[48:49], v[100:101], v[104:105], v[48:49]
	v_fma_f64 v[50:51], v[102:103], v[104:105], v[50:51]
	v_fma_f64 v[48:49], -v[102:103], v[106:107], v[48:49]
	s_delay_alu instid0(VALU_DEP_2)
	v_fma_f64 v[50:51], v[100:101], v[106:107], v[50:51]
	s_cbranch_scc0 .LBB243_59
.LBB243_60:                             ;   in Loop: Header=BB243_27 Depth=3
	s_cbranch_execz .LBB243_62
	s_branch .LBB243_65
.LBB243_61:                             ;   in Loop: Header=BB243_27 Depth=3
                                        ; implicit-def: $vgpr48_vgpr49
                                        ; implicit-def: $vgpr50_vgpr51
.LBB243_62:                             ;   in Loop: Header=BB243_27 Depth=3
	v_mov_b32_e32 v48, 0
	v_mov_b32_e32 v49, 0
	s_and_not1_b32 vcc_lo, exec_lo, s51
	s_delay_alu instid0(VALU_DEP_1)
	v_dual_mov_b32 v51, v49 :: v_dual_mov_b32 v50, v48
	s_cbranch_vccnz .LBB243_65
; %bb.63:                               ;   in Loop: Header=BB243_27 Depth=3
	v_dual_mov_b32 v48, 0 :: v_dual_mov_b32 v53, v29
	v_dual_mov_b32 v49, 0 :: v_dual_mov_b32 v52, v28
	;; [unrolled: 1-line block ×3, first 2 shown]
	s_mov_b32 s48, s26
	s_delay_alu instid0(VALU_DEP_2)
	v_dual_mov_b32 v51, v49 :: v_dual_mov_b32 v50, v48
	.p2align	6
.LBB243_64:                             ;   Parent Loop BB243_16 Depth=1
                                        ;     Parent Loop BB243_22 Depth=2
                                        ;       Parent Loop BB243_27 Depth=3
                                        ; =>      This Inner Loop Header: Depth=4
	global_load_b128 v[100:103], v[52:53], off offset:-8
	global_load_b128 v[104:107], v[54:55], off
	v_add_co_u32 v54, vcc_lo, v54, s30
	v_add_co_ci_u32_e32 v55, vcc_lo, s31, v55, vcc_lo
	v_add_co_u32 v52, vcc_lo, v52, 16
	v_add_co_ci_u32_e32 v53, vcc_lo, 0, v53, vcc_lo
	s_add_i32 s48, s48, -1
	s_delay_alu instid0(SALU_CYCLE_1) | instskip(SKIP_3) | instid1(VALU_DEP_2)
	s_cmp_eq_u32 s48, 0
	s_waitcnt vmcnt(0)
	v_fma_f64 v[48:49], v[100:101], v[104:105], v[48:49]
	v_fma_f64 v[50:51], v[102:103], v[104:105], v[50:51]
	v_fma_f64 v[48:49], -v[102:103], v[106:107], v[48:49]
	s_delay_alu instid0(VALU_DEP_2)
	v_fma_f64 v[50:51], v[100:101], v[106:107], v[50:51]
	s_cbranch_scc0 .LBB243_64
.LBB243_65:                             ;   in Loop: Header=BB243_27 Depth=3
	v_add_lshl_u32 v100, v99, v57, 4
	ds_load_b128 v[52:55], v100 offset:256
	s_waitcnt lgkmcnt(0)
	v_fma_f64 v[52:53], v[4:5], v[48:49], v[52:53]
	v_fma_f64 v[54:55], v[8:9], v[48:49], v[54:55]
	s_delay_alu instid0(VALU_DEP_2) | instskip(NEXT) | instid1(VALU_DEP_2)
	v_fma_f64 v[48:49], -v[8:9], v[50:51], v[52:53]
	v_fma_f64 v[50:51], v[4:5], v[50:51], v[54:55]
	ds_store_b128 v100, v[48:51] offset:256
	s_or_b32 exec_lo, exec_lo, s3
	s_and_saveexec_b32 s3, s56
	s_cbranch_execz .LBB243_76
.LBB243_66:                             ;   in Loop: Header=BB243_27 Depth=3
	s_and_not1_b32 vcc_lo, exec_lo, s24
	s_cbranch_vccnz .LBB243_71
; %bb.67:                               ;   in Loop: Header=BB243_27 Depth=3
	v_mov_b32_e32 v48, 0
	v_mov_b32_e32 v49, 0
	s_and_not1_b32 vcc_lo, exec_lo, s51
	s_delay_alu instid0(VALU_DEP_1)
	v_dual_mov_b32 v51, v49 :: v_dual_mov_b32 v50, v48
	s_cbranch_vccnz .LBB243_70
; %bb.68:                               ;   in Loop: Header=BB243_27 Depth=3
	v_dual_mov_b32 v48, 0 :: v_dual_mov_b32 v53, v45
	v_dual_mov_b32 v49, 0 :: v_dual_mov_b32 v52, v44
	;; [unrolled: 1-line block ×3, first 2 shown]
	s_mov_b32 s48, s26
	s_delay_alu instid0(VALU_DEP_2)
	v_dual_mov_b32 v51, v49 :: v_dual_mov_b32 v50, v48
	.p2align	6
.LBB243_69:                             ;   Parent Loop BB243_16 Depth=1
                                        ;     Parent Loop BB243_22 Depth=2
                                        ;       Parent Loop BB243_27 Depth=3
                                        ; =>      This Inner Loop Header: Depth=4
	global_load_b128 v[100:103], v[54:55], off offset:-8
	global_load_b128 v[104:107], v[52:53], off offset:-8
	v_add_co_u32 v54, vcc_lo, v54, s30
	v_add_co_ci_u32_e32 v55, vcc_lo, s31, v55, vcc_lo
	v_add_co_u32 v52, vcc_lo, v52, 16
	v_add_co_ci_u32_e32 v53, vcc_lo, 0, v53, vcc_lo
	s_add_i32 s48, s48, -1
	s_delay_alu instid0(SALU_CYCLE_1) | instskip(SKIP_3) | instid1(VALU_DEP_2)
	s_cmp_eq_u32 s48, 0
	s_waitcnt vmcnt(0)
	v_fma_f64 v[48:49], v[100:101], v[104:105], v[48:49]
	v_fma_f64 v[50:51], v[102:103], v[104:105], v[50:51]
	v_fma_f64 v[48:49], -v[102:103], v[106:107], v[48:49]
	s_delay_alu instid0(VALU_DEP_2)
	v_fma_f64 v[50:51], v[100:101], v[106:107], v[50:51]
	s_cbranch_scc0 .LBB243_69
.LBB243_70:                             ;   in Loop: Header=BB243_27 Depth=3
	s_cbranch_execz .LBB243_72
	s_branch .LBB243_75
.LBB243_71:                             ;   in Loop: Header=BB243_27 Depth=3
                                        ; implicit-def: $vgpr48_vgpr49
                                        ; implicit-def: $vgpr50_vgpr51
.LBB243_72:                             ;   in Loop: Header=BB243_27 Depth=3
	v_mov_b32_e32 v48, 0
	v_mov_b32_e32 v49, 0
	s_and_not1_b32 vcc_lo, exec_lo, s51
	s_delay_alu instid0(VALU_DEP_1)
	v_dual_mov_b32 v51, v49 :: v_dual_mov_b32 v50, v48
	s_cbranch_vccnz .LBB243_75
; %bb.73:                               ;   in Loop: Header=BB243_27 Depth=3
	v_dual_mov_b32 v48, 0 :: v_dual_mov_b32 v53, v29
	v_dual_mov_b32 v49, 0 :: v_dual_mov_b32 v52, v28
	;; [unrolled: 1-line block ×3, first 2 shown]
	s_mov_b32 s48, s26
	s_delay_alu instid0(VALU_DEP_2)
	v_dual_mov_b32 v51, v49 :: v_dual_mov_b32 v50, v48
	.p2align	6
.LBB243_74:                             ;   Parent Loop BB243_16 Depth=1
                                        ;     Parent Loop BB243_22 Depth=2
                                        ;       Parent Loop BB243_27 Depth=3
                                        ; =>      This Inner Loop Header: Depth=4
	global_load_b128 v[100:103], v[52:53], off offset:-8
	global_load_b128 v[104:107], v[54:55], off
	v_add_co_u32 v54, vcc_lo, v54, s30
	v_add_co_ci_u32_e32 v55, vcc_lo, s31, v55, vcc_lo
	v_add_co_u32 v52, vcc_lo, v52, 16
	v_add_co_ci_u32_e32 v53, vcc_lo, 0, v53, vcc_lo
	s_add_i32 s48, s48, -1
	s_delay_alu instid0(SALU_CYCLE_1) | instskip(SKIP_3) | instid1(VALU_DEP_2)
	s_cmp_eq_u32 s48, 0
	s_waitcnt vmcnt(0)
	v_fma_f64 v[48:49], v[100:101], v[104:105], v[48:49]
	v_fma_f64 v[50:51], v[102:103], v[104:105], v[50:51]
	v_fma_f64 v[48:49], -v[102:103], v[106:107], v[48:49]
	s_delay_alu instid0(VALU_DEP_2)
	v_fma_f64 v[50:51], v[100:101], v[106:107], v[50:51]
	s_cbranch_scc0 .LBB243_74
.LBB243_75:                             ;   in Loop: Header=BB243_27 Depth=3
	v_add_lshl_u32 v99, v99, v57, 4
	ds_load_b128 v[52:55], v99 offset:384
	s_waitcnt lgkmcnt(0)
	v_fma_f64 v[52:53], v[4:5], v[48:49], v[52:53]
	v_fma_f64 v[54:55], v[8:9], v[48:49], v[54:55]
	s_delay_alu instid0(VALU_DEP_2) | instskip(NEXT) | instid1(VALU_DEP_2)
	v_fma_f64 v[48:49], -v[8:9], v[50:51], v[52:53]
	v_fma_f64 v[50:51], v[4:5], v[50:51], v[54:55]
	ds_store_b128 v99, v[48:51] offset:384
.LBB243_76:                             ;   in Loop: Header=BB243_27 Depth=3
	s_or_b32 exec_lo, exec_lo, s3
	s_mov_b32 s66, -1
	s_mov_b32 s3, s65
	s_mov_b64 s[48:49], s[44:45]
	s_waitcnt lgkmcnt(0)
	s_waitcnt_vscnt null, 0x0
	s_barrier
	buffer_gl0_inv
.LBB243_77:                             ;   in Loop: Header=BB243_27 Depth=3
	v_add_co_u32 v32, vcc_lo, v32, s14
	v_add_co_ci_u32_e32 v33, vcc_lo, s15, v33, vcc_lo
	v_add_co_u32 v34, vcc_lo, v34, s14
	v_add_co_ci_u32_e32 v35, vcc_lo, s15, v35, vcc_lo
	;; [unrolled: 2-line block ×5, first 2 shown]
	s_add_u32 s46, s46, 1
	v_add_co_u32 v42, vcc_lo, v42, s14
	s_addc_u32 s47, s47, 0
	v_add_co_ci_u32_e32 v43, vcc_lo, s15, v43, vcc_lo
	v_cmp_lt_i64_e64 s44, s[46:47], s[6:7]
	v_add_co_u32 v44, vcc_lo, v44, s14
	v_add_co_ci_u32_e32 v45, vcc_lo, s15, v45, vcc_lo
	v_add_co_u32 v46, vcc_lo, v46, s14
	v_add_co_ci_u32_e32 v47, vcc_lo, s15, v47, vcc_lo
	s_and_b32 s44, s66, s44
	s_delay_alu instid0(SALU_CYCLE_1)
	s_and_b32 vcc_lo, exec_lo, s44
	s_cbranch_vccz .LBB243_80
; %bb.78:                               ;   in Loop: Header=BB243_27 Depth=3
	s_mov_b32 s65, s3
	s_mov_b64 s[44:45], s[48:49]
	s_branch .LBB243_27
.LBB243_79:                             ;   in Loop: Header=BB243_22 Depth=2
	s_mov_b32 s3, s65
	s_mov_b64 s[48:49], s[44:45]
.LBB243_80:                             ;   in Loop: Header=BB243_22 Depth=2
	s_lshl_b64 s[6:7], s[4:5], 3
	v_add_co_u32 v30, vcc_lo, v30, s14
	s_add_u32 s6, s38, s6
	s_addc_u32 s7, s39, s7
	s_add_u32 s4, s4, 1
	s_addc_u32 s5, s5, 0
	v_add_co_ci_u32_e32 v31, vcc_lo, s15, v31, vcc_lo
	v_cmp_lt_i64_e64 s44, s[4:5], s[34:35]
	v_add_co_u32 v28, vcc_lo, v28, s14
	v_dual_mov_b32 v32, s48 :: v_dual_mov_b32 v33, s49
	v_add_co_ci_u32_e32 v29, vcc_lo, s15, v29, vcc_lo
	s_delay_alu instid0(VALU_DEP_4)
	s_and_b32 vcc_lo, exec_lo, s44
	global_store_b64 v13, v[32:33], s[6:7]
	s_cbranch_vccz .LBB243_83
; %bb.81:                               ;   in Loop: Header=BB243_22 Depth=2
	s_mov_b32 s65, s3
	s_branch .LBB243_22
.LBB243_82:                             ;   in Loop: Header=BB243_22 Depth=2
                                        ; implicit-def: $sgpr44_sgpr45
	s_branch .LBB243_24
.LBB243_83:                             ;   in Loop: Header=BB243_16 Depth=1
	s_and_not1_b32 vcc_lo, exec_lo, s33
	s_cbranch_vccnz .LBB243_101
; %bb.84:                               ;   in Loop: Header=BB243_16 Depth=1
	s_load_b128 s[4:7], s[42:43], 0x0
	s_waitcnt lgkmcnt(0)
	v_cmp_ge_i64_e64 s44, s[4:5], s[6:7]
	s_delay_alu instid0(VALU_DEP_1)
	s_and_b32 vcc_lo, exec_lo, s44
	s_cbranch_vccnz .LBB243_101
; %bb.85:                               ;   in Loop: Header=BB243_16 Depth=1
	s_sub_u32 s6, s6, s10
	s_subb_u32 s7, s7, 0
	s_sub_u32 s46, s4, s10
	s_subb_u32 s47, s5, 0
	s_lshl_b64 s[44:45], s[4:5], 2
	s_mul_i32 s47, s14, s47
	s_mul_hi_u32 s48, s14, s46
	s_add_u32 s44, s11, s44
	s_addc_u32 s45, s27, s45
	s_add_i32 s47, s48, s47
	s_mul_i32 s48, s15, s46
	s_mul_i32 s46, s14, s46
	s_add_i32 s47, s47, s48
	s_add_u32 s46, s8, s46
	s_addc_u32 s47, s9, s47
	s_add_u32 s4, s61, s4
	s_addc_u32 s5, s62, s5
.LBB243_86:                             ;   Parent Loop BB243_16 Depth=1
                                        ; =>  This Inner Loop Header: Depth=2
	s_load_b32 s48, s[44:45], 0x0
	s_waitcnt lgkmcnt(0)
	s_sub_i32 s64, s48, s23
	s_delay_alu instid0(SALU_CYCLE_1)
	s_cmp_lt_i32 s64, s41
	s_cselect_b32 s48, -1, 0
	s_cmp_lt_i32 s64, s63
	s_cselect_b32 s49, -1, 0
	s_cmp_ge_i32 s64, s63
	s_cselect_b32 s65, -1, 0
	s_delay_alu instid0(SALU_CYCLE_1)
	s_or_b32 s48, s48, s65
	s_mov_b32 s65, -1
	s_and_b32 vcc_lo, exec_lo, s48
                                        ; implicit-def: $sgpr48
	s_cbranch_vccz .LBB243_88
; %bb.87:                               ;   in Loop: Header=BB243_86 Depth=2
	s_min_i32 s48, s64, s3
	s_and_b32 s65, s49, exec_lo
	s_cselect_b32 s48, s3, s48
	s_mov_b32 s65, 0
.LBB243_88:                             ;   in Loop: Header=BB243_86 Depth=2
	s_delay_alu instid0(SALU_CYCLE_1)
	s_and_not1_b32 vcc_lo, exec_lo, s65
	s_cbranch_vccnz .LBB243_95
; %bb.89:                               ;   in Loop: Header=BB243_86 Depth=2
	s_sub_i32 s48, s64, s41
	s_delay_alu instid0(SALU_CYCLE_1)
	v_mov_b32_e32 v29, s48
	v_lshl_or_b32 v28, s48, 10, v58
	ds_store_b8 v29, v96 offset:32768
	s_and_saveexec_b32 s48, s53
	s_cbranch_execnz .LBB243_97
; %bb.90:                               ;   in Loop: Header=BB243_86 Depth=2
	s_or_b32 exec_lo, exec_lo, s48
	v_add_lshl_u32 v28, v28, v57, 4
	s_and_saveexec_b32 s48, s54
	s_cbranch_execnz .LBB243_98
.LBB243_91:                             ;   in Loop: Header=BB243_86 Depth=2
	s_or_b32 exec_lo, exec_lo, s48
	s_and_saveexec_b32 s48, s55
	s_cbranch_execnz .LBB243_99
.LBB243_92:                             ;   in Loop: Header=BB243_86 Depth=2
	s_or_b32 exec_lo, exec_lo, s48
	s_and_saveexec_b32 s48, s56
	s_cbranch_execz .LBB243_94
.LBB243_93:                             ;   in Loop: Header=BB243_86 Depth=2
	v_add_co_u32 v29, vcc_lo, s46, v59
	v_add_co_ci_u32_e32 v30, vcc_lo, s47, v60, vcc_lo
	ds_load_b128 v[33:36], v28 offset:384
	v_add_co_u32 v29, vcc_lo, 0x180, v29
	v_add_co_ci_u32_e32 v30, vcc_lo, 0, v30, vcc_lo
	v_add_co_u32 v31, vcc_lo, s46, v93
	v_add_co_ci_u32_e32 v32, vcc_lo, s47, v94, vcc_lo
	s_delay_alu instid0(VALU_DEP_2) | instskip(NEXT) | instid1(VALU_DEP_2)
	v_cndmask_b32_e64 v29, v31, v29, s1
	v_cndmask_b32_e64 v30, v32, v30, s1
	global_load_b128 v[29:32], v[29:30], off
	s_waitcnt vmcnt(0) lgkmcnt(0)
	v_fma_f64 v[33:34], v[10:11], v[29:30], v[33:34]
	v_fma_f64 v[35:36], v[6:7], v[29:30], v[35:36]
	s_delay_alu instid0(VALU_DEP_2) | instskip(NEXT) | instid1(VALU_DEP_2)
	v_fma_f64 v[29:30], -v[6:7], v[31:32], v[33:34]
	v_fma_f64 v[31:32], v[10:11], v[31:32], v[35:36]
	ds_store_b128 v28, v[29:32] offset:384
.LBB243_94:                             ;   in Loop: Header=BB243_86 Depth=2
	s_or_b32 exec_lo, exec_lo, s48
	s_mov_b32 s49, -1
	s_mov_b32 s48, s3
	s_waitcnt lgkmcnt(0)
	s_waitcnt_vscnt null, 0x0
	s_barrier
	buffer_gl0_inv
.LBB243_95:                             ;   in Loop: Header=BB243_86 Depth=2
	v_cmp_lt_i64_e64 s3, s[4:5], s[6:7]
	s_delay_alu instid0(VALU_DEP_1)
	s_and_b32 s3, s49, s3
	s_add_u32 s44, s44, 4
	s_addc_u32 s45, s45, 0
	s_add_u32 s46, s46, s14
	s_addc_u32 s47, s47, s15
	;; [unrolled: 2-line block ×3, first 2 shown]
	s_and_b32 vcc_lo, exec_lo, s3
	s_cbranch_vccz .LBB243_100
; %bb.96:                               ;   in Loop: Header=BB243_86 Depth=2
	s_mov_b32 s3, s48
	s_branch .LBB243_86
.LBB243_97:                             ;   in Loop: Header=BB243_86 Depth=2
	v_add_co_u32 v29, vcc_lo, s46, v98
	v_add_co_ci_u32_e32 v30, vcc_lo, s47, v97, vcc_lo
	v_or_b32_e32 v33, v28, v57
	global_load_b128 v[29:32], v[29:30], off
	v_lshlrev_b32_e32 v37, 4, v33
	ds_load_b128 v[33:36], v37
	s_waitcnt vmcnt(0) lgkmcnt(0)
	v_fma_f64 v[33:34], v[10:11], v[29:30], v[33:34]
	v_fma_f64 v[35:36], v[6:7], v[29:30], v[35:36]
	s_delay_alu instid0(VALU_DEP_2) | instskip(NEXT) | instid1(VALU_DEP_2)
	v_fma_f64 v[29:30], -v[6:7], v[31:32], v[33:34]
	v_fma_f64 v[31:32], v[10:11], v[31:32], v[35:36]
	ds_store_b128 v37, v[29:32]
	s_or_b32 exec_lo, exec_lo, s48
	v_add_lshl_u32 v28, v28, v57, 4
	s_and_saveexec_b32 s48, s54
	s_cbranch_execz .LBB243_91
.LBB243_98:                             ;   in Loop: Header=BB243_86 Depth=2
	v_add_co_u32 v29, vcc_lo, s46, v59
	v_add_co_ci_u32_e32 v30, vcc_lo, s47, v60, vcc_lo
	ds_load_b128 v[33:36], v28 offset:128
	v_add_co_u32 v29, vcc_lo, 0x80, v29
	v_add_co_ci_u32_e32 v30, vcc_lo, 0, v30, vcc_lo
	v_add_co_u32 v31, vcc_lo, s46, v89
	v_add_co_ci_u32_e32 v32, vcc_lo, s47, v90, vcc_lo
	s_delay_alu instid0(VALU_DEP_2) | instskip(NEXT) | instid1(VALU_DEP_2)
	v_cndmask_b32_e64 v29, v31, v29, s1
	v_cndmask_b32_e64 v30, v32, v30, s1
	global_load_b128 v[29:32], v[29:30], off
	s_waitcnt vmcnt(0) lgkmcnt(0)
	v_fma_f64 v[33:34], v[10:11], v[29:30], v[33:34]
	v_fma_f64 v[35:36], v[6:7], v[29:30], v[35:36]
	s_delay_alu instid0(VALU_DEP_2) | instskip(NEXT) | instid1(VALU_DEP_2)
	v_fma_f64 v[29:30], -v[6:7], v[31:32], v[33:34]
	v_fma_f64 v[31:32], v[10:11], v[31:32], v[35:36]
	ds_store_b128 v28, v[29:32] offset:128
	s_or_b32 exec_lo, exec_lo, s48
	s_and_saveexec_b32 s48, s55
	s_cbranch_execz .LBB243_92
.LBB243_99:                             ;   in Loop: Header=BB243_86 Depth=2
	v_add_co_u32 v29, vcc_lo, s46, v59
	v_add_co_ci_u32_e32 v30, vcc_lo, s47, v60, vcc_lo
	ds_load_b128 v[33:36], v28 offset:256
	v_add_co_u32 v29, vcc_lo, 0x100, v29
	v_add_co_ci_u32_e32 v30, vcc_lo, 0, v30, vcc_lo
	v_add_co_u32 v31, vcc_lo, s46, v91
	v_add_co_ci_u32_e32 v32, vcc_lo, s47, v92, vcc_lo
	s_delay_alu instid0(VALU_DEP_2) | instskip(NEXT) | instid1(VALU_DEP_2)
	v_cndmask_b32_e64 v29, v31, v29, s1
	v_cndmask_b32_e64 v30, v32, v30, s1
	global_load_b128 v[29:32], v[29:30], off
	s_waitcnt vmcnt(0) lgkmcnt(0)
	v_fma_f64 v[33:34], v[10:11], v[29:30], v[33:34]
	v_fma_f64 v[35:36], v[6:7], v[29:30], v[35:36]
	s_delay_alu instid0(VALU_DEP_2) | instskip(NEXT) | instid1(VALU_DEP_2)
	v_fma_f64 v[29:30], -v[6:7], v[31:32], v[33:34]
	v_fma_f64 v[31:32], v[10:11], v[31:32], v[35:36]
	ds_store_b128 v28, v[29:32] offset:256
	s_or_b32 exec_lo, exec_lo, s48
	s_and_saveexec_b32 s48, s56
	s_cbranch_execnz .LBB243_93
	s_branch .LBB243_94
.LBB243_100:                            ;   in Loop: Header=BB243_16 Depth=1
	s_mov_b32 s3, s48
.LBB243_101:                            ;   in Loop: Header=BB243_16 Depth=1
	s_waitcnt_vscnt null, 0x0
	s_barrier
	buffer_gl0_inv
	ds_load_u8 v28, v13 offset:32768
	s_add_i32 s4, s41, s22
	s_mov_b32 s5, 0
	s_waitcnt lgkmcnt(0)
	v_cmp_eq_u32_e32 vcc_lo, 0, v28
	s_cbranch_vccnz .LBB243_108
; %bb.102:                              ;   in Loop: Header=BB243_16 Depth=1
	v_mad_u64_u32 v[28:29], null, v26, s40, 0
	v_mov_b32_e32 v36, s4
	s_delay_alu instid0(VALU_DEP_2) | instskip(NEXT) | instid1(VALU_DEP_1)
	v_mad_u64_u32 v[30:31], null, v27, s40, v[29:30]
	v_mov_b32_e32 v29, v30
	v_lshlrev_b64 v[30:31], 2, v[26:27]
	s_delay_alu instid0(VALU_DEP_2) | instskip(NEXT) | instid1(VALU_DEP_2)
	v_lshlrev_b64 v[32:33], 4, v[28:29]
	v_add_co_u32 v34, vcc_lo, s28, v30
	s_delay_alu instid0(VALU_DEP_3) | instskip(NEXT) | instid1(VALU_DEP_3)
	v_add_co_ci_u32_e32 v35, vcc_lo, s29, v31, vcc_lo
	v_add_co_u32 v28, vcc_lo, v61, v32
	s_delay_alu instid0(VALU_DEP_4)
	v_add_co_ci_u32_e32 v29, vcc_lo, v62, v33, vcc_lo
	v_add_co_u32 v30, vcc_lo, v63, v32
	v_add_co_ci_u32_e32 v31, vcc_lo, v64, v33, vcc_lo
	global_store_b32 v[34:35], v36, off
	s_and_saveexec_b32 s5, s53
	s_cbranch_execnz .LBB243_115
; %bb.103:                              ;   in Loop: Header=BB243_16 Depth=1
	s_or_b32 exec_lo, exec_lo, s5
	s_and_saveexec_b32 s5, s54
	s_cbranch_execnz .LBB243_116
.LBB243_104:                            ;   in Loop: Header=BB243_16 Depth=1
	s_or_b32 exec_lo, exec_lo, s5
	s_and_saveexec_b32 s5, s55
	s_cbranch_execnz .LBB243_117
.LBB243_105:                            ;   in Loop: Header=BB243_16 Depth=1
	s_or_b32 exec_lo, exec_lo, s5
	s_and_saveexec_b32 s5, s56
	s_cbranch_execz .LBB243_107
.LBB243_106:                            ;   in Loop: Header=BB243_16 Depth=1
	v_lshlrev_b32_e32 v36, 4, v57
	ds_load_2addr_b64 v[32:35], v67 offset1:1
	v_add_co_u32 v30, vcc_lo, v30, v36
	v_add_co_ci_u32_e32 v31, vcc_lo, 0, v31, vcc_lo
	v_add_co_u32 v28, vcc_lo, v28, v24
	v_add_co_ci_u32_e32 v29, vcc_lo, v29, v25, vcc_lo
	s_delay_alu instid0(VALU_DEP_4) | instskip(NEXT) | instid1(VALU_DEP_4)
	v_add_co_u32 v30, vcc_lo, 0x180, v30
	v_add_co_ci_u32_e32 v31, vcc_lo, 0, v31, vcc_lo
	s_delay_alu instid0(VALU_DEP_2) | instskip(NEXT) | instid1(VALU_DEP_2)
	v_cndmask_b32_e64 v28, v28, v30, s1
	v_cndmask_b32_e64 v29, v29, v31, s1
	s_waitcnt lgkmcnt(0)
	global_store_b128 v[28:29], v[32:35], off
.LBB243_107:                            ;   in Loop: Header=BB243_16 Depth=1
	s_or_b32 exec_lo, exec_lo, s5
	s_mov_b32 s5, 1
.LBB243_108:                            ;   in Loop: Header=BB243_16 Depth=1
	ds_load_u8 v28, v13 offset:32769
	s_waitcnt lgkmcnt(0)
	v_and_b32_e32 v28, 1, v28
	s_delay_alu instid0(VALU_DEP_1)
	v_cmp_eq_u32_e32 vcc_lo, 1, v28
	s_cbranch_vccnz .LBB243_110
; %bb.109:                              ;   in Loop: Header=BB243_16 Depth=1
	v_add_co_u32 v28, vcc_lo, s5, v26
	v_add_co_ci_u32_e32 v29, vcc_lo, 0, v27, vcc_lo
	s_cbranch_execnz .LBB243_15
	s_branch .LBB243_111
.LBB243_110:                            ;   in Loop: Header=BB243_16 Depth=1
                                        ; implicit-def: $vgpr28_vgpr29
.LBB243_111:                            ;   in Loop: Header=BB243_16 Depth=1
	s_add_i32 s5, s5, 1
	s_add_i32 s4, s4, 1
	v_add_co_u32 v28, vcc_lo, v26, s5
	v_add_co_ci_u32_e32 v29, vcc_lo, 0, v27, vcc_lo
	v_mov_b32_e32 v34, s4
	s_delay_alu instid0(VALU_DEP_3) | instskip(NEXT) | instid1(VALU_DEP_3)
	v_add_co_u32 v30, vcc_lo, v28, -1
	v_add_co_ci_u32_e32 v32, vcc_lo, -1, v29, vcc_lo
	s_delay_alu instid0(VALU_DEP_2) | instskip(NEXT) | instid1(VALU_DEP_1)
	v_mad_u64_u32 v[26:27], null, v30, s40, 0
	v_mad_u64_u32 v[30:31], null, v32, s40, v[27:28]
	s_delay_alu instid0(VALU_DEP_1) | instskip(SKIP_1) | instid1(VALU_DEP_2)
	v_mov_b32_e32 v27, v30
	v_lshlrev_b64 v[30:31], 2, v[28:29]
	v_lshlrev_b64 v[26:27], 4, v[26:27]
	s_delay_alu instid0(VALU_DEP_2) | instskip(NEXT) | instid1(VALU_DEP_3)
	v_add_co_u32 v32, vcc_lo, s59, v30
	v_add_co_ci_u32_e32 v33, vcc_lo, s60, v31, vcc_lo
	s_delay_alu instid0(VALU_DEP_3) | instskip(NEXT) | instid1(VALU_DEP_4)
	v_add_co_u32 v30, vcc_lo, v61, v26
	v_add_co_ci_u32_e32 v31, vcc_lo, v62, v27, vcc_lo
	v_add_co_u32 v26, vcc_lo, v63, v26
	v_add_co_ci_u32_e32 v27, vcc_lo, v64, v27, vcc_lo
	global_store_b32 v[32:33], v34, off
	s_and_saveexec_b32 s4, s53
	s_cbranch_execnz .LBB243_118
; %bb.112:                              ;   in Loop: Header=BB243_16 Depth=1
	s_or_b32 exec_lo, exec_lo, s4
	s_and_saveexec_b32 s4, s54
	s_cbranch_execnz .LBB243_119
.LBB243_113:                            ;   in Loop: Header=BB243_16 Depth=1
	s_or_b32 exec_lo, exec_lo, s4
	s_and_saveexec_b32 s4, s55
	s_cbranch_execnz .LBB243_120
.LBB243_114:                            ;   in Loop: Header=BB243_16 Depth=1
	s_or_b32 exec_lo, exec_lo, s4
	s_and_saveexec_b32 s4, s56
	s_cbranch_execz .LBB243_14
	s_branch .LBB243_121
.LBB243_115:                            ;   in Loop: Header=BB243_16 Depth=1
	ds_load_2addr_b64 v[32:35], v12 offset1:1
	v_lshlrev_b32_e32 v36, 4, v57
	v_add_co_u32 v38, vcc_lo, v28, v14
	v_add_co_ci_u32_e32 v37, vcc_lo, v29, v15, vcc_lo
	s_delay_alu instid0(VALU_DEP_3) | instskip(SKIP_1) | instid1(VALU_DEP_2)
	v_add_co_u32 v36, vcc_lo, v30, v36
	v_add_co_ci_u32_e32 v39, vcc_lo, 0, v31, vcc_lo
	v_cndmask_b32_e64 v36, v38, v36, s1
	s_delay_alu instid0(VALU_DEP_2)
	v_cndmask_b32_e64 v37, v37, v39, s1
	s_waitcnt lgkmcnt(0)
	global_store_b128 v[36:37], v[32:35], off
	s_or_b32 exec_lo, exec_lo, s5
	s_and_saveexec_b32 s5, s54
	s_cbranch_execz .LBB243_104
.LBB243_116:                            ;   in Loop: Header=BB243_16 Depth=1
	v_lshlrev_b32_e32 v36, 4, v57
	ds_load_2addr_b64 v[32:35], v65 offset1:1
	v_add_co_u32 v36, vcc_lo, v30, v36
	v_add_co_ci_u32_e32 v37, vcc_lo, 0, v31, vcc_lo
	v_add_co_u32 v38, vcc_lo, v28, v20
	v_add_co_ci_u32_e32 v39, vcc_lo, v29, v21, vcc_lo
	s_delay_alu instid0(VALU_DEP_4) | instskip(NEXT) | instid1(VALU_DEP_4)
	v_add_co_u32 v36, vcc_lo, 0x80, v36
	v_add_co_ci_u32_e32 v37, vcc_lo, 0, v37, vcc_lo
	s_delay_alu instid0(VALU_DEP_2) | instskip(NEXT) | instid1(VALU_DEP_2)
	v_cndmask_b32_e64 v36, v38, v36, s1
	v_cndmask_b32_e64 v37, v39, v37, s1
	s_waitcnt lgkmcnt(0)
	global_store_b128 v[36:37], v[32:35], off
	s_or_b32 exec_lo, exec_lo, s5
	s_and_saveexec_b32 s5, s55
	s_cbranch_execz .LBB243_105
.LBB243_117:                            ;   in Loop: Header=BB243_16 Depth=1
	v_lshlrev_b32_e32 v36, 4, v57
	ds_load_2addr_b64 v[32:35], v66 offset1:1
	v_add_co_u32 v36, vcc_lo, v30, v36
	v_add_co_ci_u32_e32 v37, vcc_lo, 0, v31, vcc_lo
	v_add_co_u32 v38, vcc_lo, v28, v22
	v_add_co_ci_u32_e32 v39, vcc_lo, v29, v23, vcc_lo
	s_delay_alu instid0(VALU_DEP_4) | instskip(NEXT) | instid1(VALU_DEP_4)
	v_add_co_u32 v36, vcc_lo, 0x100, v36
	v_add_co_ci_u32_e32 v37, vcc_lo, 0, v37, vcc_lo
	s_delay_alu instid0(VALU_DEP_2) | instskip(NEXT) | instid1(VALU_DEP_2)
	v_cndmask_b32_e64 v36, v38, v36, s1
	v_cndmask_b32_e64 v37, v39, v37, s1
	s_waitcnt lgkmcnt(0)
	global_store_b128 v[36:37], v[32:35], off
	s_or_b32 exec_lo, exec_lo, s5
	s_and_saveexec_b32 s5, s56
	s_cbranch_execnz .LBB243_106
	s_branch .LBB243_107
.LBB243_118:                            ;   in Loop: Header=BB243_16 Depth=1
	v_lshlrev_b32_e32 v36, 4, v57
	ds_load_2addr_b64 v[32:35], v68 offset1:1
	v_add_co_u32 v36, vcc_lo, v26, v36
	v_add_co_ci_u32_e32 v37, vcc_lo, 0, v27, vcc_lo
	v_add_co_u32 v38, vcc_lo, v30, v14
	v_add_co_ci_u32_e32 v39, vcc_lo, v31, v15, vcc_lo
	s_delay_alu instid0(VALU_DEP_2) | instskip(NEXT) | instid1(VALU_DEP_2)
	v_cndmask_b32_e64 v36, v38, v36, s1
	v_cndmask_b32_e64 v37, v39, v37, s1
	s_waitcnt lgkmcnt(0)
	global_store_b128 v[36:37], v[32:35], off
	s_or_b32 exec_lo, exec_lo, s4
	s_and_saveexec_b32 s4, s54
	s_cbranch_execz .LBB243_113
.LBB243_119:                            ;   in Loop: Header=BB243_16 Depth=1
	v_lshlrev_b32_e32 v36, 4, v57
	ds_load_2addr_b64 v[32:35], v69 offset1:1
	v_add_co_u32 v36, vcc_lo, v26, v36
	v_add_co_ci_u32_e32 v37, vcc_lo, 0, v27, vcc_lo
	v_add_co_u32 v38, vcc_lo, v30, v20
	v_add_co_ci_u32_e32 v39, vcc_lo, v31, v21, vcc_lo
	s_delay_alu instid0(VALU_DEP_4) | instskip(NEXT) | instid1(VALU_DEP_4)
	v_add_co_u32 v36, vcc_lo, 0x80, v36
	v_add_co_ci_u32_e32 v37, vcc_lo, 0, v37, vcc_lo
	s_delay_alu instid0(VALU_DEP_2) | instskip(NEXT) | instid1(VALU_DEP_2)
	v_cndmask_b32_e64 v36, v38, v36, s1
	v_cndmask_b32_e64 v37, v39, v37, s1
	s_waitcnt lgkmcnt(0)
	global_store_b128 v[36:37], v[32:35], off
	s_or_b32 exec_lo, exec_lo, s4
	s_and_saveexec_b32 s4, s55
	s_cbranch_execz .LBB243_114
.LBB243_120:                            ;   in Loop: Header=BB243_16 Depth=1
	v_lshlrev_b32_e32 v36, 4, v57
	ds_load_2addr_b64 v[32:35], v70 offset1:1
	v_add_co_u32 v36, vcc_lo, v26, v36
	v_add_co_ci_u32_e32 v37, vcc_lo, 0, v27, vcc_lo
	v_add_co_u32 v38, vcc_lo, v30, v22
	v_add_co_ci_u32_e32 v39, vcc_lo, v31, v23, vcc_lo
	s_delay_alu instid0(VALU_DEP_4) | instskip(NEXT) | instid1(VALU_DEP_4)
	v_add_co_u32 v36, vcc_lo, 0x100, v36
	v_add_co_ci_u32_e32 v37, vcc_lo, 0, v37, vcc_lo
	s_delay_alu instid0(VALU_DEP_2) | instskip(NEXT) | instid1(VALU_DEP_2)
	v_cndmask_b32_e64 v36, v38, v36, s1
	v_cndmask_b32_e64 v37, v39, v37, s1
	s_waitcnt lgkmcnt(0)
	global_store_b128 v[36:37], v[32:35], off
	s_or_b32 exec_lo, exec_lo, s4
	s_and_saveexec_b32 s4, s56
	s_cbranch_execz .LBB243_14
.LBB243_121:                            ;   in Loop: Header=BB243_16 Depth=1
	s_and_not1_b32 vcc_lo, exec_lo, s24
	s_cbranch_vccnz .LBB243_123
; %bb.122:                              ;   in Loop: Header=BB243_16 Depth=1
	ds_load_2addr_b64 v[32:35], v71 offset1:1
	v_add_co_u32 v30, vcc_lo, v30, v24
	v_add_co_ci_u32_e32 v31, vcc_lo, v31, v25, vcc_lo
	s_waitcnt lgkmcnt(0)
	global_store_b128 v[30:31], v[32:35], off
	s_cbranch_execnz .LBB243_14
	s_branch .LBB243_124
.LBB243_123:                            ;   in Loop: Header=BB243_16 Depth=1
.LBB243_124:                            ;   in Loop: Header=BB243_16 Depth=1
	ds_load_2addr_b64 v[30:33], v71 offset1:1
	v_lshlrev_b32_e32 v34, 4, v57
	s_delay_alu instid0(VALU_DEP_1)
	v_add_co_u32 v26, vcc_lo, v26, v34
	v_add_co_ci_u32_e32 v27, vcc_lo, 0, v27, vcc_lo
	s_waitcnt lgkmcnt(0)
	global_store_b128 v[26:27], v[30:33], off offset:384
	s_branch .LBB243_14
.LBB243_125:
	s_endpgm
	.section	.rodata,"a",@progbits
	.p2align	6, 0x0
	.amdhsa_kernel _ZN9rocsparseL31bsrgemm_block_per_row_multipassILj256ELj2ELj32Eli21rocsparse_complex_numIdEEEv20rocsparse_direction_T3_S4_PKS4_S6_NS_24const_host_device_scalarIT4_EEPKT2_S6_PKS8_SC_S6_SE_S9_SC_S6_SE_SC_PS4_PS8_PSA_21rocsparse_index_base_SI_SI_SI_bbb
		.amdhsa_group_segment_fixed_size 36872
		.amdhsa_private_segment_fixed_size 0
		.amdhsa_kernarg_size 188
		.amdhsa_user_sgpr_count 15
		.amdhsa_user_sgpr_dispatch_ptr 1
		.amdhsa_user_sgpr_queue_ptr 0
		.amdhsa_user_sgpr_kernarg_segment_ptr 1
		.amdhsa_user_sgpr_dispatch_id 0
		.amdhsa_user_sgpr_private_segment_size 0
		.amdhsa_wavefront_size32 1
		.amdhsa_uses_dynamic_stack 0
		.amdhsa_enable_private_segment 0
		.amdhsa_system_sgpr_workgroup_id_x 1
		.amdhsa_system_sgpr_workgroup_id_y 0
		.amdhsa_system_sgpr_workgroup_id_z 0
		.amdhsa_system_sgpr_workgroup_info 0
		.amdhsa_system_vgpr_workitem_id 2
		.amdhsa_next_free_vgpr 108
		.amdhsa_next_free_sgpr 70
		.amdhsa_reserve_vcc 1
		.amdhsa_float_round_mode_32 0
		.amdhsa_float_round_mode_16_64 0
		.amdhsa_float_denorm_mode_32 3
		.amdhsa_float_denorm_mode_16_64 3
		.amdhsa_dx10_clamp 1
		.amdhsa_ieee_mode 1
		.amdhsa_fp16_overflow 0
		.amdhsa_workgroup_processor_mode 1
		.amdhsa_memory_ordered 1
		.amdhsa_forward_progress 0
		.amdhsa_shared_vgpr_count 0
		.amdhsa_exception_fp_ieee_invalid_op 0
		.amdhsa_exception_fp_denorm_src 0
		.amdhsa_exception_fp_ieee_div_zero 0
		.amdhsa_exception_fp_ieee_overflow 0
		.amdhsa_exception_fp_ieee_underflow 0
		.amdhsa_exception_fp_ieee_inexact 0
		.amdhsa_exception_int_div_zero 0
	.end_amdhsa_kernel
	.section	.text._ZN9rocsparseL31bsrgemm_block_per_row_multipassILj256ELj2ELj32Eli21rocsparse_complex_numIdEEEv20rocsparse_direction_T3_S4_PKS4_S6_NS_24const_host_device_scalarIT4_EEPKT2_S6_PKS8_SC_S6_SE_S9_SC_S6_SE_SC_PS4_PS8_PSA_21rocsparse_index_base_SI_SI_SI_bbb,"axG",@progbits,_ZN9rocsparseL31bsrgemm_block_per_row_multipassILj256ELj2ELj32Eli21rocsparse_complex_numIdEEEv20rocsparse_direction_T3_S4_PKS4_S6_NS_24const_host_device_scalarIT4_EEPKT2_S6_PKS8_SC_S6_SE_S9_SC_S6_SE_SC_PS4_PS8_PSA_21rocsparse_index_base_SI_SI_SI_bbb,comdat
.Lfunc_end243:
	.size	_ZN9rocsparseL31bsrgemm_block_per_row_multipassILj256ELj2ELj32Eli21rocsparse_complex_numIdEEEv20rocsparse_direction_T3_S4_PKS4_S6_NS_24const_host_device_scalarIT4_EEPKT2_S6_PKS8_SC_S6_SE_S9_SC_S6_SE_SC_PS4_PS8_PSA_21rocsparse_index_base_SI_SI_SI_bbb, .Lfunc_end243-_ZN9rocsparseL31bsrgemm_block_per_row_multipassILj256ELj2ELj32Eli21rocsparse_complex_numIdEEEv20rocsparse_direction_T3_S4_PKS4_S6_NS_24const_host_device_scalarIT4_EEPKT2_S6_PKS8_SC_S6_SE_S9_SC_S6_SE_SC_PS4_PS8_PSA_21rocsparse_index_base_SI_SI_SI_bbb
                                        ; -- End function
	.section	.AMDGPU.csdata,"",@progbits
; Kernel info:
; codeLenInByte = 6340
; NumSgprs: 72
; NumVgprs: 108
; ScratchSize: 0
; MemoryBound: 1
; FloatMode: 240
; IeeeMode: 1
; LDSByteSize: 36872 bytes/workgroup (compile time only)
; SGPRBlocks: 8
; VGPRBlocks: 13
; NumSGPRsForWavesPerEU: 72
; NumVGPRsForWavesPerEU: 108
; Occupancy: 6
; WaveLimiterHint : 1
; COMPUTE_PGM_RSRC2:SCRATCH_EN: 0
; COMPUTE_PGM_RSRC2:USER_SGPR: 15
; COMPUTE_PGM_RSRC2:TRAP_HANDLER: 0
; COMPUTE_PGM_RSRC2:TGID_X_EN: 1
; COMPUTE_PGM_RSRC2:TGID_Y_EN: 0
; COMPUTE_PGM_RSRC2:TGID_Z_EN: 0
; COMPUTE_PGM_RSRC2:TIDIG_COMP_CNT: 2
	.text
	.p2alignl 7, 3214868480
	.fill 96, 4, 3214868480
	.type	__hip_cuid_4f0a0e8d838ee643,@object ; @__hip_cuid_4f0a0e8d838ee643
	.section	.bss,"aw",@nobits
	.globl	__hip_cuid_4f0a0e8d838ee643
__hip_cuid_4f0a0e8d838ee643:
	.byte	0                               ; 0x0
	.size	__hip_cuid_4f0a0e8d838ee643, 1

	.ident	"AMD clang version 19.0.0git (https://github.com/RadeonOpenCompute/llvm-project roc-6.4.0 25133 c7fe45cf4b819c5991fe208aaa96edf142730f1d)"
	.section	".note.GNU-stack","",@progbits
	.addrsig
	.addrsig_sym _ZN9rocsparse13shared_memoryE
	.addrsig_sym __hip_cuid_4f0a0e8d838ee643
	.amdgpu_metadata
---
amdhsa.kernels:
  - .args:
      - .offset:         0
        .size:           4
        .value_kind:     by_value
      - .actual_access:  read_only
        .address_space:  global
        .offset:         8
        .size:           8
        .value_kind:     global_buffer
      - .actual_access:  write_only
        .address_space:  global
        .offset:         16
        .size:           8
        .value_kind:     global_buffer
      - .offset:         24
        .size:           4
        .value_kind:     hidden_block_count_x
      - .offset:         28
        .size:           4
        .value_kind:     hidden_block_count_y
      - .offset:         32
        .size:           4
        .value_kind:     hidden_block_count_z
      - .offset:         36
        .size:           2
        .value_kind:     hidden_group_size_x
      - .offset:         38
        .size:           2
        .value_kind:     hidden_group_size_y
      - .offset:         40
        .size:           2
        .value_kind:     hidden_group_size_z
      - .offset:         42
        .size:           2
        .value_kind:     hidden_remainder_x
      - .offset:         44
        .size:           2
        .value_kind:     hidden_remainder_y
      - .offset:         46
        .size:           2
        .value_kind:     hidden_remainder_z
      - .offset:         64
        .size:           8
        .value_kind:     hidden_global_offset_x
      - .offset:         72
        .size:           8
        .value_kind:     hidden_global_offset_y
      - .offset:         80
        .size:           8
        .value_kind:     hidden_global_offset_z
      - .offset:         88
        .size:           2
        .value_kind:     hidden_grid_dims
    .group_segment_fixed_size: 1024
    .kernarg_segment_align: 8
    .kernarg_segment_size: 280
    .language:       OpenCL C
    .language_version:
      - 2
      - 0
    .max_flat_workgroup_size: 256
    .name:           _ZN9rocsparseL25csrgemm_max_row_nnz_part1ILj256EiiEEvT1_PKT0_PS1_
    .private_segment_fixed_size: 0
    .sgpr_count:     18
    .sgpr_spill_count: 0
    .symbol:         _ZN9rocsparseL25csrgemm_max_row_nnz_part1ILj256EiiEEvT1_PKT0_PS1_.kd
    .uniform_work_group_size: 1
    .uses_dynamic_stack: false
    .vgpr_count:     6
    .vgpr_spill_count: 0
    .wavefront_size: 32
    .workgroup_processor_mode: 1
  - .args:
      - .address_space:  global
        .offset:         0
        .size:           8
        .value_kind:     global_buffer
    .group_segment_fixed_size: 1024
    .kernarg_segment_align: 8
    .kernarg_segment_size: 8
    .language:       OpenCL C
    .language_version:
      - 2
      - 0
    .max_flat_workgroup_size: 256
    .name:           _ZN9rocsparseL25csrgemm_max_row_nnz_part2ILj256EiEEvPT0_
    .private_segment_fixed_size: 0
    .sgpr_count:     5
    .sgpr_spill_count: 0
    .symbol:         _ZN9rocsparseL25csrgemm_max_row_nnz_part2ILj256EiEEvPT0_.kd
    .uniform_work_group_size: 1
    .uses_dynamic_stack: false
    .vgpr_count:     4
    .vgpr_spill_count: 0
    .wavefront_size: 32
    .workgroup_processor_mode: 1
  - .args:
      - .offset:         0
        .size:           4
        .value_kind:     by_value
      - .actual_access:  read_only
        .address_space:  global
        .offset:         8
        .size:           8
        .value_kind:     global_buffer
      - .actual_access:  write_only
        .address_space:  global
        .offset:         16
        .size:           8
        .value_kind:     global_buffer
      - .actual_access:  write_only
        .address_space:  global
        .offset:         24
        .size:           8
        .value_kind:     global_buffer
      - .offset:         32
        .size:           4
        .value_kind:     hidden_block_count_x
      - .offset:         36
        .size:           4
        .value_kind:     hidden_block_count_y
      - .offset:         40
        .size:           4
        .value_kind:     hidden_block_count_z
      - .offset:         44
        .size:           2
        .value_kind:     hidden_group_size_x
      - .offset:         46
        .size:           2
        .value_kind:     hidden_group_size_y
      - .offset:         48
        .size:           2
        .value_kind:     hidden_group_size_z
      - .offset:         50
        .size:           2
        .value_kind:     hidden_remainder_x
      - .offset:         52
        .size:           2
        .value_kind:     hidden_remainder_y
      - .offset:         54
        .size:           2
        .value_kind:     hidden_remainder_z
      - .offset:         72
        .size:           8
        .value_kind:     hidden_global_offset_x
      - .offset:         80
        .size:           8
        .value_kind:     hidden_global_offset_y
      - .offset:         88
        .size:           8
        .value_kind:     hidden_global_offset_z
      - .offset:         96
        .size:           2
        .value_kind:     hidden_grid_dims
    .group_segment_fixed_size: 8192
    .kernarg_segment_align: 8
    .kernarg_segment_size: 288
    .language:       OpenCL C
    .language_version:
      - 2
      - 0
    .max_flat_workgroup_size: 256
    .name:           _ZN9rocsparseL26bsrgemm_group_reduce_part2ILj256ELj8ELj2EfiiEEvT4_PKT3_PS1_Pi
    .private_segment_fixed_size: 0
    .sgpr_count:     20
    .sgpr_spill_count: 0
    .symbol:         _ZN9rocsparseL26bsrgemm_group_reduce_part2ILj256ELj8ELj2EfiiEEvT4_PKT3_PS1_Pi.kd
    .uniform_work_group_size: 1
    .uses_dynamic_stack: false
    .vgpr_count:     21
    .vgpr_spill_count: 0
    .wavefront_size: 32
    .workgroup_processor_mode: 1
  - .args:
      - .offset:         0
        .size:           4
        .value_kind:     by_value
      - .actual_access:  read_only
        .address_space:  global
        .offset:         8
        .size:           8
        .value_kind:     global_buffer
      - .actual_access:  write_only
        .address_space:  global
        .offset:         16
        .size:           8
        .value_kind:     global_buffer
      - .actual_access:  write_only
        .address_space:  global
        .offset:         24
        .size:           8
        .value_kind:     global_buffer
      - .offset:         32
        .size:           4
        .value_kind:     hidden_block_count_x
      - .offset:         36
        .size:           4
        .value_kind:     hidden_block_count_y
      - .offset:         40
        .size:           4
        .value_kind:     hidden_block_count_z
      - .offset:         44
        .size:           2
        .value_kind:     hidden_group_size_x
      - .offset:         46
        .size:           2
        .value_kind:     hidden_group_size_y
      - .offset:         48
        .size:           2
        .value_kind:     hidden_group_size_z
      - .offset:         50
        .size:           2
        .value_kind:     hidden_remainder_x
      - .offset:         52
        .size:           2
        .value_kind:     hidden_remainder_y
      - .offset:         54
        .size:           2
        .value_kind:     hidden_remainder_z
      - .offset:         72
        .size:           8
        .value_kind:     hidden_global_offset_x
      - .offset:         80
        .size:           8
        .value_kind:     hidden_global_offset_y
      - .offset:         88
        .size:           8
        .value_kind:     hidden_global_offset_z
      - .offset:         96
        .size:           2
        .value_kind:     hidden_grid_dims
    .group_segment_fixed_size: 8192
    .kernarg_segment_align: 8
    .kernarg_segment_size: 288
    .language:       OpenCL C
    .language_version:
      - 2
      - 0
    .max_flat_workgroup_size: 256
    .name:           _ZN9rocsparseL26bsrgemm_group_reduce_part2ILj256ELj8ELj8EfiiEEvT4_PKT3_PS1_Pi
    .private_segment_fixed_size: 0
    .sgpr_count:     20
    .sgpr_spill_count: 0
    .symbol:         _ZN9rocsparseL26bsrgemm_group_reduce_part2ILj256ELj8ELj8EfiiEEvT4_PKT3_PS1_Pi.kd
    .uniform_work_group_size: 1
    .uses_dynamic_stack: false
    .vgpr_count:     21
    .vgpr_spill_count: 0
    .wavefront_size: 32
    .workgroup_processor_mode: 1
  - .args:
      - .address_space:  global
        .offset:         0
        .size:           8
        .value_kind:     global_buffer
    .group_segment_fixed_size: 8192
    .kernarg_segment_align: 8
    .kernarg_segment_size: 8
    .language:       OpenCL C
    .language_version:
      - 2
      - 0
    .max_flat_workgroup_size: 256
    .name:           _ZN9rocsparseL26bsrgemm_group_reduce_part3ILj256ELj8EiEEvPT1_
    .private_segment_fixed_size: 0
    .sgpr_count:     6
    .sgpr_spill_count: 0
    .symbol:         _ZN9rocsparseL26bsrgemm_group_reduce_part3ILj256ELj8EiEEvPT1_.kd
    .uniform_work_group_size: 1
    .uses_dynamic_stack: false
    .vgpr_count:     22
    .vgpr_spill_count: 0
    .wavefront_size: 32
    .workgroup_processor_mode: 1
  - .args:
      - .offset:         0
        .size:           4
        .value_kind:     by_value
      - .offset:         4
        .size:           4
        .value_kind:     by_value
      - .offset:         8
        .size:           4
        .value_kind:     by_value
      - .actual_access:  read_only
        .address_space:  global
        .offset:         16
        .size:           8
        .value_kind:     global_buffer
      - .actual_access:  read_only
        .address_space:  global
        .offset:         24
        .size:           8
        .value_kind:     global_buffer
      - .offset:         32
        .size:           8
        .value_kind:     by_value
      - .actual_access:  read_only
        .address_space:  global
        .offset:         40
        .size:           8
        .value_kind:     global_buffer
      - .actual_access:  read_only
        .address_space:  global
        .offset:         48
        .size:           8
        .value_kind:     global_buffer
      - .actual_access:  read_only
        .address_space:  global
        .offset:         56
        .size:           8
        .value_kind:     global_buffer
      - .actual_access:  read_only
        .address_space:  global
        .offset:         64
        .size:           8
        .value_kind:     global_buffer
      - .actual_access:  read_only
        .address_space:  global
        .offset:         72
        .size:           8
        .value_kind:     global_buffer
      - .actual_access:  read_only
        .address_space:  global
        .offset:         80
        .size:           8
        .value_kind:     global_buffer
      - .offset:         88
        .size:           8
        .value_kind:     by_value
      - .actual_access:  read_only
        .address_space:  global
        .offset:         96
        .size:           8
        .value_kind:     global_buffer
      - .actual_access:  read_only
        .address_space:  global
        .offset:         104
        .size:           8
        .value_kind:     global_buffer
      - .actual_access:  read_only
        .address_space:  global
        .offset:         112
        .size:           8
        .value_kind:     global_buffer
      - .actual_access:  read_only
        .address_space:  global
        .offset:         120
        .size:           8
        .value_kind:     global_buffer
      - .actual_access:  write_only
        .address_space:  global
        .offset:         128
        .size:           8
        .value_kind:     global_buffer
      - .actual_access:  write_only
        .address_space:  global
        .offset:         136
        .size:           8
        .value_kind:     global_buffer
      - .offset:         144
        .size:           4
        .value_kind:     by_value
      - .offset:         148
        .size:           4
        .value_kind:     by_value
      - .offset:         152
        .size:           4
        .value_kind:     by_value
      - .offset:         156
        .size:           4
        .value_kind:     by_value
      - .offset:         160
        .size:           1
        .value_kind:     by_value
      - .offset:         161
        .size:           1
        .value_kind:     by_value
      - .offset:         162
        .size:           1
        .value_kind:     by_value
    .group_segment_fixed_size: 2560
    .kernarg_segment_align: 8
    .kernarg_segment_size: 164
    .language:       OpenCL C
    .language_version:
      - 2
      - 0
    .max_flat_workgroup_size: 256
    .name:           _ZN9rocsparseL27bsrgemm_fill_wf_per_row_2x2ILj256ELj16ELj8ELj137EiifEEv20rocsparse_direction_T4_S2_PKS2_S4_NS_24const_host_device_scalarIT5_EEPKT3_S4_PKS6_SA_S4_SC_S7_SA_S4_SC_SA_PS2_PS6_21rocsparse_index_base_SF_SF_SF_bbb
    .private_segment_fixed_size: 0
    .sgpr_count:     50
    .sgpr_spill_count: 0
    .symbol:         _ZN9rocsparseL27bsrgemm_fill_wf_per_row_2x2ILj256ELj16ELj8ELj137EiifEEv20rocsparse_direction_T4_S2_PKS2_S4_NS_24const_host_device_scalarIT5_EEPKT3_S4_PKS6_SA_S4_SC_S7_SA_S4_SC_SA_PS2_PS6_21rocsparse_index_base_SF_SF_SF_bbb.kd
    .uniform_work_group_size: 1
    .uses_dynamic_stack: false
    .vgpr_count:     30
    .vgpr_spill_count: 0
    .wavefront_size: 32
    .workgroup_processor_mode: 1
  - .args:
      - .offset:         0
        .size:           4
        .value_kind:     by_value
      - .offset:         4
        .size:           4
        .value_kind:     by_value
      - .offset:         8
        .size:           4
        .value_kind:     by_value
      - .actual_access:  read_only
        .address_space:  global
        .offset:         16
        .size:           8
        .value_kind:     global_buffer
      - .actual_access:  read_only
        .address_space:  global
        .offset:         24
        .size:           8
        .value_kind:     global_buffer
      - .offset:         32
        .size:           8
        .value_kind:     by_value
      - .actual_access:  read_only
        .address_space:  global
        .offset:         40
        .size:           8
        .value_kind:     global_buffer
      - .actual_access:  read_only
        .address_space:  global
        .offset:         48
        .size:           8
        .value_kind:     global_buffer
      - .actual_access:  read_only
        .address_space:  global
        .offset:         56
        .size:           8
        .value_kind:     global_buffer
      - .actual_access:  read_only
        .address_space:  global
        .offset:         64
        .size:           8
        .value_kind:     global_buffer
      - .actual_access:  read_only
        .address_space:  global
        .offset:         72
        .size:           8
        .value_kind:     global_buffer
      - .actual_access:  read_only
        .address_space:  global
        .offset:         80
        .size:           8
        .value_kind:     global_buffer
      - .offset:         88
        .size:           8
        .value_kind:     by_value
      - .actual_access:  read_only
        .address_space:  global
        .offset:         96
        .size:           8
        .value_kind:     global_buffer
      - .actual_access:  read_only
        .address_space:  global
        .offset:         104
        .size:           8
        .value_kind:     global_buffer
      - .actual_access:  read_only
        .address_space:  global
        .offset:         112
        .size:           8
        .value_kind:     global_buffer
      - .actual_access:  read_only
        .address_space:  global
        .offset:         120
        .size:           8
        .value_kind:     global_buffer
      - .actual_access:  write_only
        .address_space:  global
        .offset:         128
        .size:           8
        .value_kind:     global_buffer
      - .actual_access:  write_only
        .address_space:  global
        .offset:         136
        .size:           8
        .value_kind:     global_buffer
      - .offset:         144
        .size:           4
        .value_kind:     by_value
      - .offset:         148
        .size:           4
        .value_kind:     by_value
      - .offset:         152
        .size:           4
        .value_kind:     by_value
      - .offset:         156
        .size:           4
        .value_kind:     by_value
      - .offset:         160
        .size:           1
        .value_kind:     by_value
      - .offset:         161
        .size:           1
        .value_kind:     by_value
      - .offset:         162
        .size:           1
        .value_kind:     by_value
    .group_segment_fixed_size: 5120
    .kernarg_segment_align: 8
    .kernarg_segment_size: 164
    .language:       OpenCL C
    .language_version:
      - 2
      - 0
    .max_flat_workgroup_size: 256
    .name:           _ZN9rocsparseL27bsrgemm_fill_wf_per_row_2x2ILj256ELj16ELj16ELj137EiifEEv20rocsparse_direction_T4_S2_PKS2_S4_NS_24const_host_device_scalarIT5_EEPKT3_S4_PKS6_SA_S4_SC_S7_SA_S4_SC_SA_PS2_PS6_21rocsparse_index_base_SF_SF_SF_bbb
    .private_segment_fixed_size: 0
    .sgpr_count:     46
    .sgpr_spill_count: 0
    .symbol:         _ZN9rocsparseL27bsrgemm_fill_wf_per_row_2x2ILj256ELj16ELj16ELj137EiifEEv20rocsparse_direction_T4_S2_PKS2_S4_NS_24const_host_device_scalarIT5_EEPKT3_S4_PKS6_SA_S4_SC_S7_SA_S4_SC_SA_PS2_PS6_21rocsparse_index_base_SF_SF_SF_bbb.kd
    .uniform_work_group_size: 1
    .uses_dynamic_stack: false
    .vgpr_count:     31
    .vgpr_spill_count: 0
    .wavefront_size: 32
    .workgroup_processor_mode: 1
  - .args:
      - .offset:         0
        .size:           4
        .value_kind:     by_value
      - .offset:         4
        .size:           4
        .value_kind:     by_value
      - .offset:         8
        .size:           4
        .value_kind:     by_value
      - .actual_access:  read_only
        .address_space:  global
        .offset:         16
        .size:           8
        .value_kind:     global_buffer
      - .actual_access:  read_only
        .address_space:  global
        .offset:         24
        .size:           8
        .value_kind:     global_buffer
      - .offset:         32
        .size:           8
        .value_kind:     by_value
      - .actual_access:  read_only
        .address_space:  global
        .offset:         40
        .size:           8
        .value_kind:     global_buffer
      - .actual_access:  read_only
        .address_space:  global
        .offset:         48
        .size:           8
        .value_kind:     global_buffer
      - .actual_access:  read_only
        .address_space:  global
        .offset:         56
        .size:           8
        .value_kind:     global_buffer
      - .actual_access:  read_only
        .address_space:  global
        .offset:         64
        .size:           8
        .value_kind:     global_buffer
      - .actual_access:  read_only
        .address_space:  global
        .offset:         72
        .size:           8
        .value_kind:     global_buffer
      - .actual_access:  read_only
        .address_space:  global
        .offset:         80
        .size:           8
        .value_kind:     global_buffer
      - .offset:         88
        .size:           8
        .value_kind:     by_value
      - .actual_access:  read_only
        .address_space:  global
        .offset:         96
        .size:           8
        .value_kind:     global_buffer
      - .actual_access:  read_only
        .address_space:  global
        .offset:         104
        .size:           8
        .value_kind:     global_buffer
      - .actual_access:  read_only
        .address_space:  global
        .offset:         112
        .size:           8
        .value_kind:     global_buffer
      - .actual_access:  read_only
        .address_space:  global
        .offset:         120
        .size:           8
        .value_kind:     global_buffer
      - .actual_access:  write_only
        .address_space:  global
        .offset:         128
        .size:           8
        .value_kind:     global_buffer
      - .actual_access:  write_only
        .address_space:  global
        .offset:         136
        .size:           8
        .value_kind:     global_buffer
      - .offset:         144
        .size:           4
        .value_kind:     by_value
      - .offset:         148
        .size:           4
        .value_kind:     by_value
      - .offset:         152
        .size:           4
        .value_kind:     by_value
      - .offset:         156
        .size:           4
        .value_kind:     by_value
      - .offset:         160
        .size:           1
        .value_kind:     by_value
      - .offset:         161
        .size:           1
        .value_kind:     by_value
      - .offset:         162
        .size:           1
        .value_kind:     by_value
    .group_segment_fixed_size: 10240
    .kernarg_segment_align: 8
    .kernarg_segment_size: 164
    .language:       OpenCL C
    .language_version:
      - 2
      - 0
    .max_flat_workgroup_size: 256
    .name:           _ZN9rocsparseL27bsrgemm_fill_wf_per_row_2x2ILj256ELj16ELj32ELj137EiifEEv20rocsparse_direction_T4_S2_PKS2_S4_NS_24const_host_device_scalarIT5_EEPKT3_S4_PKS6_SA_S4_SC_S7_SA_S4_SC_SA_PS2_PS6_21rocsparse_index_base_SF_SF_SF_bbb
    .private_segment_fixed_size: 0
    .sgpr_count:     46
    .sgpr_spill_count: 0
    .symbol:         _ZN9rocsparseL27bsrgemm_fill_wf_per_row_2x2ILj256ELj16ELj32ELj137EiifEEv20rocsparse_direction_T4_S2_PKS2_S4_NS_24const_host_device_scalarIT5_EEPKT3_S4_PKS6_SA_S4_SC_S7_SA_S4_SC_SA_PS2_PS6_21rocsparse_index_base_SF_SF_SF_bbb.kd
    .uniform_work_group_size: 1
    .uses_dynamic_stack: false
    .vgpr_count:     40
    .vgpr_spill_count: 0
    .wavefront_size: 32
    .workgroup_processor_mode: 1
  - .args:
      - .offset:         0
        .size:           4
        .value_kind:     by_value
      - .offset:         4
        .size:           4
        .value_kind:     by_value
      - .offset:         8
        .size:           4
        .value_kind:     by_value
      - .actual_access:  read_only
        .address_space:  global
        .offset:         16
        .size:           8
        .value_kind:     global_buffer
      - .actual_access:  read_only
        .address_space:  global
        .offset:         24
        .size:           8
        .value_kind:     global_buffer
      - .offset:         32
        .size:           8
        .value_kind:     by_value
      - .actual_access:  read_only
        .address_space:  global
        .offset:         40
        .size:           8
        .value_kind:     global_buffer
      - .actual_access:  read_only
        .address_space:  global
        .offset:         48
        .size:           8
        .value_kind:     global_buffer
      - .actual_access:  read_only
        .address_space:  global
        .offset:         56
        .size:           8
        .value_kind:     global_buffer
      - .actual_access:  read_only
        .address_space:  global
        .offset:         64
        .size:           8
        .value_kind:     global_buffer
      - .actual_access:  read_only
        .address_space:  global
        .offset:         72
        .size:           8
        .value_kind:     global_buffer
      - .actual_access:  read_only
        .address_space:  global
        .offset:         80
        .size:           8
        .value_kind:     global_buffer
      - .offset:         88
        .size:           8
        .value_kind:     by_value
      - .actual_access:  read_only
        .address_space:  global
        .offset:         96
        .size:           8
        .value_kind:     global_buffer
      - .actual_access:  read_only
        .address_space:  global
        .offset:         104
        .size:           8
        .value_kind:     global_buffer
      - .actual_access:  read_only
        .address_space:  global
        .offset:         112
        .size:           8
        .value_kind:     global_buffer
      - .actual_access:  read_only
        .address_space:  global
        .offset:         120
        .size:           8
        .value_kind:     global_buffer
      - .actual_access:  write_only
        .address_space:  global
        .offset:         128
        .size:           8
        .value_kind:     global_buffer
      - .actual_access:  write_only
        .address_space:  global
        .offset:         136
        .size:           8
        .value_kind:     global_buffer
      - .offset:         144
        .size:           4
        .value_kind:     by_value
      - .offset:         148
        .size:           4
        .value_kind:     by_value
      - .offset:         152
        .size:           4
        .value_kind:     by_value
      - .offset:         156
        .size:           4
        .value_kind:     by_value
      - .offset:         160
        .size:           1
        .value_kind:     by_value
      - .offset:         161
        .size:           1
        .value_kind:     by_value
      - .offset:         162
        .size:           1
        .value_kind:     by_value
    .group_segment_fixed_size: 0
    .kernarg_segment_align: 8
    .kernarg_segment_size: 164
    .language:       OpenCL C
    .language_version:
      - 2
      - 0
    .max_flat_workgroup_size: 256
    .name:           _ZN9rocsparseL30bsrgemm_fill_block_per_row_2x2ILj256ELj16ELj64ELj137EiifEEv20rocsparse_direction_T4_S2_PKS2_S4_NS_24const_host_device_scalarIT5_EEPKT3_S4_PKS6_SA_S4_SC_S7_SA_S4_SC_SA_PS2_PS6_21rocsparse_index_base_SF_SF_SF_bbb
    .private_segment_fixed_size: 0
    .sgpr_count:     38
    .sgpr_spill_count: 0
    .symbol:         _ZN9rocsparseL30bsrgemm_fill_block_per_row_2x2ILj256ELj16ELj64ELj137EiifEEv20rocsparse_direction_T4_S2_PKS2_S4_NS_24const_host_device_scalarIT5_EEPKT3_S4_PKS6_SA_S4_SC_S7_SA_S4_SC_SA_PS2_PS6_21rocsparse_index_base_SF_SF_SF_bbb.kd
    .uniform_work_group_size: 1
    .uses_dynamic_stack: false
    .vgpr_count:     66
    .vgpr_spill_count: 0
    .wavefront_size: 32
    .workgroup_processor_mode: 1
  - .args:
      - .offset:         0
        .size:           4
        .value_kind:     by_value
      - .offset:         4
        .size:           4
        .value_kind:     by_value
      - .offset:         8
        .size:           4
        .value_kind:     by_value
      - .actual_access:  read_only
        .address_space:  global
        .offset:         16
        .size:           8
        .value_kind:     global_buffer
      - .actual_access:  read_only
        .address_space:  global
        .offset:         24
        .size:           8
        .value_kind:     global_buffer
      - .offset:         32
        .size:           8
        .value_kind:     by_value
      - .actual_access:  read_only
        .address_space:  global
        .offset:         40
        .size:           8
        .value_kind:     global_buffer
      - .actual_access:  read_only
        .address_space:  global
        .offset:         48
        .size:           8
        .value_kind:     global_buffer
      - .actual_access:  read_only
        .address_space:  global
        .offset:         56
        .size:           8
        .value_kind:     global_buffer
      - .actual_access:  read_only
        .address_space:  global
        .offset:         64
        .size:           8
        .value_kind:     global_buffer
      - .actual_access:  read_only
        .address_space:  global
        .offset:         72
        .size:           8
        .value_kind:     global_buffer
      - .actual_access:  read_only
        .address_space:  global
        .offset:         80
        .size:           8
        .value_kind:     global_buffer
      - .offset:         88
        .size:           8
        .value_kind:     by_value
      - .actual_access:  read_only
        .address_space:  global
        .offset:         96
        .size:           8
        .value_kind:     global_buffer
      - .actual_access:  read_only
        .address_space:  global
        .offset:         104
        .size:           8
        .value_kind:     global_buffer
      - .actual_access:  read_only
        .address_space:  global
        .offset:         112
        .size:           8
        .value_kind:     global_buffer
      - .actual_access:  read_only
        .address_space:  global
        .offset:         120
        .size:           8
        .value_kind:     global_buffer
      - .actual_access:  write_only
        .address_space:  global
        .offset:         128
        .size:           8
        .value_kind:     global_buffer
      - .actual_access:  write_only
        .address_space:  global
        .offset:         136
        .size:           8
        .value_kind:     global_buffer
      - .offset:         144
        .size:           4
        .value_kind:     by_value
      - .offset:         148
        .size:           4
        .value_kind:     by_value
      - .offset:         152
        .size:           4
        .value_kind:     by_value
      - .offset:         156
        .size:           4
        .value_kind:     by_value
      - .offset:         160
        .size:           1
        .value_kind:     by_value
      - .offset:         161
        .size:           1
        .value_kind:     by_value
      - .offset:         162
        .size:           1
        .value_kind:     by_value
    .group_segment_fixed_size: 0
    .kernarg_segment_align: 8
    .kernarg_segment_size: 164
    .language:       OpenCL C
    .language_version:
      - 2
      - 0
    .max_flat_workgroup_size: 256
    .name:           _ZN9rocsparseL30bsrgemm_fill_block_per_row_2x2ILj256ELj16ELj128ELj137EiifEEv20rocsparse_direction_T4_S2_PKS2_S4_NS_24const_host_device_scalarIT5_EEPKT3_S4_PKS6_SA_S4_SC_S7_SA_S4_SC_SA_PS2_PS6_21rocsparse_index_base_SF_SF_SF_bbb
    .private_segment_fixed_size: 0
    .sgpr_count:     48
    .sgpr_spill_count: 0
    .symbol:         _ZN9rocsparseL30bsrgemm_fill_block_per_row_2x2ILj256ELj16ELj128ELj137EiifEEv20rocsparse_direction_T4_S2_PKS2_S4_NS_24const_host_device_scalarIT5_EEPKT3_S4_PKS6_SA_S4_SC_S7_SA_S4_SC_SA_PS2_PS6_21rocsparse_index_base_SF_SF_SF_bbb.kd
    .uniform_work_group_size: 1
    .uses_dynamic_stack: false
    .vgpr_count:     39
    .vgpr_spill_count: 0
    .wavefront_size: 32
    .workgroup_processor_mode: 1
  - .args:
      - .offset:         0
        .size:           4
        .value_kind:     by_value
      - .offset:         4
        .size:           4
        .value_kind:     by_value
      - .offset:         8
        .size:           4
        .value_kind:     by_value
      - .actual_access:  read_only
        .address_space:  global
        .offset:         16
        .size:           8
        .value_kind:     global_buffer
      - .actual_access:  read_only
        .address_space:  global
        .offset:         24
        .size:           8
        .value_kind:     global_buffer
      - .offset:         32
        .size:           8
        .value_kind:     by_value
      - .actual_access:  read_only
        .address_space:  global
        .offset:         40
        .size:           8
        .value_kind:     global_buffer
      - .actual_access:  read_only
        .address_space:  global
        .offset:         48
        .size:           8
        .value_kind:     global_buffer
      - .actual_access:  read_only
        .address_space:  global
        .offset:         56
        .size:           8
        .value_kind:     global_buffer
      - .actual_access:  read_only
        .address_space:  global
        .offset:         64
        .size:           8
        .value_kind:     global_buffer
      - .actual_access:  read_only
        .address_space:  global
        .offset:         72
        .size:           8
        .value_kind:     global_buffer
      - .actual_access:  read_only
        .address_space:  global
        .offset:         80
        .size:           8
        .value_kind:     global_buffer
      - .offset:         88
        .size:           8
        .value_kind:     by_value
      - .actual_access:  read_only
        .address_space:  global
        .offset:         96
        .size:           8
        .value_kind:     global_buffer
      - .actual_access:  read_only
        .address_space:  global
        .offset:         104
        .size:           8
        .value_kind:     global_buffer
      - .actual_access:  read_only
        .address_space:  global
        .offset:         112
        .size:           8
        .value_kind:     global_buffer
      - .actual_access:  read_only
        .address_space:  global
        .offset:         120
        .size:           8
        .value_kind:     global_buffer
      - .actual_access:  write_only
        .address_space:  global
        .offset:         128
        .size:           8
        .value_kind:     global_buffer
      - .actual_access:  write_only
        .address_space:  global
        .offset:         136
        .size:           8
        .value_kind:     global_buffer
      - .offset:         144
        .size:           4
        .value_kind:     by_value
      - .offset:         148
        .size:           4
        .value_kind:     by_value
      - .offset:         152
        .size:           4
        .value_kind:     by_value
      - .offset:         156
        .size:           4
        .value_kind:     by_value
      - .offset:         160
        .size:           1
        .value_kind:     by_value
      - .offset:         161
        .size:           1
        .value_kind:     by_value
      - .offset:         162
        .size:           1
        .value_kind:     by_value
    .group_segment_fixed_size: 0
    .kernarg_segment_align: 8
    .kernarg_segment_size: 164
    .language:       OpenCL C
    .language_version:
      - 2
      - 0
    .max_flat_workgroup_size: 256
    .name:           _ZN9rocsparseL30bsrgemm_fill_block_per_row_2x2ILj256ELj16ELj256ELj137EiifEEv20rocsparse_direction_T4_S2_PKS2_S4_NS_24const_host_device_scalarIT5_EEPKT3_S4_PKS6_SA_S4_SC_S7_SA_S4_SC_SA_PS2_PS6_21rocsparse_index_base_SF_SF_SF_bbb
    .private_segment_fixed_size: 0
    .sgpr_count:     48
    .sgpr_spill_count: 0
    .symbol:         _ZN9rocsparseL30bsrgemm_fill_block_per_row_2x2ILj256ELj16ELj256ELj137EiifEEv20rocsparse_direction_T4_S2_PKS2_S4_NS_24const_host_device_scalarIT5_EEPKT3_S4_PKS6_SA_S4_SC_S7_SA_S4_SC_SA_PS2_PS6_21rocsparse_index_base_SF_SF_SF_bbb.kd
    .uniform_work_group_size: 1
    .uses_dynamic_stack: false
    .vgpr_count:     24
    .vgpr_spill_count: 0
    .wavefront_size: 32
    .workgroup_processor_mode: 1
  - .args:
      - .offset:         0
        .size:           4
        .value_kind:     by_value
      - .offset:         4
        .size:           4
        .value_kind:     by_value
      - .offset:         8
        .size:           4
        .value_kind:     by_value
      - .actual_access:  read_only
        .address_space:  global
        .offset:         16
        .size:           8
        .value_kind:     global_buffer
      - .actual_access:  read_only
        .address_space:  global
        .offset:         24
        .size:           8
        .value_kind:     global_buffer
      - .offset:         32
        .size:           8
        .value_kind:     by_value
      - .actual_access:  read_only
        .address_space:  global
        .offset:         40
        .size:           8
        .value_kind:     global_buffer
      - .actual_access:  read_only
        .address_space:  global
        .offset:         48
        .size:           8
        .value_kind:     global_buffer
      - .actual_access:  read_only
        .address_space:  global
        .offset:         56
        .size:           8
        .value_kind:     global_buffer
      - .actual_access:  read_only
        .address_space:  global
        .offset:         64
        .size:           8
        .value_kind:     global_buffer
      - .actual_access:  read_only
        .address_space:  global
        .offset:         72
        .size:           8
        .value_kind:     global_buffer
      - .actual_access:  read_only
        .address_space:  global
        .offset:         80
        .size:           8
        .value_kind:     global_buffer
      - .offset:         88
        .size:           8
        .value_kind:     by_value
      - .actual_access:  read_only
        .address_space:  global
        .offset:         96
        .size:           8
        .value_kind:     global_buffer
      - .actual_access:  read_only
        .address_space:  global
        .offset:         104
        .size:           8
        .value_kind:     global_buffer
      - .actual_access:  read_only
        .address_space:  global
        .offset:         112
        .size:           8
        .value_kind:     global_buffer
      - .actual_access:  read_only
        .address_space:  global
        .offset:         120
        .size:           8
        .value_kind:     global_buffer
      - .actual_access:  write_only
        .address_space:  global
        .offset:         128
        .size:           8
        .value_kind:     global_buffer
      - .actual_access:  write_only
        .address_space:  global
        .offset:         136
        .size:           8
        .value_kind:     global_buffer
      - .offset:         144
        .size:           4
        .value_kind:     by_value
      - .offset:         148
        .size:           4
        .value_kind:     by_value
      - .offset:         152
        .size:           4
        .value_kind:     by_value
      - .offset:         156
        .size:           4
        .value_kind:     by_value
      - .offset:         160
        .size:           1
        .value_kind:     by_value
      - .offset:         161
        .size:           1
        .value_kind:     by_value
      - .offset:         162
        .size:           1
        .value_kind:     by_value
    .group_segment_fixed_size: 0
    .kernarg_segment_align: 8
    .kernarg_segment_size: 164
    .language:       OpenCL C
    .language_version:
      - 2
      - 0
    .max_flat_workgroup_size: 256
    .name:           _ZN9rocsparseL30bsrgemm_fill_block_per_row_2x2ILj256ELj16ELj512ELj137EiifEEv20rocsparse_direction_T4_S2_PKS2_S4_NS_24const_host_device_scalarIT5_EEPKT3_S4_PKS6_SA_S4_SC_S7_SA_S4_SC_SA_PS2_PS6_21rocsparse_index_base_SF_SF_SF_bbb
    .private_segment_fixed_size: 0
    .sgpr_count:     48
    .sgpr_spill_count: 0
    .symbol:         _ZN9rocsparseL30bsrgemm_fill_block_per_row_2x2ILj256ELj16ELj512ELj137EiifEEv20rocsparse_direction_T4_S2_PKS2_S4_NS_24const_host_device_scalarIT5_EEPKT3_S4_PKS6_SA_S4_SC_S7_SA_S4_SC_SA_PS2_PS6_21rocsparse_index_base_SF_SF_SF_bbb.kd
    .uniform_work_group_size: 1
    .uses_dynamic_stack: false
    .vgpr_count:     22
    .vgpr_spill_count: 0
    .wavefront_size: 32
    .workgroup_processor_mode: 1
  - .args:
      - .offset:         0
        .size:           4
        .value_kind:     by_value
      - .offset:         4
        .size:           4
        .value_kind:     by_value
      - .offset:         8
        .size:           4
        .value_kind:     by_value
      - .actual_access:  read_only
        .address_space:  global
        .offset:         16
        .size:           8
        .value_kind:     global_buffer
      - .actual_access:  read_only
        .address_space:  global
        .offset:         24
        .size:           8
        .value_kind:     global_buffer
      - .offset:         32
        .size:           8
        .value_kind:     by_value
      - .actual_access:  read_only
        .address_space:  global
        .offset:         40
        .size:           8
        .value_kind:     global_buffer
      - .actual_access:  read_only
        .address_space:  global
        .offset:         48
        .size:           8
        .value_kind:     global_buffer
      - .actual_access:  read_only
        .address_space:  global
        .offset:         56
        .size:           8
        .value_kind:     global_buffer
      - .actual_access:  read_only
        .address_space:  global
        .offset:         64
        .size:           8
        .value_kind:     global_buffer
      - .actual_access:  read_only
        .address_space:  global
        .offset:         72
        .size:           8
        .value_kind:     global_buffer
      - .actual_access:  read_only
        .address_space:  global
        .offset:         80
        .size:           8
        .value_kind:     global_buffer
      - .offset:         88
        .size:           8
        .value_kind:     by_value
      - .actual_access:  read_only
        .address_space:  global
        .offset:         96
        .size:           8
        .value_kind:     global_buffer
      - .actual_access:  read_only
        .address_space:  global
        .offset:         104
        .size:           8
        .value_kind:     global_buffer
      - .actual_access:  read_only
        .address_space:  global
        .offset:         112
        .size:           8
        .value_kind:     global_buffer
      - .actual_access:  read_only
        .address_space:  global
        .offset:         120
        .size:           8
        .value_kind:     global_buffer
      - .actual_access:  write_only
        .address_space:  global
        .offset:         128
        .size:           8
        .value_kind:     global_buffer
      - .actual_access:  write_only
        .address_space:  global
        .offset:         136
        .size:           8
        .value_kind:     global_buffer
      - .address_space:  global
        .offset:         144
        .size:           8
        .value_kind:     global_buffer
      - .offset:         152
        .size:           4
        .value_kind:     by_value
      - .offset:         156
        .size:           4
        .value_kind:     by_value
      - .offset:         160
        .size:           4
        .value_kind:     by_value
      - .offset:         164
        .size:           4
        .value_kind:     by_value
      - .offset:         168
        .size:           1
        .value_kind:     by_value
      - .offset:         169
        .size:           1
        .value_kind:     by_value
      - .offset:         170
        .size:           1
        .value_kind:     by_value
    .group_segment_fixed_size: 6148
    .kernarg_segment_align: 8
    .kernarg_segment_size: 172
    .language:       OpenCL C
    .language_version:
      - 2
      - 0
    .max_flat_workgroup_size: 256
    .name:           _ZN9rocsparseL38bsrgemm_block_per_row_atomic_multipassILj256ELj256ELj2EiifEEv20rocsparse_direction_T3_S2_PKS2_S4_NS_24const_host_device_scalarIT4_EEPKT2_S4_PKS6_SA_S4_SC_S7_SA_S4_SC_SA_PS2_PS6_PS8_21rocsparse_index_base_SG_SG_SG_bbb
    .private_segment_fixed_size: 0
    .sgpr_count:     64
    .sgpr_spill_count: 0
    .symbol:         _ZN9rocsparseL38bsrgemm_block_per_row_atomic_multipassILj256ELj256ELj2EiifEEv20rocsparse_direction_T3_S2_PKS2_S4_NS_24const_host_device_scalarIT4_EEPKT2_S4_PKS6_SA_S4_SC_S7_SA_S4_SC_SA_PS2_PS6_PS8_21rocsparse_index_base_SG_SG_SG_bbb.kd
    .uniform_work_group_size: 1
    .uses_dynamic_stack: false
    .vgpr_count:     44
    .vgpr_spill_count: 0
    .wavefront_size: 32
    .workgroup_processor_mode: 1
  - .args:
      - .offset:         0
        .size:           4
        .value_kind:     by_value
      - .offset:         4
        .size:           4
        .value_kind:     by_value
      - .offset:         8
        .size:           4
        .value_kind:     by_value
      - .offset:         12
        .size:           4
        .value_kind:     by_value
      - .actual_access:  read_only
        .address_space:  global
        .offset:         16
        .size:           8
        .value_kind:     global_buffer
      - .actual_access:  read_only
        .address_space:  global
        .offset:         24
        .size:           8
        .value_kind:     global_buffer
      - .offset:         32
        .size:           8
        .value_kind:     by_value
      - .actual_access:  read_only
        .address_space:  global
        .offset:         40
        .size:           8
        .value_kind:     global_buffer
      - .actual_access:  read_only
        .address_space:  global
        .offset:         48
        .size:           8
        .value_kind:     global_buffer
      - .actual_access:  read_only
        .address_space:  global
        .offset:         56
        .size:           8
        .value_kind:     global_buffer
      - .actual_access:  read_only
        .address_space:  global
        .offset:         64
        .size:           8
        .value_kind:     global_buffer
      - .actual_access:  read_only
        .address_space:  global
        .offset:         72
        .size:           8
        .value_kind:     global_buffer
      - .actual_access:  read_only
        .address_space:  global
        .offset:         80
        .size:           8
        .value_kind:     global_buffer
      - .offset:         88
        .size:           8
        .value_kind:     by_value
      - .actual_access:  read_only
        .address_space:  global
        .offset:         96
        .size:           8
        .value_kind:     global_buffer
      - .actual_access:  read_only
        .address_space:  global
        .offset:         104
        .size:           8
        .value_kind:     global_buffer
      - .actual_access:  read_only
        .address_space:  global
        .offset:         112
        .size:           8
        .value_kind:     global_buffer
      - .actual_access:  read_only
        .address_space:  global
        .offset:         120
        .size:           8
        .value_kind:     global_buffer
      - .actual_access:  write_only
        .address_space:  global
        .offset:         128
        .size:           8
        .value_kind:     global_buffer
      - .actual_access:  write_only
        .address_space:  global
        .offset:         136
        .size:           8
        .value_kind:     global_buffer
      - .offset:         144
        .size:           4
        .value_kind:     by_value
      - .offset:         148
        .size:           4
        .value_kind:     by_value
      - .offset:         152
        .size:           4
        .value_kind:     by_value
      - .offset:         156
        .size:           4
        .value_kind:     by_value
      - .offset:         160
        .size:           1
        .value_kind:     by_value
      - .offset:         161
        .size:           1
        .value_kind:     by_value
      - .offset:         162
        .size:           1
        .value_kind:     by_value
    .group_segment_fixed_size: 2176
    .kernarg_segment_align: 8
    .kernarg_segment_size: 164
    .language:       OpenCL C
    .language_version:
      - 2
      - 0
    .max_flat_workgroup_size: 256
    .name:           _ZN9rocsparseL23bsrgemm_fill_wf_per_rowILj256ELj64ELj8ELj137ELj4EiifEEv20rocsparse_direction_T5_S2_S2_PKS2_S4_NS_24const_host_device_scalarIT6_EEPKT4_S4_PKS6_SA_S4_SC_S7_SA_S4_SC_SA_PS2_PS6_21rocsparse_index_base_SF_SF_SF_bbb
    .private_segment_fixed_size: 0
    .sgpr_count:     50
    .sgpr_spill_count: 0
    .symbol:         _ZN9rocsparseL23bsrgemm_fill_wf_per_rowILj256ELj64ELj8ELj137ELj4EiifEEv20rocsparse_direction_T5_S2_S2_PKS2_S4_NS_24const_host_device_scalarIT6_EEPKT4_S4_PKS6_SA_S4_SC_S7_SA_S4_SC_SA_PS2_PS6_21rocsparse_index_base_SF_SF_SF_bbb.kd
    .uniform_work_group_size: 1
    .uses_dynamic_stack: false
    .vgpr_count:     32
    .vgpr_spill_count: 0
    .wavefront_size: 32
    .workgroup_processor_mode: 1
  - .args:
      - .offset:         0
        .size:           4
        .value_kind:     by_value
      - .offset:         4
        .size:           4
        .value_kind:     by_value
      - .offset:         8
        .size:           4
        .value_kind:     by_value
      - .offset:         12
        .size:           4
        .value_kind:     by_value
      - .actual_access:  read_only
        .address_space:  global
        .offset:         16
        .size:           8
        .value_kind:     global_buffer
      - .actual_access:  read_only
        .address_space:  global
        .offset:         24
        .size:           8
        .value_kind:     global_buffer
      - .offset:         32
        .size:           8
        .value_kind:     by_value
      - .actual_access:  read_only
        .address_space:  global
        .offset:         40
        .size:           8
        .value_kind:     global_buffer
      - .actual_access:  read_only
        .address_space:  global
        .offset:         48
        .size:           8
        .value_kind:     global_buffer
      - .actual_access:  read_only
        .address_space:  global
        .offset:         56
        .size:           8
        .value_kind:     global_buffer
      - .actual_access:  read_only
        .address_space:  global
        .offset:         64
        .size:           8
        .value_kind:     global_buffer
      - .actual_access:  read_only
        .address_space:  global
        .offset:         72
        .size:           8
        .value_kind:     global_buffer
      - .actual_access:  read_only
        .address_space:  global
        .offset:         80
        .size:           8
        .value_kind:     global_buffer
      - .offset:         88
        .size:           8
        .value_kind:     by_value
      - .actual_access:  read_only
        .address_space:  global
        .offset:         96
        .size:           8
        .value_kind:     global_buffer
      - .actual_access:  read_only
        .address_space:  global
        .offset:         104
        .size:           8
        .value_kind:     global_buffer
      - .actual_access:  read_only
        .address_space:  global
        .offset:         112
        .size:           8
        .value_kind:     global_buffer
      - .actual_access:  read_only
        .address_space:  global
        .offset:         120
        .size:           8
        .value_kind:     global_buffer
      - .actual_access:  write_only
        .address_space:  global
        .offset:         128
        .size:           8
        .value_kind:     global_buffer
      - .actual_access:  write_only
        .address_space:  global
        .offset:         136
        .size:           8
        .value_kind:     global_buffer
      - .offset:         144
        .size:           4
        .value_kind:     by_value
      - .offset:         148
        .size:           4
        .value_kind:     by_value
      - .offset:         152
        .size:           4
        .value_kind:     by_value
      - .offset:         156
        .size:           4
        .value_kind:     by_value
      - .offset:         160
        .size:           1
        .value_kind:     by_value
      - .offset:         161
        .size:           1
        .value_kind:     by_value
      - .offset:         162
        .size:           1
        .value_kind:     by_value
    .group_segment_fixed_size: 4352
    .kernarg_segment_align: 8
    .kernarg_segment_size: 164
    .language:       OpenCL C
    .language_version:
      - 2
      - 0
    .max_flat_workgroup_size: 256
    .name:           _ZN9rocsparseL23bsrgemm_fill_wf_per_rowILj256ELj64ELj16ELj137ELj4EiifEEv20rocsparse_direction_T5_S2_S2_PKS2_S4_NS_24const_host_device_scalarIT6_EEPKT4_S4_PKS6_SA_S4_SC_S7_SA_S4_SC_SA_PS2_PS6_21rocsparse_index_base_SF_SF_SF_bbb
    .private_segment_fixed_size: 0
    .sgpr_count:     50
    .sgpr_spill_count: 0
    .symbol:         _ZN9rocsparseL23bsrgemm_fill_wf_per_rowILj256ELj64ELj16ELj137ELj4EiifEEv20rocsparse_direction_T5_S2_S2_PKS2_S4_NS_24const_host_device_scalarIT6_EEPKT4_S4_PKS6_SA_S4_SC_S7_SA_S4_SC_SA_PS2_PS6_21rocsparse_index_base_SF_SF_SF_bbb.kd
    .uniform_work_group_size: 1
    .uses_dynamic_stack: false
    .vgpr_count:     32
    .vgpr_spill_count: 0
    .wavefront_size: 32
    .workgroup_processor_mode: 1
  - .args:
      - .offset:         0
        .size:           4
        .value_kind:     by_value
      - .offset:         4
        .size:           4
        .value_kind:     by_value
      - .offset:         8
        .size:           4
        .value_kind:     by_value
      - .actual_access:  read_only
        .address_space:  global
        .offset:         16
        .size:           8
        .value_kind:     global_buffer
      - .actual_access:  read_only
        .address_space:  global
        .offset:         24
        .size:           8
        .value_kind:     global_buffer
      - .offset:         32
        .size:           8
        .value_kind:     by_value
      - .actual_access:  read_only
        .address_space:  global
        .offset:         40
        .size:           8
        .value_kind:     global_buffer
      - .actual_access:  read_only
        .address_space:  global
        .offset:         48
        .size:           8
        .value_kind:     global_buffer
      - .actual_access:  read_only
        .address_space:  global
        .offset:         56
        .size:           8
        .value_kind:     global_buffer
      - .actual_access:  read_only
        .address_space:  global
        .offset:         64
        .size:           8
        .value_kind:     global_buffer
      - .actual_access:  read_only
        .address_space:  global
        .offset:         72
        .size:           8
        .value_kind:     global_buffer
      - .actual_access:  read_only
        .address_space:  global
        .offset:         80
        .size:           8
        .value_kind:     global_buffer
      - .offset:         88
        .size:           8
        .value_kind:     by_value
      - .actual_access:  read_only
        .address_space:  global
        .offset:         96
        .size:           8
        .value_kind:     global_buffer
      - .actual_access:  read_only
        .address_space:  global
        .offset:         104
        .size:           8
        .value_kind:     global_buffer
      - .actual_access:  read_only
        .address_space:  global
        .offset:         112
        .size:           8
        .value_kind:     global_buffer
      - .actual_access:  read_only
        .address_space:  global
        .offset:         120
        .size:           8
        .value_kind:     global_buffer
      - .actual_access:  write_only
        .address_space:  global
        .offset:         128
        .size:           8
        .value_kind:     global_buffer
      - .actual_access:  write_only
        .address_space:  global
        .offset:         136
        .size:           8
        .value_kind:     global_buffer
      - .address_space:  global
        .offset:         144
        .size:           8
        .value_kind:     global_buffer
      - .offset:         152
        .size:           4
        .value_kind:     by_value
      - .offset:         156
        .size:           4
        .value_kind:     by_value
      - .offset:         160
        .size:           4
        .value_kind:     by_value
      - .offset:         164
        .size:           4
        .value_kind:     by_value
      - .offset:         168
        .size:           1
        .value_kind:     by_value
      - .offset:         169
        .size:           1
        .value_kind:     by_value
      - .offset:         170
        .size:           1
        .value_kind:     by_value
    .group_segment_fixed_size: 3204
    .kernarg_segment_align: 8
    .kernarg_segment_size: 172
    .language:       OpenCL C
    .language_version:
      - 2
      - 0
    .max_flat_workgroup_size: 256
    .name:           _ZN9rocsparseL38bsrgemm_block_per_row_atomic_multipassILj256ELj32ELj4EiifEEv20rocsparse_direction_T3_S2_PKS2_S4_NS_24const_host_device_scalarIT4_EEPKT2_S4_PKS6_SA_S4_SC_S7_SA_S4_SC_SA_PS2_PS6_PS8_21rocsparse_index_base_SG_SG_SG_bbb
    .private_segment_fixed_size: 0
    .sgpr_count:     62
    .sgpr_spill_count: 0
    .symbol:         _ZN9rocsparseL38bsrgemm_block_per_row_atomic_multipassILj256ELj32ELj4EiifEEv20rocsparse_direction_T3_S2_PKS2_S4_NS_24const_host_device_scalarIT4_EEPKT2_S4_PKS6_SA_S4_SC_S7_SA_S4_SC_SA_PS2_PS6_PS8_21rocsparse_index_base_SG_SG_SG_bbb.kd
    .uniform_work_group_size: 1
    .uses_dynamic_stack: false
    .vgpr_count:     41
    .vgpr_spill_count: 0
    .wavefront_size: 32
    .workgroup_processor_mode: 1
  - .args:
      - .offset:         0
        .size:           4
        .value_kind:     by_value
      - .offset:         4
        .size:           4
        .value_kind:     by_value
      - .offset:         8
        .size:           4
        .value_kind:     by_value
      - .actual_access:  read_only
        .address_space:  global
        .offset:         16
        .size:           8
        .value_kind:     global_buffer
      - .actual_access:  read_only
        .address_space:  global
        .offset:         24
        .size:           8
        .value_kind:     global_buffer
      - .offset:         32
        .size:           8
        .value_kind:     by_value
      - .actual_access:  read_only
        .address_space:  global
        .offset:         40
        .size:           8
        .value_kind:     global_buffer
      - .actual_access:  read_only
        .address_space:  global
        .offset:         48
        .size:           8
        .value_kind:     global_buffer
      - .actual_access:  read_only
        .address_space:  global
        .offset:         56
        .size:           8
        .value_kind:     global_buffer
      - .actual_access:  read_only
        .address_space:  global
        .offset:         64
        .size:           8
        .value_kind:     global_buffer
      - .actual_access:  read_only
        .address_space:  global
        .offset:         72
        .size:           8
        .value_kind:     global_buffer
      - .actual_access:  read_only
        .address_space:  global
        .offset:         80
        .size:           8
        .value_kind:     global_buffer
      - .offset:         88
        .size:           8
        .value_kind:     by_value
      - .actual_access:  read_only
        .address_space:  global
        .offset:         96
        .size:           8
        .value_kind:     global_buffer
      - .actual_access:  read_only
        .address_space:  global
        .offset:         104
        .size:           8
        .value_kind:     global_buffer
      - .actual_access:  read_only
        .address_space:  global
        .offset:         112
        .size:           8
        .value_kind:     global_buffer
      - .actual_access:  read_only
        .address_space:  global
        .offset:         120
        .size:           8
        .value_kind:     global_buffer
      - .actual_access:  write_only
        .address_space:  global
        .offset:         128
        .size:           8
        .value_kind:     global_buffer
      - .actual_access:  write_only
        .address_space:  global
        .offset:         136
        .size:           8
        .value_kind:     global_buffer
      - .address_space:  global
        .offset:         144
        .size:           8
        .value_kind:     global_buffer
      - .offset:         152
        .size:           4
        .value_kind:     by_value
      - .offset:         156
        .size:           4
        .value_kind:     by_value
      - .offset:         160
        .size:           4
        .value_kind:     by_value
      - .offset:         164
        .size:           4
        .value_kind:     by_value
      - .offset:         168
        .size:           1
        .value_kind:     by_value
      - .offset:         169
        .size:           1
        .value_kind:     by_value
      - .offset:         170
        .size:           1
        .value_kind:     by_value
    .group_segment_fixed_size: 5380
    .kernarg_segment_align: 8
    .kernarg_segment_size: 172
    .language:       OpenCL C
    .language_version:
      - 2
      - 0
    .max_flat_workgroup_size: 256
    .name:           _ZN9rocsparseL38bsrgemm_block_per_row_atomic_multipassILj256ELj64ELj4EiifEEv20rocsparse_direction_T3_S2_PKS2_S4_NS_24const_host_device_scalarIT4_EEPKT2_S4_PKS6_SA_S4_SC_S7_SA_S4_SC_SA_PS2_PS6_PS8_21rocsparse_index_base_SG_SG_SG_bbb
    .private_segment_fixed_size: 0
    .sgpr_count:     62
    .sgpr_spill_count: 0
    .symbol:         _ZN9rocsparseL38bsrgemm_block_per_row_atomic_multipassILj256ELj64ELj4EiifEEv20rocsparse_direction_T3_S2_PKS2_S4_NS_24const_host_device_scalarIT4_EEPKT2_S4_PKS6_SA_S4_SC_S7_SA_S4_SC_SA_PS2_PS6_PS8_21rocsparse_index_base_SG_SG_SG_bbb.kd
    .uniform_work_group_size: 1
    .uses_dynamic_stack: false
    .vgpr_count:     42
    .vgpr_spill_count: 0
    .wavefront_size: 32
    .workgroup_processor_mode: 1
  - .args:
      - .offset:         0
        .size:           4
        .value_kind:     by_value
      - .offset:         4
        .size:           4
        .value_kind:     by_value
      - .offset:         8
        .size:           4
        .value_kind:     by_value
      - .actual_access:  read_only
        .address_space:  global
        .offset:         16
        .size:           8
        .value_kind:     global_buffer
      - .actual_access:  read_only
        .address_space:  global
        .offset:         24
        .size:           8
        .value_kind:     global_buffer
      - .offset:         32
        .size:           8
        .value_kind:     by_value
      - .actual_access:  read_only
        .address_space:  global
        .offset:         40
        .size:           8
        .value_kind:     global_buffer
      - .actual_access:  read_only
        .address_space:  global
        .offset:         48
        .size:           8
        .value_kind:     global_buffer
      - .actual_access:  read_only
        .address_space:  global
        .offset:         56
        .size:           8
        .value_kind:     global_buffer
      - .actual_access:  read_only
        .address_space:  global
        .offset:         64
        .size:           8
        .value_kind:     global_buffer
      - .actual_access:  read_only
        .address_space:  global
        .offset:         72
        .size:           8
        .value_kind:     global_buffer
      - .actual_access:  read_only
        .address_space:  global
        .offset:         80
        .size:           8
        .value_kind:     global_buffer
      - .offset:         88
        .size:           8
        .value_kind:     by_value
      - .actual_access:  read_only
        .address_space:  global
        .offset:         96
        .size:           8
        .value_kind:     global_buffer
      - .actual_access:  read_only
        .address_space:  global
        .offset:         104
        .size:           8
        .value_kind:     global_buffer
      - .actual_access:  read_only
        .address_space:  global
        .offset:         112
        .size:           8
        .value_kind:     global_buffer
      - .actual_access:  read_only
        .address_space:  global
        .offset:         120
        .size:           8
        .value_kind:     global_buffer
      - .actual_access:  write_only
        .address_space:  global
        .offset:         128
        .size:           8
        .value_kind:     global_buffer
      - .actual_access:  write_only
        .address_space:  global
        .offset:         136
        .size:           8
        .value_kind:     global_buffer
      - .address_space:  global
        .offset:         144
        .size:           8
        .value_kind:     global_buffer
      - .offset:         152
        .size:           4
        .value_kind:     by_value
      - .offset:         156
        .size:           4
        .value_kind:     by_value
      - .offset:         160
        .size:           4
        .value_kind:     by_value
      - .offset:         164
        .size:           4
        .value_kind:     by_value
      - .offset:         168
        .size:           1
        .value_kind:     by_value
      - .offset:         169
        .size:           1
        .value_kind:     by_value
      - .offset:         170
        .size:           1
        .value_kind:     by_value
    .group_segment_fixed_size: 9732
    .kernarg_segment_align: 8
    .kernarg_segment_size: 172
    .language:       OpenCL C
    .language_version:
      - 2
      - 0
    .max_flat_workgroup_size: 256
    .name:           _ZN9rocsparseL38bsrgemm_block_per_row_atomic_multipassILj256ELj128ELj4EiifEEv20rocsparse_direction_T3_S2_PKS2_S4_NS_24const_host_device_scalarIT4_EEPKT2_S4_PKS6_SA_S4_SC_S7_SA_S4_SC_SA_PS2_PS6_PS8_21rocsparse_index_base_SG_SG_SG_bbb
    .private_segment_fixed_size: 0
    .sgpr_count:     66
    .sgpr_spill_count: 0
    .symbol:         _ZN9rocsparseL38bsrgemm_block_per_row_atomic_multipassILj256ELj128ELj4EiifEEv20rocsparse_direction_T3_S2_PKS2_S4_NS_24const_host_device_scalarIT4_EEPKT2_S4_PKS6_SA_S4_SC_S7_SA_S4_SC_SA_PS2_PS6_PS8_21rocsparse_index_base_SG_SG_SG_bbb.kd
    .uniform_work_group_size: 1
    .uses_dynamic_stack: false
    .vgpr_count:     42
    .vgpr_spill_count: 0
    .wavefront_size: 32
    .workgroup_processor_mode: 1
  - .args:
      - .offset:         0
        .size:           4
        .value_kind:     by_value
      - .offset:         4
        .size:           4
        .value_kind:     by_value
      - .offset:         8
        .size:           4
        .value_kind:     by_value
      - .offset:         12
        .size:           4
        .value_kind:     by_value
      - .actual_access:  read_only
        .address_space:  global
        .offset:         16
        .size:           8
        .value_kind:     global_buffer
      - .actual_access:  read_only
        .address_space:  global
        .offset:         24
        .size:           8
        .value_kind:     global_buffer
      - .offset:         32
        .size:           8
        .value_kind:     by_value
      - .actual_access:  read_only
        .address_space:  global
        .offset:         40
        .size:           8
        .value_kind:     global_buffer
      - .actual_access:  read_only
        .address_space:  global
        .offset:         48
        .size:           8
        .value_kind:     global_buffer
      - .actual_access:  read_only
        .address_space:  global
        .offset:         56
        .size:           8
        .value_kind:     global_buffer
      - .actual_access:  read_only
        .address_space:  global
        .offset:         64
        .size:           8
        .value_kind:     global_buffer
      - .actual_access:  read_only
        .address_space:  global
        .offset:         72
        .size:           8
        .value_kind:     global_buffer
      - .actual_access:  read_only
        .address_space:  global
        .offset:         80
        .size:           8
        .value_kind:     global_buffer
      - .offset:         88
        .size:           8
        .value_kind:     by_value
      - .actual_access:  read_only
        .address_space:  global
        .offset:         96
        .size:           8
        .value_kind:     global_buffer
      - .actual_access:  read_only
        .address_space:  global
        .offset:         104
        .size:           8
        .value_kind:     global_buffer
      - .actual_access:  read_only
        .address_space:  global
        .offset:         112
        .size:           8
        .value_kind:     global_buffer
      - .actual_access:  read_only
        .address_space:  global
        .offset:         120
        .size:           8
        .value_kind:     global_buffer
      - .actual_access:  write_only
        .address_space:  global
        .offset:         128
        .size:           8
        .value_kind:     global_buffer
      - .actual_access:  write_only
        .address_space:  global
        .offset:         136
        .size:           8
        .value_kind:     global_buffer
      - .offset:         144
        .size:           4
        .value_kind:     by_value
      - .offset:         148
        .size:           4
        .value_kind:     by_value
      - .offset:         152
        .size:           4
        .value_kind:     by_value
      - .offset:         156
        .size:           4
        .value_kind:     by_value
      - .offset:         160
        .size:           1
        .value_kind:     by_value
      - .offset:         161
        .size:           1
        .value_kind:     by_value
      - .offset:         162
        .size:           1
        .value_kind:     by_value
    .group_segment_fixed_size: 8320
    .kernarg_segment_align: 8
    .kernarg_segment_size: 164
    .language:       OpenCL C
    .language_version:
      - 2
      - 0
    .max_flat_workgroup_size: 256
    .name:           _ZN9rocsparseL23bsrgemm_fill_wf_per_rowILj256ELj64ELj8ELj137ELj8EiifEEv20rocsparse_direction_T5_S2_S2_PKS2_S4_NS_24const_host_device_scalarIT6_EEPKT4_S4_PKS6_SA_S4_SC_S7_SA_S4_SC_SA_PS2_PS6_21rocsparse_index_base_SF_SF_SF_bbb
    .private_segment_fixed_size: 0
    .sgpr_count:     50
    .sgpr_spill_count: 0
    .symbol:         _ZN9rocsparseL23bsrgemm_fill_wf_per_rowILj256ELj64ELj8ELj137ELj8EiifEEv20rocsparse_direction_T5_S2_S2_PKS2_S4_NS_24const_host_device_scalarIT6_EEPKT4_S4_PKS6_SA_S4_SC_S7_SA_S4_SC_SA_PS2_PS6_21rocsparse_index_base_SF_SF_SF_bbb.kd
    .uniform_work_group_size: 1
    .uses_dynamic_stack: false
    .vgpr_count:     30
    .vgpr_spill_count: 0
    .wavefront_size: 32
    .workgroup_processor_mode: 1
  - .args:
      - .offset:         0
        .size:           4
        .value_kind:     by_value
      - .offset:         4
        .size:           4
        .value_kind:     by_value
      - .offset:         8
        .size:           4
        .value_kind:     by_value
      - .actual_access:  read_only
        .address_space:  global
        .offset:         16
        .size:           8
        .value_kind:     global_buffer
      - .actual_access:  read_only
        .address_space:  global
        .offset:         24
        .size:           8
        .value_kind:     global_buffer
      - .offset:         32
        .size:           8
        .value_kind:     by_value
      - .actual_access:  read_only
        .address_space:  global
        .offset:         40
        .size:           8
        .value_kind:     global_buffer
      - .actual_access:  read_only
        .address_space:  global
        .offset:         48
        .size:           8
        .value_kind:     global_buffer
      - .actual_access:  read_only
        .address_space:  global
        .offset:         56
        .size:           8
        .value_kind:     global_buffer
      - .actual_access:  read_only
        .address_space:  global
        .offset:         64
        .size:           8
        .value_kind:     global_buffer
      - .actual_access:  read_only
        .address_space:  global
        .offset:         72
        .size:           8
        .value_kind:     global_buffer
      - .actual_access:  read_only
        .address_space:  global
        .offset:         80
        .size:           8
        .value_kind:     global_buffer
      - .offset:         88
        .size:           8
        .value_kind:     by_value
      - .actual_access:  read_only
        .address_space:  global
        .offset:         96
        .size:           8
        .value_kind:     global_buffer
      - .actual_access:  read_only
        .address_space:  global
        .offset:         104
        .size:           8
        .value_kind:     global_buffer
      - .actual_access:  read_only
        .address_space:  global
        .offset:         112
        .size:           8
        .value_kind:     global_buffer
      - .actual_access:  read_only
        .address_space:  global
        .offset:         120
        .size:           8
        .value_kind:     global_buffer
      - .actual_access:  write_only
        .address_space:  global
        .offset:         128
        .size:           8
        .value_kind:     global_buffer
      - .actual_access:  write_only
        .address_space:  global
        .offset:         136
        .size:           8
        .value_kind:     global_buffer
      - .address_space:  global
        .offset:         144
        .size:           8
        .value_kind:     global_buffer
      - .offset:         152
        .size:           4
        .value_kind:     by_value
      - .offset:         156
        .size:           4
        .value_kind:     by_value
      - .offset:         160
        .size:           4
        .value_kind:     by_value
      - .offset:         164
        .size:           4
        .value_kind:     by_value
      - .offset:         168
        .size:           1
        .value_kind:     by_value
      - .offset:         169
        .size:           1
        .value_kind:     by_value
      - .offset:         170
        .size:           1
        .value_kind:     by_value
    .group_segment_fixed_size: 5188
    .kernarg_segment_align: 8
    .kernarg_segment_size: 172
    .language:       OpenCL C
    .language_version:
      - 2
      - 0
    .max_flat_workgroup_size: 256
    .name:           _ZN9rocsparseL38bsrgemm_block_per_row_atomic_multipassILj256ELj16ELj8EiifEEv20rocsparse_direction_T3_S2_PKS2_S4_NS_24const_host_device_scalarIT4_EEPKT2_S4_PKS6_SA_S4_SC_S7_SA_S4_SC_SA_PS2_PS6_PS8_21rocsparse_index_base_SG_SG_SG_bbb
    .private_segment_fixed_size: 0
    .sgpr_count:     60
    .sgpr_spill_count: 0
    .symbol:         _ZN9rocsparseL38bsrgemm_block_per_row_atomic_multipassILj256ELj16ELj8EiifEEv20rocsparse_direction_T3_S2_PKS2_S4_NS_24const_host_device_scalarIT4_EEPKT2_S4_PKS6_SA_S4_SC_S7_SA_S4_SC_SA_PS2_PS6_PS8_21rocsparse_index_base_SG_SG_SG_bbb.kd
    .uniform_work_group_size: 1
    .uses_dynamic_stack: false
    .vgpr_count:     40
    .vgpr_spill_count: 0
    .wavefront_size: 32
    .workgroup_processor_mode: 1
  - .args:
      - .offset:         0
        .size:           4
        .value_kind:     by_value
      - .offset:         4
        .size:           4
        .value_kind:     by_value
      - .offset:         8
        .size:           4
        .value_kind:     by_value
      - .actual_access:  read_only
        .address_space:  global
        .offset:         16
        .size:           8
        .value_kind:     global_buffer
      - .actual_access:  read_only
        .address_space:  global
        .offset:         24
        .size:           8
        .value_kind:     global_buffer
      - .offset:         32
        .size:           8
        .value_kind:     by_value
      - .actual_access:  read_only
        .address_space:  global
        .offset:         40
        .size:           8
        .value_kind:     global_buffer
      - .actual_access:  read_only
        .address_space:  global
        .offset:         48
        .size:           8
        .value_kind:     global_buffer
      - .actual_access:  read_only
        .address_space:  global
        .offset:         56
        .size:           8
        .value_kind:     global_buffer
      - .actual_access:  read_only
        .address_space:  global
        .offset:         64
        .size:           8
        .value_kind:     global_buffer
      - .actual_access:  read_only
        .address_space:  global
        .offset:         72
        .size:           8
        .value_kind:     global_buffer
      - .actual_access:  read_only
        .address_space:  global
        .offset:         80
        .size:           8
        .value_kind:     global_buffer
      - .offset:         88
        .size:           8
        .value_kind:     by_value
      - .actual_access:  read_only
        .address_space:  global
        .offset:         96
        .size:           8
        .value_kind:     global_buffer
      - .actual_access:  read_only
        .address_space:  global
        .offset:         104
        .size:           8
        .value_kind:     global_buffer
      - .actual_access:  read_only
        .address_space:  global
        .offset:         112
        .size:           8
        .value_kind:     global_buffer
      - .actual_access:  read_only
        .address_space:  global
        .offset:         120
        .size:           8
        .value_kind:     global_buffer
      - .actual_access:  write_only
        .address_space:  global
        .offset:         128
        .size:           8
        .value_kind:     global_buffer
      - .actual_access:  write_only
        .address_space:  global
        .offset:         136
        .size:           8
        .value_kind:     global_buffer
      - .address_space:  global
        .offset:         144
        .size:           8
        .value_kind:     global_buffer
      - .offset:         152
        .size:           4
        .value_kind:     by_value
      - .offset:         156
        .size:           4
        .value_kind:     by_value
      - .offset:         160
        .size:           4
        .value_kind:     by_value
      - .offset:         164
        .size:           4
        .value_kind:     by_value
      - .offset:         168
        .size:           1
        .value_kind:     by_value
      - .offset:         169
        .size:           1
        .value_kind:     by_value
      - .offset:         170
        .size:           1
        .value_kind:     by_value
    .group_segment_fixed_size: 9348
    .kernarg_segment_align: 8
    .kernarg_segment_size: 172
    .language:       OpenCL C
    .language_version:
      - 2
      - 0
    .max_flat_workgroup_size: 256
    .name:           _ZN9rocsparseL38bsrgemm_block_per_row_atomic_multipassILj256ELj32ELj8EiifEEv20rocsparse_direction_T3_S2_PKS2_S4_NS_24const_host_device_scalarIT4_EEPKT2_S4_PKS6_SA_S4_SC_S7_SA_S4_SC_SA_PS2_PS6_PS8_21rocsparse_index_base_SG_SG_SG_bbb
    .private_segment_fixed_size: 0
    .sgpr_count:     64
    .sgpr_spill_count: 0
    .symbol:         _ZN9rocsparseL38bsrgemm_block_per_row_atomic_multipassILj256ELj32ELj8EiifEEv20rocsparse_direction_T3_S2_PKS2_S4_NS_24const_host_device_scalarIT4_EEPKT2_S4_PKS6_SA_S4_SC_S7_SA_S4_SC_SA_PS2_PS6_PS8_21rocsparse_index_base_SG_SG_SG_bbb.kd
    .uniform_work_group_size: 1
    .uses_dynamic_stack: false
    .vgpr_count:     41
    .vgpr_spill_count: 0
    .wavefront_size: 32
    .workgroup_processor_mode: 1
  - .args:
      - .offset:         0
        .size:           4
        .value_kind:     by_value
      - .offset:         4
        .size:           4
        .value_kind:     by_value
      - .offset:         8
        .size:           4
        .value_kind:     by_value
      - .actual_access:  read_only
        .address_space:  global
        .offset:         16
        .size:           8
        .value_kind:     global_buffer
      - .actual_access:  read_only
        .address_space:  global
        .offset:         24
        .size:           8
        .value_kind:     global_buffer
      - .offset:         32
        .size:           8
        .value_kind:     by_value
      - .actual_access:  read_only
        .address_space:  global
        .offset:         40
        .size:           8
        .value_kind:     global_buffer
      - .actual_access:  read_only
        .address_space:  global
        .offset:         48
        .size:           8
        .value_kind:     global_buffer
      - .actual_access:  read_only
        .address_space:  global
        .offset:         56
        .size:           8
        .value_kind:     global_buffer
      - .actual_access:  read_only
        .address_space:  global
        .offset:         64
        .size:           8
        .value_kind:     global_buffer
      - .actual_access:  read_only
        .address_space:  global
        .offset:         72
        .size:           8
        .value_kind:     global_buffer
      - .actual_access:  read_only
        .address_space:  global
        .offset:         80
        .size:           8
        .value_kind:     global_buffer
      - .offset:         88
        .size:           8
        .value_kind:     by_value
      - .actual_access:  read_only
        .address_space:  global
        .offset:         96
        .size:           8
        .value_kind:     global_buffer
      - .actual_access:  read_only
        .address_space:  global
        .offset:         104
        .size:           8
        .value_kind:     global_buffer
      - .actual_access:  read_only
        .address_space:  global
        .offset:         112
        .size:           8
        .value_kind:     global_buffer
      - .actual_access:  read_only
        .address_space:  global
        .offset:         120
        .size:           8
        .value_kind:     global_buffer
      - .actual_access:  write_only
        .address_space:  global
        .offset:         128
        .size:           8
        .value_kind:     global_buffer
      - .actual_access:  write_only
        .address_space:  global
        .offset:         136
        .size:           8
        .value_kind:     global_buffer
      - .address_space:  global
        .offset:         144
        .size:           8
        .value_kind:     global_buffer
      - .offset:         152
        .size:           4
        .value_kind:     by_value
      - .offset:         156
        .size:           4
        .value_kind:     by_value
      - .offset:         160
        .size:           4
        .value_kind:     by_value
      - .offset:         164
        .size:           4
        .value_kind:     by_value
      - .offset:         168
        .size:           1
        .value_kind:     by_value
      - .offset:         169
        .size:           1
        .value_kind:     by_value
      - .offset:         170
        .size:           1
        .value_kind:     by_value
    .group_segment_fixed_size: 8200
    .kernarg_segment_align: 8
    .kernarg_segment_size: 172
    .language:       OpenCL C
    .language_version:
      - 2
      - 0
    .max_flat_workgroup_size: 256
    .name:           _ZN9rocsparseL31bsrgemm_block_per_row_multipassILj256ELj8ELj16EiifEEv20rocsparse_direction_T3_S2_PKS2_S4_NS_24const_host_device_scalarIT4_EEPKT2_S4_PKS6_SA_S4_SC_S7_SA_S4_SC_SA_PS2_PS6_PS8_21rocsparse_index_base_SG_SG_SG_bbb
    .private_segment_fixed_size: 0
    .sgpr_count:     63
    .sgpr_spill_count: 0
    .symbol:         _ZN9rocsparseL31bsrgemm_block_per_row_multipassILj256ELj8ELj16EiifEEv20rocsparse_direction_T3_S2_PKS2_S4_NS_24const_host_device_scalarIT4_EEPKT2_S4_PKS6_SA_S4_SC_S7_SA_S4_SC_SA_PS2_PS6_PS8_21rocsparse_index_base_SG_SG_SG_bbb.kd
    .uniform_work_group_size: 1
    .uses_dynamic_stack: false
    .vgpr_count:     28
    .vgpr_spill_count: 0
    .wavefront_size: 32
    .workgroup_processor_mode: 1
  - .args:
      - .offset:         0
        .size:           4
        .value_kind:     by_value
      - .offset:         4
        .size:           4
        .value_kind:     by_value
      - .offset:         8
        .size:           4
        .value_kind:     by_value
      - .actual_access:  read_only
        .address_space:  global
        .offset:         16
        .size:           8
        .value_kind:     global_buffer
      - .actual_access:  read_only
        .address_space:  global
        .offset:         24
        .size:           8
        .value_kind:     global_buffer
      - .offset:         32
        .size:           8
        .value_kind:     by_value
      - .actual_access:  read_only
        .address_space:  global
        .offset:         40
        .size:           8
        .value_kind:     global_buffer
      - .actual_access:  read_only
        .address_space:  global
        .offset:         48
        .size:           8
        .value_kind:     global_buffer
      - .actual_access:  read_only
        .address_space:  global
        .offset:         56
        .size:           8
        .value_kind:     global_buffer
      - .actual_access:  read_only
        .address_space:  global
        .offset:         64
        .size:           8
        .value_kind:     global_buffer
      - .actual_access:  read_only
        .address_space:  global
        .offset:         72
        .size:           8
        .value_kind:     global_buffer
      - .actual_access:  read_only
        .address_space:  global
        .offset:         80
        .size:           8
        .value_kind:     global_buffer
      - .offset:         88
        .size:           8
        .value_kind:     by_value
      - .actual_access:  read_only
        .address_space:  global
        .offset:         96
        .size:           8
        .value_kind:     global_buffer
      - .actual_access:  read_only
        .address_space:  global
        .offset:         104
        .size:           8
        .value_kind:     global_buffer
      - .actual_access:  read_only
        .address_space:  global
        .offset:         112
        .size:           8
        .value_kind:     global_buffer
      - .actual_access:  read_only
        .address_space:  global
        .offset:         120
        .size:           8
        .value_kind:     global_buffer
      - .actual_access:  write_only
        .address_space:  global
        .offset:         128
        .size:           8
        .value_kind:     global_buffer
      - .actual_access:  write_only
        .address_space:  global
        .offset:         136
        .size:           8
        .value_kind:     global_buffer
      - .address_space:  global
        .offset:         144
        .size:           8
        .value_kind:     global_buffer
      - .offset:         152
        .size:           4
        .value_kind:     by_value
      - .offset:         156
        .size:           4
        .value_kind:     by_value
      - .offset:         160
        .size:           4
        .value_kind:     by_value
      - .offset:         164
        .size:           4
        .value_kind:     by_value
      - .offset:         168
        .size:           1
        .value_kind:     by_value
      - .offset:         169
        .size:           1
        .value_kind:     by_value
      - .offset:         170
        .size:           1
        .value_kind:     by_value
    .group_segment_fixed_size: 8196
    .kernarg_segment_align: 8
    .kernarg_segment_size: 172
    .language:       OpenCL C
    .language_version:
      - 2
      - 0
    .max_flat_workgroup_size: 256
    .name:           _ZN9rocsparseL31bsrgemm_block_per_row_multipassILj256ELj2ELj32EiifEEv20rocsparse_direction_T3_S2_PKS2_S4_NS_24const_host_device_scalarIT4_EEPKT2_S4_PKS6_SA_S4_SC_S7_SA_S4_SC_SA_PS2_PS6_PS8_21rocsparse_index_base_SG_SG_SG_bbb
    .private_segment_fixed_size: 0
    .sgpr_count:     66
    .sgpr_spill_count: 0
    .symbol:         _ZN9rocsparseL31bsrgemm_block_per_row_multipassILj256ELj2ELj32EiifEEv20rocsparse_direction_T3_S2_PKS2_S4_NS_24const_host_device_scalarIT4_EEPKT2_S4_PKS6_SA_S4_SC_S7_SA_S4_SC_SA_PS2_PS6_PS8_21rocsparse_index_base_SG_SG_SG_bbb.kd
    .uniform_work_group_size: 1
    .uses_dynamic_stack: false
    .vgpr_count:     40
    .vgpr_spill_count: 0
    .wavefront_size: 32
    .workgroup_processor_mode: 1
  - .args:
      - .offset:         0
        .size:           4
        .value_kind:     by_value
      - .actual_access:  read_only
        .address_space:  global
        .offset:         8
        .size:           8
        .value_kind:     global_buffer
      - .actual_access:  write_only
        .address_space:  global
        .offset:         16
        .size:           8
        .value_kind:     global_buffer
      - .actual_access:  write_only
        .address_space:  global
        .offset:         24
        .size:           8
        .value_kind:     global_buffer
      - .offset:         32
        .size:           4
        .value_kind:     hidden_block_count_x
      - .offset:         36
        .size:           4
        .value_kind:     hidden_block_count_y
      - .offset:         40
        .size:           4
        .value_kind:     hidden_block_count_z
      - .offset:         44
        .size:           2
        .value_kind:     hidden_group_size_x
      - .offset:         46
        .size:           2
        .value_kind:     hidden_group_size_y
      - .offset:         48
        .size:           2
        .value_kind:     hidden_group_size_z
      - .offset:         50
        .size:           2
        .value_kind:     hidden_remainder_x
      - .offset:         52
        .size:           2
        .value_kind:     hidden_remainder_y
      - .offset:         54
        .size:           2
        .value_kind:     hidden_remainder_z
      - .offset:         72
        .size:           8
        .value_kind:     hidden_global_offset_x
      - .offset:         80
        .size:           8
        .value_kind:     hidden_global_offset_y
      - .offset:         88
        .size:           8
        .value_kind:     hidden_global_offset_z
      - .offset:         96
        .size:           2
        .value_kind:     hidden_grid_dims
    .group_segment_fixed_size: 8192
    .kernarg_segment_align: 8
    .kernarg_segment_size: 288
    .language:       OpenCL C
    .language_version:
      - 2
      - 0
    .max_flat_workgroup_size: 256
    .name:           _ZN9rocsparseL26bsrgemm_group_reduce_part2ILj256ELj8ELj2EdiiEEvT4_PKT3_PS1_Pi
    .private_segment_fixed_size: 0
    .sgpr_count:     20
    .sgpr_spill_count: 0
    .symbol:         _ZN9rocsparseL26bsrgemm_group_reduce_part2ILj256ELj8ELj2EdiiEEvT4_PKT3_PS1_Pi.kd
    .uniform_work_group_size: 1
    .uses_dynamic_stack: false
    .vgpr_count:     21
    .vgpr_spill_count: 0
    .wavefront_size: 32
    .workgroup_processor_mode: 1
  - .args:
      - .offset:         0
        .size:           4
        .value_kind:     by_value
      - .actual_access:  read_only
        .address_space:  global
        .offset:         8
        .size:           8
        .value_kind:     global_buffer
      - .actual_access:  write_only
        .address_space:  global
        .offset:         16
        .size:           8
        .value_kind:     global_buffer
      - .actual_access:  write_only
        .address_space:  global
        .offset:         24
        .size:           8
        .value_kind:     global_buffer
      - .offset:         32
        .size:           4
        .value_kind:     hidden_block_count_x
      - .offset:         36
        .size:           4
        .value_kind:     hidden_block_count_y
      - .offset:         40
        .size:           4
        .value_kind:     hidden_block_count_z
      - .offset:         44
        .size:           2
        .value_kind:     hidden_group_size_x
      - .offset:         46
        .size:           2
        .value_kind:     hidden_group_size_y
      - .offset:         48
        .size:           2
        .value_kind:     hidden_group_size_z
      - .offset:         50
        .size:           2
        .value_kind:     hidden_remainder_x
      - .offset:         52
        .size:           2
        .value_kind:     hidden_remainder_y
      - .offset:         54
        .size:           2
        .value_kind:     hidden_remainder_z
      - .offset:         72
        .size:           8
        .value_kind:     hidden_global_offset_x
      - .offset:         80
        .size:           8
        .value_kind:     hidden_global_offset_y
      - .offset:         88
        .size:           8
        .value_kind:     hidden_global_offset_z
      - .offset:         96
        .size:           2
        .value_kind:     hidden_grid_dims
    .group_segment_fixed_size: 8192
    .kernarg_segment_align: 8
    .kernarg_segment_size: 288
    .language:       OpenCL C
    .language_version:
      - 2
      - 0
    .max_flat_workgroup_size: 256
    .name:           _ZN9rocsparseL26bsrgemm_group_reduce_part2ILj256ELj8ELj8EdiiEEvT4_PKT3_PS1_Pi
    .private_segment_fixed_size: 0
    .sgpr_count:     20
    .sgpr_spill_count: 0
    .symbol:         _ZN9rocsparseL26bsrgemm_group_reduce_part2ILj256ELj8ELj8EdiiEEvT4_PKT3_PS1_Pi.kd
    .uniform_work_group_size: 1
    .uses_dynamic_stack: false
    .vgpr_count:     21
    .vgpr_spill_count: 0
    .wavefront_size: 32
    .workgroup_processor_mode: 1
  - .args:
      - .offset:         0
        .size:           4
        .value_kind:     by_value
      - .offset:         4
        .size:           4
        .value_kind:     by_value
      - .offset:         8
        .size:           4
        .value_kind:     by_value
      - .actual_access:  read_only
        .address_space:  global
        .offset:         16
        .size:           8
        .value_kind:     global_buffer
      - .actual_access:  read_only
        .address_space:  global
        .offset:         24
        .size:           8
        .value_kind:     global_buffer
      - .offset:         32
        .size:           8
        .value_kind:     by_value
      - .actual_access:  read_only
        .address_space:  global
        .offset:         40
        .size:           8
        .value_kind:     global_buffer
      - .actual_access:  read_only
        .address_space:  global
        .offset:         48
        .size:           8
        .value_kind:     global_buffer
      - .actual_access:  read_only
        .address_space:  global
        .offset:         56
        .size:           8
        .value_kind:     global_buffer
      - .actual_access:  read_only
        .address_space:  global
        .offset:         64
        .size:           8
        .value_kind:     global_buffer
      - .actual_access:  read_only
        .address_space:  global
        .offset:         72
        .size:           8
        .value_kind:     global_buffer
      - .actual_access:  read_only
        .address_space:  global
        .offset:         80
        .size:           8
        .value_kind:     global_buffer
      - .offset:         88
        .size:           8
        .value_kind:     by_value
      - .actual_access:  read_only
        .address_space:  global
        .offset:         96
        .size:           8
        .value_kind:     global_buffer
      - .actual_access:  read_only
        .address_space:  global
        .offset:         104
        .size:           8
        .value_kind:     global_buffer
      - .actual_access:  read_only
        .address_space:  global
        .offset:         112
        .size:           8
        .value_kind:     global_buffer
      - .actual_access:  read_only
        .address_space:  global
        .offset:         120
        .size:           8
        .value_kind:     global_buffer
      - .actual_access:  write_only
        .address_space:  global
        .offset:         128
        .size:           8
        .value_kind:     global_buffer
      - .actual_access:  write_only
        .address_space:  global
        .offset:         136
        .size:           8
        .value_kind:     global_buffer
      - .offset:         144
        .size:           4
        .value_kind:     by_value
      - .offset:         148
        .size:           4
        .value_kind:     by_value
      - .offset:         152
        .size:           4
        .value_kind:     by_value
      - .offset:         156
        .size:           4
        .value_kind:     by_value
      - .offset:         160
        .size:           1
        .value_kind:     by_value
      - .offset:         161
        .size:           1
        .value_kind:     by_value
      - .offset:         162
        .size:           1
        .value_kind:     by_value
    .group_segment_fixed_size: 4608
    .kernarg_segment_align: 8
    .kernarg_segment_size: 164
    .language:       OpenCL C
    .language_version:
      - 2
      - 0
    .max_flat_workgroup_size: 256
    .name:           _ZN9rocsparseL27bsrgemm_fill_wf_per_row_2x2ILj256ELj16ELj8ELj137EiidEEv20rocsparse_direction_T4_S2_PKS2_S4_NS_24const_host_device_scalarIT5_EEPKT3_S4_PKS6_SA_S4_SC_S7_SA_S4_SC_SA_PS2_PS6_21rocsparse_index_base_SF_SF_SF_bbb
    .private_segment_fixed_size: 0
    .sgpr_count:     50
    .sgpr_spill_count: 0
    .symbol:         _ZN9rocsparseL27bsrgemm_fill_wf_per_row_2x2ILj256ELj16ELj8ELj137EiidEEv20rocsparse_direction_T4_S2_PKS2_S4_NS_24const_host_device_scalarIT5_EEPKT3_S4_PKS6_SA_S4_SC_S7_SA_S4_SC_SA_PS2_PS6_21rocsparse_index_base_SF_SF_SF_bbb.kd
    .uniform_work_group_size: 1
    .uses_dynamic_stack: false
    .vgpr_count:     42
    .vgpr_spill_count: 0
    .wavefront_size: 32
    .workgroup_processor_mode: 1
  - .args:
      - .offset:         0
        .size:           4
        .value_kind:     by_value
      - .offset:         4
        .size:           4
        .value_kind:     by_value
      - .offset:         8
        .size:           4
        .value_kind:     by_value
      - .actual_access:  read_only
        .address_space:  global
        .offset:         16
        .size:           8
        .value_kind:     global_buffer
      - .actual_access:  read_only
        .address_space:  global
        .offset:         24
        .size:           8
        .value_kind:     global_buffer
      - .offset:         32
        .size:           8
        .value_kind:     by_value
      - .actual_access:  read_only
        .address_space:  global
        .offset:         40
        .size:           8
        .value_kind:     global_buffer
      - .actual_access:  read_only
        .address_space:  global
        .offset:         48
        .size:           8
        .value_kind:     global_buffer
      - .actual_access:  read_only
        .address_space:  global
        .offset:         56
        .size:           8
        .value_kind:     global_buffer
      - .actual_access:  read_only
        .address_space:  global
        .offset:         64
        .size:           8
        .value_kind:     global_buffer
      - .actual_access:  read_only
        .address_space:  global
        .offset:         72
        .size:           8
        .value_kind:     global_buffer
      - .actual_access:  read_only
        .address_space:  global
        .offset:         80
        .size:           8
        .value_kind:     global_buffer
      - .offset:         88
        .size:           8
        .value_kind:     by_value
      - .actual_access:  read_only
        .address_space:  global
        .offset:         96
        .size:           8
        .value_kind:     global_buffer
      - .actual_access:  read_only
        .address_space:  global
        .offset:         104
        .size:           8
        .value_kind:     global_buffer
      - .actual_access:  read_only
        .address_space:  global
        .offset:         112
        .size:           8
        .value_kind:     global_buffer
      - .actual_access:  read_only
        .address_space:  global
        .offset:         120
        .size:           8
        .value_kind:     global_buffer
      - .actual_access:  write_only
        .address_space:  global
        .offset:         128
        .size:           8
        .value_kind:     global_buffer
      - .actual_access:  write_only
        .address_space:  global
        .offset:         136
        .size:           8
        .value_kind:     global_buffer
      - .offset:         144
        .size:           4
        .value_kind:     by_value
      - .offset:         148
        .size:           4
        .value_kind:     by_value
      - .offset:         152
        .size:           4
        .value_kind:     by_value
      - .offset:         156
        .size:           4
        .value_kind:     by_value
      - .offset:         160
        .size:           1
        .value_kind:     by_value
      - .offset:         161
        .size:           1
        .value_kind:     by_value
      - .offset:         162
        .size:           1
        .value_kind:     by_value
    .group_segment_fixed_size: 9216
    .kernarg_segment_align: 8
    .kernarg_segment_size: 164
    .language:       OpenCL C
    .language_version:
      - 2
      - 0
    .max_flat_workgroup_size: 256
    .name:           _ZN9rocsparseL27bsrgemm_fill_wf_per_row_2x2ILj256ELj16ELj16ELj137EiidEEv20rocsparse_direction_T4_S2_PKS2_S4_NS_24const_host_device_scalarIT5_EEPKT3_S4_PKS6_SA_S4_SC_S7_SA_S4_SC_SA_PS2_PS6_21rocsparse_index_base_SF_SF_SF_bbb
    .private_segment_fixed_size: 0
    .sgpr_count:     46
    .sgpr_spill_count: 0
    .symbol:         _ZN9rocsparseL27bsrgemm_fill_wf_per_row_2x2ILj256ELj16ELj16ELj137EiidEEv20rocsparse_direction_T4_S2_PKS2_S4_NS_24const_host_device_scalarIT5_EEPKT3_S4_PKS6_SA_S4_SC_S7_SA_S4_SC_SA_PS2_PS6_21rocsparse_index_base_SF_SF_SF_bbb.kd
    .uniform_work_group_size: 1
    .uses_dynamic_stack: false
    .vgpr_count:     43
    .vgpr_spill_count: 0
    .wavefront_size: 32
    .workgroup_processor_mode: 1
  - .args:
      - .offset:         0
        .size:           4
        .value_kind:     by_value
      - .offset:         4
        .size:           4
        .value_kind:     by_value
      - .offset:         8
        .size:           4
        .value_kind:     by_value
      - .actual_access:  read_only
        .address_space:  global
        .offset:         16
        .size:           8
        .value_kind:     global_buffer
      - .actual_access:  read_only
        .address_space:  global
        .offset:         24
        .size:           8
        .value_kind:     global_buffer
      - .offset:         32
        .size:           8
        .value_kind:     by_value
      - .actual_access:  read_only
        .address_space:  global
        .offset:         40
        .size:           8
        .value_kind:     global_buffer
      - .actual_access:  read_only
        .address_space:  global
        .offset:         48
        .size:           8
        .value_kind:     global_buffer
      - .actual_access:  read_only
        .address_space:  global
        .offset:         56
        .size:           8
        .value_kind:     global_buffer
      - .actual_access:  read_only
        .address_space:  global
        .offset:         64
        .size:           8
        .value_kind:     global_buffer
      - .actual_access:  read_only
        .address_space:  global
        .offset:         72
        .size:           8
        .value_kind:     global_buffer
      - .actual_access:  read_only
        .address_space:  global
        .offset:         80
        .size:           8
        .value_kind:     global_buffer
      - .offset:         88
        .size:           8
        .value_kind:     by_value
      - .actual_access:  read_only
        .address_space:  global
        .offset:         96
        .size:           8
        .value_kind:     global_buffer
      - .actual_access:  read_only
        .address_space:  global
        .offset:         104
        .size:           8
        .value_kind:     global_buffer
      - .actual_access:  read_only
        .address_space:  global
        .offset:         112
        .size:           8
        .value_kind:     global_buffer
      - .actual_access:  read_only
        .address_space:  global
        .offset:         120
        .size:           8
        .value_kind:     global_buffer
      - .actual_access:  write_only
        .address_space:  global
        .offset:         128
        .size:           8
        .value_kind:     global_buffer
      - .actual_access:  write_only
        .address_space:  global
        .offset:         136
        .size:           8
        .value_kind:     global_buffer
      - .offset:         144
        .size:           4
        .value_kind:     by_value
      - .offset:         148
        .size:           4
        .value_kind:     by_value
      - .offset:         152
        .size:           4
        .value_kind:     by_value
      - .offset:         156
        .size:           4
        .value_kind:     by_value
      - .offset:         160
        .size:           1
        .value_kind:     by_value
      - .offset:         161
        .size:           1
        .value_kind:     by_value
      - .offset:         162
        .size:           1
        .value_kind:     by_value
    .group_segment_fixed_size: 18432
    .kernarg_segment_align: 8
    .kernarg_segment_size: 164
    .language:       OpenCL C
    .language_version:
      - 2
      - 0
    .max_flat_workgroup_size: 256
    .name:           _ZN9rocsparseL27bsrgemm_fill_wf_per_row_2x2ILj256ELj16ELj32ELj137EiidEEv20rocsparse_direction_T4_S2_PKS2_S4_NS_24const_host_device_scalarIT5_EEPKT3_S4_PKS6_SA_S4_SC_S7_SA_S4_SC_SA_PS2_PS6_21rocsparse_index_base_SF_SF_SF_bbb
    .private_segment_fixed_size: 0
    .sgpr_count:     46
    .sgpr_spill_count: 0
    .symbol:         _ZN9rocsparseL27bsrgemm_fill_wf_per_row_2x2ILj256ELj16ELj32ELj137EiidEEv20rocsparse_direction_T4_S2_PKS2_S4_NS_24const_host_device_scalarIT5_EEPKT3_S4_PKS6_SA_S4_SC_S7_SA_S4_SC_SA_PS2_PS6_21rocsparse_index_base_SF_SF_SF_bbb.kd
    .uniform_work_group_size: 1
    .uses_dynamic_stack: false
    .vgpr_count:     45
    .vgpr_spill_count: 0
    .wavefront_size: 32
    .workgroup_processor_mode: 1
  - .args:
      - .offset:         0
        .size:           4
        .value_kind:     by_value
      - .offset:         4
        .size:           4
        .value_kind:     by_value
      - .offset:         8
        .size:           4
        .value_kind:     by_value
      - .actual_access:  read_only
        .address_space:  global
        .offset:         16
        .size:           8
        .value_kind:     global_buffer
      - .actual_access:  read_only
        .address_space:  global
        .offset:         24
        .size:           8
        .value_kind:     global_buffer
      - .offset:         32
        .size:           8
        .value_kind:     by_value
      - .actual_access:  read_only
        .address_space:  global
        .offset:         40
        .size:           8
        .value_kind:     global_buffer
      - .actual_access:  read_only
        .address_space:  global
        .offset:         48
        .size:           8
        .value_kind:     global_buffer
      - .actual_access:  read_only
        .address_space:  global
        .offset:         56
        .size:           8
        .value_kind:     global_buffer
      - .actual_access:  read_only
        .address_space:  global
        .offset:         64
        .size:           8
        .value_kind:     global_buffer
      - .actual_access:  read_only
        .address_space:  global
        .offset:         72
        .size:           8
        .value_kind:     global_buffer
      - .actual_access:  read_only
        .address_space:  global
        .offset:         80
        .size:           8
        .value_kind:     global_buffer
      - .offset:         88
        .size:           8
        .value_kind:     by_value
      - .actual_access:  read_only
        .address_space:  global
        .offset:         96
        .size:           8
        .value_kind:     global_buffer
      - .actual_access:  read_only
        .address_space:  global
        .offset:         104
        .size:           8
        .value_kind:     global_buffer
      - .actual_access:  read_only
        .address_space:  global
        .offset:         112
        .size:           8
        .value_kind:     global_buffer
      - .actual_access:  read_only
        .address_space:  global
        .offset:         120
        .size:           8
        .value_kind:     global_buffer
      - .actual_access:  write_only
        .address_space:  global
        .offset:         128
        .size:           8
        .value_kind:     global_buffer
      - .actual_access:  write_only
        .address_space:  global
        .offset:         136
        .size:           8
        .value_kind:     global_buffer
      - .offset:         144
        .size:           4
        .value_kind:     by_value
      - .offset:         148
        .size:           4
        .value_kind:     by_value
      - .offset:         152
        .size:           4
        .value_kind:     by_value
      - .offset:         156
        .size:           4
        .value_kind:     by_value
      - .offset:         160
        .size:           1
        .value_kind:     by_value
      - .offset:         161
        .size:           1
        .value_kind:     by_value
      - .offset:         162
        .size:           1
        .value_kind:     by_value
    .group_segment_fixed_size: 0
    .kernarg_segment_align: 8
    .kernarg_segment_size: 164
    .language:       OpenCL C
    .language_version:
      - 2
      - 0
    .max_flat_workgroup_size: 256
    .name:           _ZN9rocsparseL30bsrgemm_fill_block_per_row_2x2ILj256ELj16ELj64ELj137EiidEEv20rocsparse_direction_T4_S2_PKS2_S4_NS_24const_host_device_scalarIT5_EEPKT3_S4_PKS6_SA_S4_SC_S7_SA_S4_SC_SA_PS2_PS6_21rocsparse_index_base_SF_SF_SF_bbb
    .private_segment_fixed_size: 0
    .sgpr_count:     38
    .sgpr_spill_count: 0
    .symbol:         _ZN9rocsparseL30bsrgemm_fill_block_per_row_2x2ILj256ELj16ELj64ELj137EiidEEv20rocsparse_direction_T4_S2_PKS2_S4_NS_24const_host_device_scalarIT5_EEPKT3_S4_PKS6_SA_S4_SC_S7_SA_S4_SC_SA_PS2_PS6_21rocsparse_index_base_SF_SF_SF_bbb.kd
    .uniform_work_group_size: 1
    .uses_dynamic_stack: false
    .vgpr_count:     66
    .vgpr_spill_count: 0
    .wavefront_size: 32
    .workgroup_processor_mode: 1
  - .args:
      - .offset:         0
        .size:           4
        .value_kind:     by_value
      - .offset:         4
        .size:           4
        .value_kind:     by_value
      - .offset:         8
        .size:           4
        .value_kind:     by_value
      - .actual_access:  read_only
        .address_space:  global
        .offset:         16
        .size:           8
        .value_kind:     global_buffer
      - .actual_access:  read_only
        .address_space:  global
        .offset:         24
        .size:           8
        .value_kind:     global_buffer
      - .offset:         32
        .size:           8
        .value_kind:     by_value
      - .actual_access:  read_only
        .address_space:  global
        .offset:         40
        .size:           8
        .value_kind:     global_buffer
      - .actual_access:  read_only
        .address_space:  global
        .offset:         48
        .size:           8
        .value_kind:     global_buffer
      - .actual_access:  read_only
        .address_space:  global
        .offset:         56
        .size:           8
        .value_kind:     global_buffer
      - .actual_access:  read_only
        .address_space:  global
        .offset:         64
        .size:           8
        .value_kind:     global_buffer
      - .actual_access:  read_only
        .address_space:  global
        .offset:         72
        .size:           8
        .value_kind:     global_buffer
      - .actual_access:  read_only
        .address_space:  global
        .offset:         80
        .size:           8
        .value_kind:     global_buffer
      - .offset:         88
        .size:           8
        .value_kind:     by_value
      - .actual_access:  read_only
        .address_space:  global
        .offset:         96
        .size:           8
        .value_kind:     global_buffer
      - .actual_access:  read_only
        .address_space:  global
        .offset:         104
        .size:           8
        .value_kind:     global_buffer
      - .actual_access:  read_only
        .address_space:  global
        .offset:         112
        .size:           8
        .value_kind:     global_buffer
      - .actual_access:  read_only
        .address_space:  global
        .offset:         120
        .size:           8
        .value_kind:     global_buffer
      - .actual_access:  write_only
        .address_space:  global
        .offset:         128
        .size:           8
        .value_kind:     global_buffer
      - .actual_access:  write_only
        .address_space:  global
        .offset:         136
        .size:           8
        .value_kind:     global_buffer
      - .offset:         144
        .size:           4
        .value_kind:     by_value
      - .offset:         148
        .size:           4
        .value_kind:     by_value
      - .offset:         152
        .size:           4
        .value_kind:     by_value
      - .offset:         156
        .size:           4
        .value_kind:     by_value
      - .offset:         160
        .size:           1
        .value_kind:     by_value
      - .offset:         161
        .size:           1
        .value_kind:     by_value
      - .offset:         162
        .size:           1
        .value_kind:     by_value
    .group_segment_fixed_size: 0
    .kernarg_segment_align: 8
    .kernarg_segment_size: 164
    .language:       OpenCL C
    .language_version:
      - 2
      - 0
    .max_flat_workgroup_size: 256
    .name:           _ZN9rocsparseL30bsrgemm_fill_block_per_row_2x2ILj256ELj16ELj128ELj137EiidEEv20rocsparse_direction_T4_S2_PKS2_S4_NS_24const_host_device_scalarIT5_EEPKT3_S4_PKS6_SA_S4_SC_S7_SA_S4_SC_SA_PS2_PS6_21rocsparse_index_base_SF_SF_SF_bbb
    .private_segment_fixed_size: 0
    .sgpr_count:     48
    .sgpr_spill_count: 0
    .symbol:         _ZN9rocsparseL30bsrgemm_fill_block_per_row_2x2ILj256ELj16ELj128ELj137EiidEEv20rocsparse_direction_T4_S2_PKS2_S4_NS_24const_host_device_scalarIT5_EEPKT3_S4_PKS6_SA_S4_SC_S7_SA_S4_SC_SA_PS2_PS6_21rocsparse_index_base_SF_SF_SF_bbb.kd
    .uniform_work_group_size: 1
    .uses_dynamic_stack: false
    .vgpr_count:     39
    .vgpr_spill_count: 0
    .wavefront_size: 32
    .workgroup_processor_mode: 1
  - .args:
      - .offset:         0
        .size:           4
        .value_kind:     by_value
      - .offset:         4
        .size:           4
        .value_kind:     by_value
      - .offset:         8
        .size:           4
        .value_kind:     by_value
      - .actual_access:  read_only
        .address_space:  global
        .offset:         16
        .size:           8
        .value_kind:     global_buffer
      - .actual_access:  read_only
        .address_space:  global
        .offset:         24
        .size:           8
        .value_kind:     global_buffer
      - .offset:         32
        .size:           8
        .value_kind:     by_value
      - .actual_access:  read_only
        .address_space:  global
        .offset:         40
        .size:           8
        .value_kind:     global_buffer
      - .actual_access:  read_only
        .address_space:  global
        .offset:         48
        .size:           8
        .value_kind:     global_buffer
      - .actual_access:  read_only
        .address_space:  global
        .offset:         56
        .size:           8
        .value_kind:     global_buffer
      - .actual_access:  read_only
        .address_space:  global
        .offset:         64
        .size:           8
        .value_kind:     global_buffer
      - .actual_access:  read_only
        .address_space:  global
        .offset:         72
        .size:           8
        .value_kind:     global_buffer
      - .actual_access:  read_only
        .address_space:  global
        .offset:         80
        .size:           8
        .value_kind:     global_buffer
      - .offset:         88
        .size:           8
        .value_kind:     by_value
      - .actual_access:  read_only
        .address_space:  global
        .offset:         96
        .size:           8
        .value_kind:     global_buffer
      - .actual_access:  read_only
        .address_space:  global
        .offset:         104
        .size:           8
        .value_kind:     global_buffer
      - .actual_access:  read_only
        .address_space:  global
        .offset:         112
        .size:           8
        .value_kind:     global_buffer
      - .actual_access:  read_only
        .address_space:  global
        .offset:         120
        .size:           8
        .value_kind:     global_buffer
      - .actual_access:  write_only
        .address_space:  global
        .offset:         128
        .size:           8
        .value_kind:     global_buffer
      - .actual_access:  write_only
        .address_space:  global
        .offset:         136
        .size:           8
        .value_kind:     global_buffer
      - .offset:         144
        .size:           4
        .value_kind:     by_value
      - .offset:         148
        .size:           4
        .value_kind:     by_value
      - .offset:         152
        .size:           4
        .value_kind:     by_value
      - .offset:         156
        .size:           4
        .value_kind:     by_value
      - .offset:         160
        .size:           1
        .value_kind:     by_value
      - .offset:         161
        .size:           1
        .value_kind:     by_value
      - .offset:         162
        .size:           1
        .value_kind:     by_value
    .group_segment_fixed_size: 0
    .kernarg_segment_align: 8
    .kernarg_segment_size: 164
    .language:       OpenCL C
    .language_version:
      - 2
      - 0
    .max_flat_workgroup_size: 256
    .name:           _ZN9rocsparseL30bsrgemm_fill_block_per_row_2x2ILj256ELj16ELj256ELj137EiidEEv20rocsparse_direction_T4_S2_PKS2_S4_NS_24const_host_device_scalarIT5_EEPKT3_S4_PKS6_SA_S4_SC_S7_SA_S4_SC_SA_PS2_PS6_21rocsparse_index_base_SF_SF_SF_bbb
    .private_segment_fixed_size: 0
    .sgpr_count:     48
    .sgpr_spill_count: 0
    .symbol:         _ZN9rocsparseL30bsrgemm_fill_block_per_row_2x2ILj256ELj16ELj256ELj137EiidEEv20rocsparse_direction_T4_S2_PKS2_S4_NS_24const_host_device_scalarIT5_EEPKT3_S4_PKS6_SA_S4_SC_S7_SA_S4_SC_SA_PS2_PS6_21rocsparse_index_base_SF_SF_SF_bbb.kd
    .uniform_work_group_size: 1
    .uses_dynamic_stack: false
    .vgpr_count:     36
    .vgpr_spill_count: 0
    .wavefront_size: 32
    .workgroup_processor_mode: 1
  - .args:
      - .offset:         0
        .size:           4
        .value_kind:     by_value
      - .offset:         4
        .size:           4
        .value_kind:     by_value
      - .offset:         8
        .size:           4
        .value_kind:     by_value
      - .actual_access:  read_only
        .address_space:  global
        .offset:         16
        .size:           8
        .value_kind:     global_buffer
      - .actual_access:  read_only
        .address_space:  global
        .offset:         24
        .size:           8
        .value_kind:     global_buffer
      - .offset:         32
        .size:           8
        .value_kind:     by_value
      - .actual_access:  read_only
        .address_space:  global
        .offset:         40
        .size:           8
        .value_kind:     global_buffer
      - .actual_access:  read_only
        .address_space:  global
        .offset:         48
        .size:           8
        .value_kind:     global_buffer
      - .actual_access:  read_only
        .address_space:  global
        .offset:         56
        .size:           8
        .value_kind:     global_buffer
      - .actual_access:  read_only
        .address_space:  global
        .offset:         64
        .size:           8
        .value_kind:     global_buffer
      - .actual_access:  read_only
        .address_space:  global
        .offset:         72
        .size:           8
        .value_kind:     global_buffer
      - .actual_access:  read_only
        .address_space:  global
        .offset:         80
        .size:           8
        .value_kind:     global_buffer
      - .offset:         88
        .size:           8
        .value_kind:     by_value
      - .actual_access:  read_only
        .address_space:  global
        .offset:         96
        .size:           8
        .value_kind:     global_buffer
      - .actual_access:  read_only
        .address_space:  global
        .offset:         104
        .size:           8
        .value_kind:     global_buffer
      - .actual_access:  read_only
        .address_space:  global
        .offset:         112
        .size:           8
        .value_kind:     global_buffer
      - .actual_access:  read_only
        .address_space:  global
        .offset:         120
        .size:           8
        .value_kind:     global_buffer
      - .actual_access:  write_only
        .address_space:  global
        .offset:         128
        .size:           8
        .value_kind:     global_buffer
      - .actual_access:  write_only
        .address_space:  global
        .offset:         136
        .size:           8
        .value_kind:     global_buffer
      - .offset:         144
        .size:           4
        .value_kind:     by_value
      - .offset:         148
        .size:           4
        .value_kind:     by_value
      - .offset:         152
        .size:           4
        .value_kind:     by_value
      - .offset:         156
        .size:           4
        .value_kind:     by_value
      - .offset:         160
        .size:           1
        .value_kind:     by_value
      - .offset:         161
        .size:           1
        .value_kind:     by_value
      - .offset:         162
        .size:           1
        .value_kind:     by_value
    .group_segment_fixed_size: 0
    .kernarg_segment_align: 8
    .kernarg_segment_size: 164
    .language:       OpenCL C
    .language_version:
      - 2
      - 0
    .max_flat_workgroup_size: 256
    .name:           _ZN9rocsparseL30bsrgemm_fill_block_per_row_2x2ILj256ELj16ELj512ELj137EiidEEv20rocsparse_direction_T4_S2_PKS2_S4_NS_24const_host_device_scalarIT5_EEPKT3_S4_PKS6_SA_S4_SC_S7_SA_S4_SC_SA_PS2_PS6_21rocsparse_index_base_SF_SF_SF_bbb
    .private_segment_fixed_size: 0
    .sgpr_count:     48
    .sgpr_spill_count: 0
    .symbol:         _ZN9rocsparseL30bsrgemm_fill_block_per_row_2x2ILj256ELj16ELj512ELj137EiidEEv20rocsparse_direction_T4_S2_PKS2_S4_NS_24const_host_device_scalarIT5_EEPKT3_S4_PKS6_SA_S4_SC_S7_SA_S4_SC_SA_PS2_PS6_21rocsparse_index_base_SF_SF_SF_bbb.kd
    .uniform_work_group_size: 1
    .uses_dynamic_stack: false
    .vgpr_count:     35
    .vgpr_spill_count: 0
    .wavefront_size: 32
    .workgroup_processor_mode: 1
  - .args:
      - .offset:         0
        .size:           4
        .value_kind:     by_value
      - .offset:         4
        .size:           4
        .value_kind:     by_value
      - .offset:         8
        .size:           4
        .value_kind:     by_value
      - .actual_access:  read_only
        .address_space:  global
        .offset:         16
        .size:           8
        .value_kind:     global_buffer
      - .actual_access:  read_only
        .address_space:  global
        .offset:         24
        .size:           8
        .value_kind:     global_buffer
      - .offset:         32
        .size:           8
        .value_kind:     by_value
      - .actual_access:  read_only
        .address_space:  global
        .offset:         40
        .size:           8
        .value_kind:     global_buffer
      - .actual_access:  read_only
        .address_space:  global
        .offset:         48
        .size:           8
        .value_kind:     global_buffer
      - .actual_access:  read_only
        .address_space:  global
        .offset:         56
        .size:           8
        .value_kind:     global_buffer
      - .actual_access:  read_only
        .address_space:  global
        .offset:         64
        .size:           8
        .value_kind:     global_buffer
      - .actual_access:  read_only
        .address_space:  global
        .offset:         72
        .size:           8
        .value_kind:     global_buffer
      - .actual_access:  read_only
        .address_space:  global
        .offset:         80
        .size:           8
        .value_kind:     global_buffer
      - .offset:         88
        .size:           8
        .value_kind:     by_value
      - .actual_access:  read_only
        .address_space:  global
        .offset:         96
        .size:           8
        .value_kind:     global_buffer
      - .actual_access:  read_only
        .address_space:  global
        .offset:         104
        .size:           8
        .value_kind:     global_buffer
      - .actual_access:  read_only
        .address_space:  global
        .offset:         112
        .size:           8
        .value_kind:     global_buffer
      - .actual_access:  read_only
        .address_space:  global
        .offset:         120
        .size:           8
        .value_kind:     global_buffer
      - .actual_access:  write_only
        .address_space:  global
        .offset:         128
        .size:           8
        .value_kind:     global_buffer
      - .actual_access:  write_only
        .address_space:  global
        .offset:         136
        .size:           8
        .value_kind:     global_buffer
      - .address_space:  global
        .offset:         144
        .size:           8
        .value_kind:     global_buffer
      - .offset:         152
        .size:           4
        .value_kind:     by_value
      - .offset:         156
        .size:           4
        .value_kind:     by_value
      - .offset:         160
        .size:           4
        .value_kind:     by_value
      - .offset:         164
        .size:           4
        .value_kind:     by_value
      - .offset:         168
        .size:           1
        .value_kind:     by_value
      - .offset:         169
        .size:           1
        .value_kind:     by_value
      - .offset:         170
        .size:           1
        .value_kind:     by_value
    .group_segment_fixed_size: 11272
    .kernarg_segment_align: 8
    .kernarg_segment_size: 172
    .language:       OpenCL C
    .language_version:
      - 2
      - 0
    .max_flat_workgroup_size: 256
    .name:           _ZN9rocsparseL38bsrgemm_block_per_row_atomic_multipassILj256ELj256ELj2EiidEEv20rocsparse_direction_T3_S2_PKS2_S4_NS_24const_host_device_scalarIT4_EEPKT2_S4_PKS6_SA_S4_SC_S7_SA_S4_SC_SA_PS2_PS6_PS8_21rocsparse_index_base_SG_SG_SG_bbb
    .private_segment_fixed_size: 0
    .sgpr_count:     63
    .sgpr_spill_count: 0
    .symbol:         _ZN9rocsparseL38bsrgemm_block_per_row_atomic_multipassILj256ELj256ELj2EiidEEv20rocsparse_direction_T3_S2_PKS2_S4_NS_24const_host_device_scalarIT4_EEPKT2_S4_PKS6_SA_S4_SC_S7_SA_S4_SC_SA_PS2_PS6_PS8_21rocsparse_index_base_SG_SG_SG_bbb.kd
    .uniform_work_group_size: 1
    .uses_dynamic_stack: false
    .vgpr_count:     51
    .vgpr_spill_count: 0
    .wavefront_size: 32
    .workgroup_processor_mode: 1
  - .args:
      - .offset:         0
        .size:           4
        .value_kind:     by_value
      - .offset:         4
        .size:           4
        .value_kind:     by_value
      - .offset:         8
        .size:           4
        .value_kind:     by_value
      - .offset:         12
        .size:           4
        .value_kind:     by_value
      - .actual_access:  read_only
        .address_space:  global
        .offset:         16
        .size:           8
        .value_kind:     global_buffer
      - .actual_access:  read_only
        .address_space:  global
        .offset:         24
        .size:           8
        .value_kind:     global_buffer
      - .offset:         32
        .size:           8
        .value_kind:     by_value
      - .actual_access:  read_only
        .address_space:  global
        .offset:         40
        .size:           8
        .value_kind:     global_buffer
      - .actual_access:  read_only
        .address_space:  global
        .offset:         48
        .size:           8
        .value_kind:     global_buffer
      - .actual_access:  read_only
        .address_space:  global
        .offset:         56
        .size:           8
        .value_kind:     global_buffer
      - .actual_access:  read_only
        .address_space:  global
        .offset:         64
        .size:           8
        .value_kind:     global_buffer
      - .actual_access:  read_only
        .address_space:  global
        .offset:         72
        .size:           8
        .value_kind:     global_buffer
      - .actual_access:  read_only
        .address_space:  global
        .offset:         80
        .size:           8
        .value_kind:     global_buffer
      - .offset:         88
        .size:           8
        .value_kind:     by_value
      - .actual_access:  read_only
        .address_space:  global
        .offset:         96
        .size:           8
        .value_kind:     global_buffer
      - .actual_access:  read_only
        .address_space:  global
        .offset:         104
        .size:           8
        .value_kind:     global_buffer
      - .actual_access:  read_only
        .address_space:  global
        .offset:         112
        .size:           8
        .value_kind:     global_buffer
      - .actual_access:  read_only
        .address_space:  global
        .offset:         120
        .size:           8
        .value_kind:     global_buffer
      - .actual_access:  write_only
        .address_space:  global
        .offset:         128
        .size:           8
        .value_kind:     global_buffer
      - .actual_access:  write_only
        .address_space:  global
        .offset:         136
        .size:           8
        .value_kind:     global_buffer
      - .offset:         144
        .size:           4
        .value_kind:     by_value
      - .offset:         148
        .size:           4
        .value_kind:     by_value
      - .offset:         152
        .size:           4
        .value_kind:     by_value
      - .offset:         156
        .size:           4
        .value_kind:     by_value
      - .offset:         160
        .size:           1
        .value_kind:     by_value
      - .offset:         161
        .size:           1
        .value_kind:     by_value
      - .offset:         162
        .size:           1
        .value_kind:     by_value
    .group_segment_fixed_size: 4224
    .kernarg_segment_align: 8
    .kernarg_segment_size: 164
    .language:       OpenCL C
    .language_version:
      - 2
      - 0
    .max_flat_workgroup_size: 256
    .name:           _ZN9rocsparseL23bsrgemm_fill_wf_per_rowILj256ELj64ELj8ELj137ELj4EiidEEv20rocsparse_direction_T5_S2_S2_PKS2_S4_NS_24const_host_device_scalarIT6_EEPKT4_S4_PKS6_SA_S4_SC_S7_SA_S4_SC_SA_PS2_PS6_21rocsparse_index_base_SF_SF_SF_bbb
    .private_segment_fixed_size: 0
    .sgpr_count:     50
    .sgpr_spill_count: 0
    .symbol:         _ZN9rocsparseL23bsrgemm_fill_wf_per_rowILj256ELj64ELj8ELj137ELj4EiidEEv20rocsparse_direction_T5_S2_S2_PKS2_S4_NS_24const_host_device_scalarIT6_EEPKT4_S4_PKS6_SA_S4_SC_S7_SA_S4_SC_SA_PS2_PS6_21rocsparse_index_base_SF_SF_SF_bbb.kd
    .uniform_work_group_size: 1
    .uses_dynamic_stack: false
    .vgpr_count:     38
    .vgpr_spill_count: 0
    .wavefront_size: 32
    .workgroup_processor_mode: 1
  - .args:
      - .offset:         0
        .size:           4
        .value_kind:     by_value
      - .offset:         4
        .size:           4
        .value_kind:     by_value
      - .offset:         8
        .size:           4
        .value_kind:     by_value
      - .offset:         12
        .size:           4
        .value_kind:     by_value
      - .actual_access:  read_only
        .address_space:  global
        .offset:         16
        .size:           8
        .value_kind:     global_buffer
      - .actual_access:  read_only
        .address_space:  global
        .offset:         24
        .size:           8
        .value_kind:     global_buffer
      - .offset:         32
        .size:           8
        .value_kind:     by_value
      - .actual_access:  read_only
        .address_space:  global
        .offset:         40
        .size:           8
        .value_kind:     global_buffer
      - .actual_access:  read_only
        .address_space:  global
        .offset:         48
        .size:           8
        .value_kind:     global_buffer
      - .actual_access:  read_only
        .address_space:  global
        .offset:         56
        .size:           8
        .value_kind:     global_buffer
      - .actual_access:  read_only
        .address_space:  global
        .offset:         64
        .size:           8
        .value_kind:     global_buffer
      - .actual_access:  read_only
        .address_space:  global
        .offset:         72
        .size:           8
        .value_kind:     global_buffer
      - .actual_access:  read_only
        .address_space:  global
        .offset:         80
        .size:           8
        .value_kind:     global_buffer
      - .offset:         88
        .size:           8
        .value_kind:     by_value
      - .actual_access:  read_only
        .address_space:  global
        .offset:         96
        .size:           8
        .value_kind:     global_buffer
      - .actual_access:  read_only
        .address_space:  global
        .offset:         104
        .size:           8
        .value_kind:     global_buffer
      - .actual_access:  read_only
        .address_space:  global
        .offset:         112
        .size:           8
        .value_kind:     global_buffer
      - .actual_access:  read_only
        .address_space:  global
        .offset:         120
        .size:           8
        .value_kind:     global_buffer
      - .actual_access:  write_only
        .address_space:  global
        .offset:         128
        .size:           8
        .value_kind:     global_buffer
      - .actual_access:  write_only
        .address_space:  global
        .offset:         136
        .size:           8
        .value_kind:     global_buffer
      - .offset:         144
        .size:           4
        .value_kind:     by_value
      - .offset:         148
        .size:           4
        .value_kind:     by_value
      - .offset:         152
        .size:           4
        .value_kind:     by_value
      - .offset:         156
        .size:           4
        .value_kind:     by_value
      - .offset:         160
        .size:           1
        .value_kind:     by_value
      - .offset:         161
        .size:           1
        .value_kind:     by_value
      - .offset:         162
        .size:           1
        .value_kind:     by_value
    .group_segment_fixed_size: 8448
    .kernarg_segment_align: 8
    .kernarg_segment_size: 164
    .language:       OpenCL C
    .language_version:
      - 2
      - 0
    .max_flat_workgroup_size: 256
    .name:           _ZN9rocsparseL23bsrgemm_fill_wf_per_rowILj256ELj64ELj16ELj137ELj4EiidEEv20rocsparse_direction_T5_S2_S2_PKS2_S4_NS_24const_host_device_scalarIT6_EEPKT4_S4_PKS6_SA_S4_SC_S7_SA_S4_SC_SA_PS2_PS6_21rocsparse_index_base_SF_SF_SF_bbb
    .private_segment_fixed_size: 0
    .sgpr_count:     50
    .sgpr_spill_count: 0
    .symbol:         _ZN9rocsparseL23bsrgemm_fill_wf_per_rowILj256ELj64ELj16ELj137ELj4EiidEEv20rocsparse_direction_T5_S2_S2_PKS2_S4_NS_24const_host_device_scalarIT6_EEPKT4_S4_PKS6_SA_S4_SC_S7_SA_S4_SC_SA_PS2_PS6_21rocsparse_index_base_SF_SF_SF_bbb.kd
    .uniform_work_group_size: 1
    .uses_dynamic_stack: false
    .vgpr_count:     38
    .vgpr_spill_count: 0
    .wavefront_size: 32
    .workgroup_processor_mode: 1
  - .args:
      - .offset:         0
        .size:           4
        .value_kind:     by_value
      - .offset:         4
        .size:           4
        .value_kind:     by_value
      - .offset:         8
        .size:           4
        .value_kind:     by_value
      - .actual_access:  read_only
        .address_space:  global
        .offset:         16
        .size:           8
        .value_kind:     global_buffer
      - .actual_access:  read_only
        .address_space:  global
        .offset:         24
        .size:           8
        .value_kind:     global_buffer
      - .offset:         32
        .size:           8
        .value_kind:     by_value
      - .actual_access:  read_only
        .address_space:  global
        .offset:         40
        .size:           8
        .value_kind:     global_buffer
      - .actual_access:  read_only
        .address_space:  global
        .offset:         48
        .size:           8
        .value_kind:     global_buffer
      - .actual_access:  read_only
        .address_space:  global
        .offset:         56
        .size:           8
        .value_kind:     global_buffer
      - .actual_access:  read_only
        .address_space:  global
        .offset:         64
        .size:           8
        .value_kind:     global_buffer
      - .actual_access:  read_only
        .address_space:  global
        .offset:         72
        .size:           8
        .value_kind:     global_buffer
      - .actual_access:  read_only
        .address_space:  global
        .offset:         80
        .size:           8
        .value_kind:     global_buffer
      - .offset:         88
        .size:           8
        .value_kind:     by_value
      - .actual_access:  read_only
        .address_space:  global
        .offset:         96
        .size:           8
        .value_kind:     global_buffer
      - .actual_access:  read_only
        .address_space:  global
        .offset:         104
        .size:           8
        .value_kind:     global_buffer
      - .actual_access:  read_only
        .address_space:  global
        .offset:         112
        .size:           8
        .value_kind:     global_buffer
      - .actual_access:  read_only
        .address_space:  global
        .offset:         120
        .size:           8
        .value_kind:     global_buffer
      - .actual_access:  write_only
        .address_space:  global
        .offset:         128
        .size:           8
        .value_kind:     global_buffer
      - .actual_access:  write_only
        .address_space:  global
        .offset:         136
        .size:           8
        .value_kind:     global_buffer
      - .address_space:  global
        .offset:         144
        .size:           8
        .value_kind:     global_buffer
      - .offset:         152
        .size:           4
        .value_kind:     by_value
      - .offset:         156
        .size:           4
        .value_kind:     by_value
      - .offset:         160
        .size:           4
        .value_kind:     by_value
      - .offset:         164
        .size:           4
        .value_kind:     by_value
      - .offset:         168
        .size:           1
        .value_kind:     by_value
      - .offset:         169
        .size:           1
        .value_kind:     by_value
      - .offset:         170
        .size:           1
        .value_kind:     by_value
    .group_segment_fixed_size: 6280
    .kernarg_segment_align: 8
    .kernarg_segment_size: 172
    .language:       OpenCL C
    .language_version:
      - 2
      - 0
    .max_flat_workgroup_size: 256
    .name:           _ZN9rocsparseL38bsrgemm_block_per_row_atomic_multipassILj256ELj32ELj4EiidEEv20rocsparse_direction_T3_S2_PKS2_S4_NS_24const_host_device_scalarIT4_EEPKT2_S4_PKS6_SA_S4_SC_S7_SA_S4_SC_SA_PS2_PS6_PS8_21rocsparse_index_base_SG_SG_SG_bbb
    .private_segment_fixed_size: 0
    .sgpr_count:     61
    .sgpr_spill_count: 0
    .symbol:         _ZN9rocsparseL38bsrgemm_block_per_row_atomic_multipassILj256ELj32ELj4EiidEEv20rocsparse_direction_T3_S2_PKS2_S4_NS_24const_host_device_scalarIT4_EEPKT2_S4_PKS6_SA_S4_SC_S7_SA_S4_SC_SA_PS2_PS6_PS8_21rocsparse_index_base_SG_SG_SG_bbb.kd
    .uniform_work_group_size: 1
    .uses_dynamic_stack: false
    .vgpr_count:     48
    .vgpr_spill_count: 0
    .wavefront_size: 32
    .workgroup_processor_mode: 1
  - .args:
      - .offset:         0
        .size:           4
        .value_kind:     by_value
      - .offset:         4
        .size:           4
        .value_kind:     by_value
      - .offset:         8
        .size:           4
        .value_kind:     by_value
      - .actual_access:  read_only
        .address_space:  global
        .offset:         16
        .size:           8
        .value_kind:     global_buffer
      - .actual_access:  read_only
        .address_space:  global
        .offset:         24
        .size:           8
        .value_kind:     global_buffer
      - .offset:         32
        .size:           8
        .value_kind:     by_value
      - .actual_access:  read_only
        .address_space:  global
        .offset:         40
        .size:           8
        .value_kind:     global_buffer
      - .actual_access:  read_only
        .address_space:  global
        .offset:         48
        .size:           8
        .value_kind:     global_buffer
      - .actual_access:  read_only
        .address_space:  global
        .offset:         56
        .size:           8
        .value_kind:     global_buffer
      - .actual_access:  read_only
        .address_space:  global
        .offset:         64
        .size:           8
        .value_kind:     global_buffer
      - .actual_access:  read_only
        .address_space:  global
        .offset:         72
        .size:           8
        .value_kind:     global_buffer
      - .actual_access:  read_only
        .address_space:  global
        .offset:         80
        .size:           8
        .value_kind:     global_buffer
      - .offset:         88
        .size:           8
        .value_kind:     by_value
      - .actual_access:  read_only
        .address_space:  global
        .offset:         96
        .size:           8
        .value_kind:     global_buffer
      - .actual_access:  read_only
        .address_space:  global
        .offset:         104
        .size:           8
        .value_kind:     global_buffer
      - .actual_access:  read_only
        .address_space:  global
        .offset:         112
        .size:           8
        .value_kind:     global_buffer
      - .actual_access:  read_only
        .address_space:  global
        .offset:         120
        .size:           8
        .value_kind:     global_buffer
      - .actual_access:  write_only
        .address_space:  global
        .offset:         128
        .size:           8
        .value_kind:     global_buffer
      - .actual_access:  write_only
        .address_space:  global
        .offset:         136
        .size:           8
        .value_kind:     global_buffer
      - .address_space:  global
        .offset:         144
        .size:           8
        .value_kind:     global_buffer
      - .offset:         152
        .size:           4
        .value_kind:     by_value
      - .offset:         156
        .size:           4
        .value_kind:     by_value
      - .offset:         160
        .size:           4
        .value_kind:     by_value
      - .offset:         164
        .size:           4
        .value_kind:     by_value
      - .offset:         168
        .size:           1
        .value_kind:     by_value
      - .offset:         169
        .size:           1
        .value_kind:     by_value
      - .offset:         170
        .size:           1
        .value_kind:     by_value
    .group_segment_fixed_size: 10504
    .kernarg_segment_align: 8
    .kernarg_segment_size: 172
    .language:       OpenCL C
    .language_version:
      - 2
      - 0
    .max_flat_workgroup_size: 256
    .name:           _ZN9rocsparseL38bsrgemm_block_per_row_atomic_multipassILj256ELj64ELj4EiidEEv20rocsparse_direction_T3_S2_PKS2_S4_NS_24const_host_device_scalarIT4_EEPKT2_S4_PKS6_SA_S4_SC_S7_SA_S4_SC_SA_PS2_PS6_PS8_21rocsparse_index_base_SG_SG_SG_bbb
    .private_segment_fixed_size: 0
    .sgpr_count:     61
    .sgpr_spill_count: 0
    .symbol:         _ZN9rocsparseL38bsrgemm_block_per_row_atomic_multipassILj256ELj64ELj4EiidEEv20rocsparse_direction_T3_S2_PKS2_S4_NS_24const_host_device_scalarIT4_EEPKT2_S4_PKS6_SA_S4_SC_S7_SA_S4_SC_SA_PS2_PS6_PS8_21rocsparse_index_base_SG_SG_SG_bbb.kd
    .uniform_work_group_size: 1
    .uses_dynamic_stack: false
    .vgpr_count:     49
    .vgpr_spill_count: 0
    .wavefront_size: 32
    .workgroup_processor_mode: 1
  - .args:
      - .offset:         0
        .size:           4
        .value_kind:     by_value
      - .offset:         4
        .size:           4
        .value_kind:     by_value
      - .offset:         8
        .size:           4
        .value_kind:     by_value
      - .actual_access:  read_only
        .address_space:  global
        .offset:         16
        .size:           8
        .value_kind:     global_buffer
      - .actual_access:  read_only
        .address_space:  global
        .offset:         24
        .size:           8
        .value_kind:     global_buffer
      - .offset:         32
        .size:           8
        .value_kind:     by_value
      - .actual_access:  read_only
        .address_space:  global
        .offset:         40
        .size:           8
        .value_kind:     global_buffer
      - .actual_access:  read_only
        .address_space:  global
        .offset:         48
        .size:           8
        .value_kind:     global_buffer
      - .actual_access:  read_only
        .address_space:  global
        .offset:         56
        .size:           8
        .value_kind:     global_buffer
      - .actual_access:  read_only
        .address_space:  global
        .offset:         64
        .size:           8
        .value_kind:     global_buffer
      - .actual_access:  read_only
        .address_space:  global
        .offset:         72
        .size:           8
        .value_kind:     global_buffer
      - .actual_access:  read_only
        .address_space:  global
        .offset:         80
        .size:           8
        .value_kind:     global_buffer
      - .offset:         88
        .size:           8
        .value_kind:     by_value
      - .actual_access:  read_only
        .address_space:  global
        .offset:         96
        .size:           8
        .value_kind:     global_buffer
      - .actual_access:  read_only
        .address_space:  global
        .offset:         104
        .size:           8
        .value_kind:     global_buffer
      - .actual_access:  read_only
        .address_space:  global
        .offset:         112
        .size:           8
        .value_kind:     global_buffer
      - .actual_access:  read_only
        .address_space:  global
        .offset:         120
        .size:           8
        .value_kind:     global_buffer
      - .actual_access:  write_only
        .address_space:  global
        .offset:         128
        .size:           8
        .value_kind:     global_buffer
      - .actual_access:  write_only
        .address_space:  global
        .offset:         136
        .size:           8
        .value_kind:     global_buffer
      - .address_space:  global
        .offset:         144
        .size:           8
        .value_kind:     global_buffer
      - .offset:         152
        .size:           4
        .value_kind:     by_value
      - .offset:         156
        .size:           4
        .value_kind:     by_value
      - .offset:         160
        .size:           4
        .value_kind:     by_value
      - .offset:         164
        .size:           4
        .value_kind:     by_value
      - .offset:         168
        .size:           1
        .value_kind:     by_value
      - .offset:         169
        .size:           1
        .value_kind:     by_value
      - .offset:         170
        .size:           1
        .value_kind:     by_value
    .group_segment_fixed_size: 18952
    .kernarg_segment_align: 8
    .kernarg_segment_size: 172
    .language:       OpenCL C
    .language_version:
      - 2
      - 0
    .max_flat_workgroup_size: 256
    .name:           _ZN9rocsparseL38bsrgemm_block_per_row_atomic_multipassILj256ELj128ELj4EiidEEv20rocsparse_direction_T3_S2_PKS2_S4_NS_24const_host_device_scalarIT4_EEPKT2_S4_PKS6_SA_S4_SC_S7_SA_S4_SC_SA_PS2_PS6_PS8_21rocsparse_index_base_SG_SG_SG_bbb
    .private_segment_fixed_size: 0
    .sgpr_count:     65
    .sgpr_spill_count: 0
    .symbol:         _ZN9rocsparseL38bsrgemm_block_per_row_atomic_multipassILj256ELj128ELj4EiidEEv20rocsparse_direction_T3_S2_PKS2_S4_NS_24const_host_device_scalarIT4_EEPKT2_S4_PKS6_SA_S4_SC_S7_SA_S4_SC_SA_PS2_PS6_PS8_21rocsparse_index_base_SG_SG_SG_bbb.kd
    .uniform_work_group_size: 1
    .uses_dynamic_stack: false
    .vgpr_count:     52
    .vgpr_spill_count: 0
    .wavefront_size: 32
    .workgroup_processor_mode: 1
  - .args:
      - .offset:         0
        .size:           4
        .value_kind:     by_value
      - .offset:         4
        .size:           4
        .value_kind:     by_value
      - .offset:         8
        .size:           4
        .value_kind:     by_value
      - .offset:         12
        .size:           4
        .value_kind:     by_value
      - .actual_access:  read_only
        .address_space:  global
        .offset:         16
        .size:           8
        .value_kind:     global_buffer
      - .actual_access:  read_only
        .address_space:  global
        .offset:         24
        .size:           8
        .value_kind:     global_buffer
      - .offset:         32
        .size:           8
        .value_kind:     by_value
      - .actual_access:  read_only
        .address_space:  global
        .offset:         40
        .size:           8
        .value_kind:     global_buffer
      - .actual_access:  read_only
        .address_space:  global
        .offset:         48
        .size:           8
        .value_kind:     global_buffer
      - .actual_access:  read_only
        .address_space:  global
        .offset:         56
        .size:           8
        .value_kind:     global_buffer
      - .actual_access:  read_only
        .address_space:  global
        .offset:         64
        .size:           8
        .value_kind:     global_buffer
      - .actual_access:  read_only
        .address_space:  global
        .offset:         72
        .size:           8
        .value_kind:     global_buffer
      - .actual_access:  read_only
        .address_space:  global
        .offset:         80
        .size:           8
        .value_kind:     global_buffer
      - .offset:         88
        .size:           8
        .value_kind:     by_value
      - .actual_access:  read_only
        .address_space:  global
        .offset:         96
        .size:           8
        .value_kind:     global_buffer
      - .actual_access:  read_only
        .address_space:  global
        .offset:         104
        .size:           8
        .value_kind:     global_buffer
      - .actual_access:  read_only
        .address_space:  global
        .offset:         112
        .size:           8
        .value_kind:     global_buffer
      - .actual_access:  read_only
        .address_space:  global
        .offset:         120
        .size:           8
        .value_kind:     global_buffer
      - .actual_access:  write_only
        .address_space:  global
        .offset:         128
        .size:           8
        .value_kind:     global_buffer
      - .actual_access:  write_only
        .address_space:  global
        .offset:         136
        .size:           8
        .value_kind:     global_buffer
      - .offset:         144
        .size:           4
        .value_kind:     by_value
      - .offset:         148
        .size:           4
        .value_kind:     by_value
      - .offset:         152
        .size:           4
        .value_kind:     by_value
      - .offset:         156
        .size:           4
        .value_kind:     by_value
      - .offset:         160
        .size:           1
        .value_kind:     by_value
      - .offset:         161
        .size:           1
        .value_kind:     by_value
      - .offset:         162
        .size:           1
        .value_kind:     by_value
    .group_segment_fixed_size: 16512
    .kernarg_segment_align: 8
    .kernarg_segment_size: 164
    .language:       OpenCL C
    .language_version:
      - 2
      - 0
    .max_flat_workgroup_size: 256
    .name:           _ZN9rocsparseL23bsrgemm_fill_wf_per_rowILj256ELj64ELj8ELj137ELj8EiidEEv20rocsparse_direction_T5_S2_S2_PKS2_S4_NS_24const_host_device_scalarIT6_EEPKT4_S4_PKS6_SA_S4_SC_S7_SA_S4_SC_SA_PS2_PS6_21rocsparse_index_base_SF_SF_SF_bbb
    .private_segment_fixed_size: 0
    .sgpr_count:     50
    .sgpr_spill_count: 0
    .symbol:         _ZN9rocsparseL23bsrgemm_fill_wf_per_rowILj256ELj64ELj8ELj137ELj8EiidEEv20rocsparse_direction_T5_S2_S2_PKS2_S4_NS_24const_host_device_scalarIT6_EEPKT4_S4_PKS6_SA_S4_SC_S7_SA_S4_SC_SA_PS2_PS6_21rocsparse_index_base_SF_SF_SF_bbb.kd
    .uniform_work_group_size: 1
    .uses_dynamic_stack: false
    .vgpr_count:     36
    .vgpr_spill_count: 0
    .wavefront_size: 32
    .workgroup_processor_mode: 1
  - .args:
      - .offset:         0
        .size:           4
        .value_kind:     by_value
      - .offset:         4
        .size:           4
        .value_kind:     by_value
      - .offset:         8
        .size:           4
        .value_kind:     by_value
      - .actual_access:  read_only
        .address_space:  global
        .offset:         16
        .size:           8
        .value_kind:     global_buffer
      - .actual_access:  read_only
        .address_space:  global
        .offset:         24
        .size:           8
        .value_kind:     global_buffer
      - .offset:         32
        .size:           8
        .value_kind:     by_value
      - .actual_access:  read_only
        .address_space:  global
        .offset:         40
        .size:           8
        .value_kind:     global_buffer
      - .actual_access:  read_only
        .address_space:  global
        .offset:         48
        .size:           8
        .value_kind:     global_buffer
      - .actual_access:  read_only
        .address_space:  global
        .offset:         56
        .size:           8
        .value_kind:     global_buffer
      - .actual_access:  read_only
        .address_space:  global
        .offset:         64
        .size:           8
        .value_kind:     global_buffer
      - .actual_access:  read_only
        .address_space:  global
        .offset:         72
        .size:           8
        .value_kind:     global_buffer
      - .actual_access:  read_only
        .address_space:  global
        .offset:         80
        .size:           8
        .value_kind:     global_buffer
      - .offset:         88
        .size:           8
        .value_kind:     by_value
      - .actual_access:  read_only
        .address_space:  global
        .offset:         96
        .size:           8
        .value_kind:     global_buffer
      - .actual_access:  read_only
        .address_space:  global
        .offset:         104
        .size:           8
        .value_kind:     global_buffer
      - .actual_access:  read_only
        .address_space:  global
        .offset:         112
        .size:           8
        .value_kind:     global_buffer
      - .actual_access:  read_only
        .address_space:  global
        .offset:         120
        .size:           8
        .value_kind:     global_buffer
      - .actual_access:  write_only
        .address_space:  global
        .offset:         128
        .size:           8
        .value_kind:     global_buffer
      - .actual_access:  write_only
        .address_space:  global
        .offset:         136
        .size:           8
        .value_kind:     global_buffer
      - .address_space:  global
        .offset:         144
        .size:           8
        .value_kind:     global_buffer
      - .offset:         152
        .size:           4
        .value_kind:     by_value
      - .offset:         156
        .size:           4
        .value_kind:     by_value
      - .offset:         160
        .size:           4
        .value_kind:     by_value
      - .offset:         164
        .size:           4
        .value_kind:     by_value
      - .offset:         168
        .size:           1
        .value_kind:     by_value
      - .offset:         169
        .size:           1
        .value_kind:     by_value
      - .offset:         170
        .size:           1
        .value_kind:     by_value
    .group_segment_fixed_size: 10312
    .kernarg_segment_align: 8
    .kernarg_segment_size: 172
    .language:       OpenCL C
    .language_version:
      - 2
      - 0
    .max_flat_workgroup_size: 256
    .name:           _ZN9rocsparseL38bsrgemm_block_per_row_atomic_multipassILj256ELj16ELj8EiidEEv20rocsparse_direction_T3_S2_PKS2_S4_NS_24const_host_device_scalarIT4_EEPKT2_S4_PKS6_SA_S4_SC_S7_SA_S4_SC_SA_PS2_PS6_PS8_21rocsparse_index_base_SG_SG_SG_bbb
    .private_segment_fixed_size: 0
    .sgpr_count:     59
    .sgpr_spill_count: 0
    .symbol:         _ZN9rocsparseL38bsrgemm_block_per_row_atomic_multipassILj256ELj16ELj8EiidEEv20rocsparse_direction_T3_S2_PKS2_S4_NS_24const_host_device_scalarIT4_EEPKT2_S4_PKS6_SA_S4_SC_S7_SA_S4_SC_SA_PS2_PS6_PS8_21rocsparse_index_base_SG_SG_SG_bbb.kd
    .uniform_work_group_size: 1
    .uses_dynamic_stack: false
    .vgpr_count:     47
    .vgpr_spill_count: 0
    .wavefront_size: 32
    .workgroup_processor_mode: 1
  - .args:
      - .offset:         0
        .size:           4
        .value_kind:     by_value
      - .offset:         4
        .size:           4
        .value_kind:     by_value
      - .offset:         8
        .size:           4
        .value_kind:     by_value
      - .actual_access:  read_only
        .address_space:  global
        .offset:         16
        .size:           8
        .value_kind:     global_buffer
      - .actual_access:  read_only
        .address_space:  global
        .offset:         24
        .size:           8
        .value_kind:     global_buffer
      - .offset:         32
        .size:           8
        .value_kind:     by_value
      - .actual_access:  read_only
        .address_space:  global
        .offset:         40
        .size:           8
        .value_kind:     global_buffer
      - .actual_access:  read_only
        .address_space:  global
        .offset:         48
        .size:           8
        .value_kind:     global_buffer
      - .actual_access:  read_only
        .address_space:  global
        .offset:         56
        .size:           8
        .value_kind:     global_buffer
      - .actual_access:  read_only
        .address_space:  global
        .offset:         64
        .size:           8
        .value_kind:     global_buffer
      - .actual_access:  read_only
        .address_space:  global
        .offset:         72
        .size:           8
        .value_kind:     global_buffer
      - .actual_access:  read_only
        .address_space:  global
        .offset:         80
        .size:           8
        .value_kind:     global_buffer
      - .offset:         88
        .size:           8
        .value_kind:     by_value
      - .actual_access:  read_only
        .address_space:  global
        .offset:         96
        .size:           8
        .value_kind:     global_buffer
      - .actual_access:  read_only
        .address_space:  global
        .offset:         104
        .size:           8
        .value_kind:     global_buffer
      - .actual_access:  read_only
        .address_space:  global
        .offset:         112
        .size:           8
        .value_kind:     global_buffer
      - .actual_access:  read_only
        .address_space:  global
        .offset:         120
        .size:           8
        .value_kind:     global_buffer
      - .actual_access:  write_only
        .address_space:  global
        .offset:         128
        .size:           8
        .value_kind:     global_buffer
      - .actual_access:  write_only
        .address_space:  global
        .offset:         136
        .size:           8
        .value_kind:     global_buffer
      - .address_space:  global
        .offset:         144
        .size:           8
        .value_kind:     global_buffer
      - .offset:         152
        .size:           4
        .value_kind:     by_value
      - .offset:         156
        .size:           4
        .value_kind:     by_value
      - .offset:         160
        .size:           4
        .value_kind:     by_value
      - .offset:         164
        .size:           4
        .value_kind:     by_value
      - .offset:         168
        .size:           1
        .value_kind:     by_value
      - .offset:         169
        .size:           1
        .value_kind:     by_value
      - .offset:         170
        .size:           1
        .value_kind:     by_value
    .group_segment_fixed_size: 18568
    .kernarg_segment_align: 8
    .kernarg_segment_size: 172
    .language:       OpenCL C
    .language_version:
      - 2
      - 0
    .max_flat_workgroup_size: 256
    .name:           _ZN9rocsparseL38bsrgemm_block_per_row_atomic_multipassILj256ELj32ELj8EiidEEv20rocsparse_direction_T3_S2_PKS2_S4_NS_24const_host_device_scalarIT4_EEPKT2_S4_PKS6_SA_S4_SC_S7_SA_S4_SC_SA_PS2_PS6_PS8_21rocsparse_index_base_SG_SG_SG_bbb
    .private_segment_fixed_size: 0
    .sgpr_count:     63
    .sgpr_spill_count: 0
    .symbol:         _ZN9rocsparseL38bsrgemm_block_per_row_atomic_multipassILj256ELj32ELj8EiidEEv20rocsparse_direction_T3_S2_PKS2_S4_NS_24const_host_device_scalarIT4_EEPKT2_S4_PKS6_SA_S4_SC_S7_SA_S4_SC_SA_PS2_PS6_PS8_21rocsparse_index_base_SG_SG_SG_bbb.kd
    .uniform_work_group_size: 1
    .uses_dynamic_stack: false
    .vgpr_count:     49
    .vgpr_spill_count: 0
    .wavefront_size: 32
    .workgroup_processor_mode: 1
  - .args:
      - .offset:         0
        .size:           4
        .value_kind:     by_value
      - .offset:         4
        .size:           4
        .value_kind:     by_value
      - .offset:         8
        .size:           4
        .value_kind:     by_value
      - .actual_access:  read_only
        .address_space:  global
        .offset:         16
        .size:           8
        .value_kind:     global_buffer
      - .actual_access:  read_only
        .address_space:  global
        .offset:         24
        .size:           8
        .value_kind:     global_buffer
      - .offset:         32
        .size:           8
        .value_kind:     by_value
      - .actual_access:  read_only
        .address_space:  global
        .offset:         40
        .size:           8
        .value_kind:     global_buffer
      - .actual_access:  read_only
        .address_space:  global
        .offset:         48
        .size:           8
        .value_kind:     global_buffer
      - .actual_access:  read_only
        .address_space:  global
        .offset:         56
        .size:           8
        .value_kind:     global_buffer
      - .actual_access:  read_only
        .address_space:  global
        .offset:         64
        .size:           8
        .value_kind:     global_buffer
      - .actual_access:  read_only
        .address_space:  global
        .offset:         72
        .size:           8
        .value_kind:     global_buffer
      - .actual_access:  read_only
        .address_space:  global
        .offset:         80
        .size:           8
        .value_kind:     global_buffer
      - .offset:         88
        .size:           8
        .value_kind:     by_value
      - .actual_access:  read_only
        .address_space:  global
        .offset:         96
        .size:           8
        .value_kind:     global_buffer
      - .actual_access:  read_only
        .address_space:  global
        .offset:         104
        .size:           8
        .value_kind:     global_buffer
      - .actual_access:  read_only
        .address_space:  global
        .offset:         112
        .size:           8
        .value_kind:     global_buffer
      - .actual_access:  read_only
        .address_space:  global
        .offset:         120
        .size:           8
        .value_kind:     global_buffer
      - .actual_access:  write_only
        .address_space:  global
        .offset:         128
        .size:           8
        .value_kind:     global_buffer
      - .actual_access:  write_only
        .address_space:  global
        .offset:         136
        .size:           8
        .value_kind:     global_buffer
      - .address_space:  global
        .offset:         144
        .size:           8
        .value_kind:     global_buffer
      - .offset:         152
        .size:           4
        .value_kind:     by_value
      - .offset:         156
        .size:           4
        .value_kind:     by_value
      - .offset:         160
        .size:           4
        .value_kind:     by_value
      - .offset:         164
        .size:           4
        .value_kind:     by_value
      - .offset:         168
        .size:           1
        .value_kind:     by_value
      - .offset:         169
        .size:           1
        .value_kind:     by_value
      - .offset:         170
        .size:           1
        .value_kind:     by_value
    .group_segment_fixed_size: 16392
    .kernarg_segment_align: 8
    .kernarg_segment_size: 172
    .language:       OpenCL C
    .language_version:
      - 2
      - 0
    .max_flat_workgroup_size: 256
    .name:           _ZN9rocsparseL31bsrgemm_block_per_row_multipassILj256ELj8ELj16EiidEEv20rocsparse_direction_T3_S2_PKS2_S4_NS_24const_host_device_scalarIT4_EEPKT2_S4_PKS6_SA_S4_SC_S7_SA_S4_SC_SA_PS2_PS6_PS8_21rocsparse_index_base_SG_SG_SG_bbb
    .private_segment_fixed_size: 0
    .sgpr_count:     63
    .sgpr_spill_count: 0
    .symbol:         _ZN9rocsparseL31bsrgemm_block_per_row_multipassILj256ELj8ELj16EiidEEv20rocsparse_direction_T3_S2_PKS2_S4_NS_24const_host_device_scalarIT4_EEPKT2_S4_PKS6_SA_S4_SC_S7_SA_S4_SC_SA_PS2_PS6_PS8_21rocsparse_index_base_SG_SG_SG_bbb.kd
    .uniform_work_group_size: 1
    .uses_dynamic_stack: false
    .vgpr_count:     33
    .vgpr_spill_count: 0
    .wavefront_size: 32
    .workgroup_processor_mode: 1
  - .args:
      - .offset:         0
        .size:           4
        .value_kind:     by_value
      - .offset:         4
        .size:           4
        .value_kind:     by_value
      - .offset:         8
        .size:           4
        .value_kind:     by_value
      - .actual_access:  read_only
        .address_space:  global
        .offset:         16
        .size:           8
        .value_kind:     global_buffer
      - .actual_access:  read_only
        .address_space:  global
        .offset:         24
        .size:           8
        .value_kind:     global_buffer
      - .offset:         32
        .size:           8
        .value_kind:     by_value
      - .actual_access:  read_only
        .address_space:  global
        .offset:         40
        .size:           8
        .value_kind:     global_buffer
      - .actual_access:  read_only
        .address_space:  global
        .offset:         48
        .size:           8
        .value_kind:     global_buffer
      - .actual_access:  read_only
        .address_space:  global
        .offset:         56
        .size:           8
        .value_kind:     global_buffer
      - .actual_access:  read_only
        .address_space:  global
        .offset:         64
        .size:           8
        .value_kind:     global_buffer
      - .actual_access:  read_only
        .address_space:  global
        .offset:         72
        .size:           8
        .value_kind:     global_buffer
      - .actual_access:  read_only
        .address_space:  global
        .offset:         80
        .size:           8
        .value_kind:     global_buffer
      - .offset:         88
        .size:           8
        .value_kind:     by_value
      - .actual_access:  read_only
        .address_space:  global
        .offset:         96
        .size:           8
        .value_kind:     global_buffer
      - .actual_access:  read_only
        .address_space:  global
        .offset:         104
        .size:           8
        .value_kind:     global_buffer
      - .actual_access:  read_only
        .address_space:  global
        .offset:         112
        .size:           8
        .value_kind:     global_buffer
      - .actual_access:  read_only
        .address_space:  global
        .offset:         120
        .size:           8
        .value_kind:     global_buffer
      - .actual_access:  write_only
        .address_space:  global
        .offset:         128
        .size:           8
        .value_kind:     global_buffer
      - .actual_access:  write_only
        .address_space:  global
        .offset:         136
        .size:           8
        .value_kind:     global_buffer
      - .address_space:  global
        .offset:         144
        .size:           8
        .value_kind:     global_buffer
      - .offset:         152
        .size:           4
        .value_kind:     by_value
      - .offset:         156
        .size:           4
        .value_kind:     by_value
      - .offset:         160
        .size:           4
        .value_kind:     by_value
      - .offset:         164
        .size:           4
        .value_kind:     by_value
      - .offset:         168
        .size:           1
        .value_kind:     by_value
      - .offset:         169
        .size:           1
        .value_kind:     by_value
      - .offset:         170
        .size:           1
        .value_kind:     by_value
    .group_segment_fixed_size: 16392
    .kernarg_segment_align: 8
    .kernarg_segment_size: 172
    .language:       OpenCL C
    .language_version:
      - 2
      - 0
    .max_flat_workgroup_size: 256
    .name:           _ZN9rocsparseL31bsrgemm_block_per_row_multipassILj256ELj2ELj32EiidEEv20rocsparse_direction_T3_S2_PKS2_S4_NS_24const_host_device_scalarIT4_EEPKT2_S4_PKS6_SA_S4_SC_S7_SA_S4_SC_SA_PS2_PS6_PS8_21rocsparse_index_base_SG_SG_SG_bbb
    .private_segment_fixed_size: 0
    .sgpr_count:     66
    .sgpr_spill_count: 0
    .symbol:         _ZN9rocsparseL31bsrgemm_block_per_row_multipassILj256ELj2ELj32EiidEEv20rocsparse_direction_T3_S2_PKS2_S4_NS_24const_host_device_scalarIT4_EEPKT2_S4_PKS6_SA_S4_SC_S7_SA_S4_SC_SA_PS2_PS6_PS8_21rocsparse_index_base_SG_SG_SG_bbb.kd
    .uniform_work_group_size: 1
    .uses_dynamic_stack: false
    .vgpr_count:     45
    .vgpr_spill_count: 0
    .wavefront_size: 32
    .workgroup_processor_mode: 1
  - .args:
      - .offset:         0
        .size:           4
        .value_kind:     by_value
      - .actual_access:  read_only
        .address_space:  global
        .offset:         8
        .size:           8
        .value_kind:     global_buffer
      - .actual_access:  write_only
        .address_space:  global
        .offset:         16
        .size:           8
        .value_kind:     global_buffer
      - .actual_access:  write_only
        .address_space:  global
        .offset:         24
        .size:           8
        .value_kind:     global_buffer
      - .offset:         32
        .size:           4
        .value_kind:     hidden_block_count_x
      - .offset:         36
        .size:           4
        .value_kind:     hidden_block_count_y
      - .offset:         40
        .size:           4
        .value_kind:     hidden_block_count_z
      - .offset:         44
        .size:           2
        .value_kind:     hidden_group_size_x
      - .offset:         46
        .size:           2
        .value_kind:     hidden_group_size_y
      - .offset:         48
        .size:           2
        .value_kind:     hidden_group_size_z
      - .offset:         50
        .size:           2
        .value_kind:     hidden_remainder_x
      - .offset:         52
        .size:           2
        .value_kind:     hidden_remainder_y
      - .offset:         54
        .size:           2
        .value_kind:     hidden_remainder_z
      - .offset:         72
        .size:           8
        .value_kind:     hidden_global_offset_x
      - .offset:         80
        .size:           8
        .value_kind:     hidden_global_offset_y
      - .offset:         88
        .size:           8
        .value_kind:     hidden_global_offset_z
      - .offset:         96
        .size:           2
        .value_kind:     hidden_grid_dims
    .group_segment_fixed_size: 8192
    .kernarg_segment_align: 8
    .kernarg_segment_size: 288
    .language:       OpenCL C
    .language_version:
      - 2
      - 0
    .max_flat_workgroup_size: 256
    .name:           _ZN9rocsparseL26bsrgemm_group_reduce_part2ILj256ELj8ELj2E21rocsparse_complex_numIfEiiEEvT4_PKT3_PS3_Pi
    .private_segment_fixed_size: 0
    .sgpr_count:     20
    .sgpr_spill_count: 0
    .symbol:         _ZN9rocsparseL26bsrgemm_group_reduce_part2ILj256ELj8ELj2E21rocsparse_complex_numIfEiiEEvT4_PKT3_PS3_Pi.kd
    .uniform_work_group_size: 1
    .uses_dynamic_stack: false
    .vgpr_count:     21
    .vgpr_spill_count: 0
    .wavefront_size: 32
    .workgroup_processor_mode: 1
  - .args:
      - .offset:         0
        .size:           4
        .value_kind:     by_value
      - .actual_access:  read_only
        .address_space:  global
        .offset:         8
        .size:           8
        .value_kind:     global_buffer
      - .actual_access:  write_only
        .address_space:  global
        .offset:         16
        .size:           8
        .value_kind:     global_buffer
      - .actual_access:  write_only
        .address_space:  global
        .offset:         24
        .size:           8
        .value_kind:     global_buffer
      - .offset:         32
        .size:           4
        .value_kind:     hidden_block_count_x
      - .offset:         36
        .size:           4
        .value_kind:     hidden_block_count_y
      - .offset:         40
        .size:           4
        .value_kind:     hidden_block_count_z
      - .offset:         44
        .size:           2
        .value_kind:     hidden_group_size_x
      - .offset:         46
        .size:           2
        .value_kind:     hidden_group_size_y
      - .offset:         48
        .size:           2
        .value_kind:     hidden_group_size_z
      - .offset:         50
        .size:           2
        .value_kind:     hidden_remainder_x
      - .offset:         52
        .size:           2
        .value_kind:     hidden_remainder_y
      - .offset:         54
        .size:           2
        .value_kind:     hidden_remainder_z
      - .offset:         72
        .size:           8
        .value_kind:     hidden_global_offset_x
      - .offset:         80
        .size:           8
        .value_kind:     hidden_global_offset_y
      - .offset:         88
        .size:           8
        .value_kind:     hidden_global_offset_z
      - .offset:         96
        .size:           2
        .value_kind:     hidden_grid_dims
    .group_segment_fixed_size: 8192
    .kernarg_segment_align: 8
    .kernarg_segment_size: 288
    .language:       OpenCL C
    .language_version:
      - 2
      - 0
    .max_flat_workgroup_size: 256
    .name:           _ZN9rocsparseL26bsrgemm_group_reduce_part2ILj256ELj8ELj8E21rocsparse_complex_numIfEiiEEvT4_PKT3_PS3_Pi
    .private_segment_fixed_size: 0
    .sgpr_count:     20
    .sgpr_spill_count: 0
    .symbol:         _ZN9rocsparseL26bsrgemm_group_reduce_part2ILj256ELj8ELj8E21rocsparse_complex_numIfEiiEEvT4_PKT3_PS3_Pi.kd
    .uniform_work_group_size: 1
    .uses_dynamic_stack: false
    .vgpr_count:     21
    .vgpr_spill_count: 0
    .wavefront_size: 32
    .workgroup_processor_mode: 1
  - .args:
      - .offset:         0
        .size:           4
        .value_kind:     by_value
      - .offset:         4
        .size:           4
        .value_kind:     by_value
      - .offset:         8
        .size:           4
        .value_kind:     by_value
      - .actual_access:  read_only
        .address_space:  global
        .offset:         16
        .size:           8
        .value_kind:     global_buffer
      - .actual_access:  read_only
        .address_space:  global
        .offset:         24
        .size:           8
        .value_kind:     global_buffer
      - .offset:         32
        .size:           8
        .value_kind:     by_value
      - .actual_access:  read_only
        .address_space:  global
        .offset:         40
        .size:           8
        .value_kind:     global_buffer
      - .actual_access:  read_only
        .address_space:  global
        .offset:         48
        .size:           8
        .value_kind:     global_buffer
      - .actual_access:  read_only
        .address_space:  global
        .offset:         56
        .size:           8
        .value_kind:     global_buffer
      - .actual_access:  read_only
        .address_space:  global
        .offset:         64
        .size:           8
        .value_kind:     global_buffer
      - .actual_access:  read_only
        .address_space:  global
        .offset:         72
        .size:           8
        .value_kind:     global_buffer
      - .actual_access:  read_only
        .address_space:  global
        .offset:         80
        .size:           8
        .value_kind:     global_buffer
      - .offset:         88
        .size:           8
        .value_kind:     by_value
      - .actual_access:  read_only
        .address_space:  global
        .offset:         96
        .size:           8
        .value_kind:     global_buffer
      - .actual_access:  read_only
        .address_space:  global
        .offset:         104
        .size:           8
        .value_kind:     global_buffer
      - .actual_access:  read_only
        .address_space:  global
        .offset:         112
        .size:           8
        .value_kind:     global_buffer
      - .actual_access:  read_only
        .address_space:  global
        .offset:         120
        .size:           8
        .value_kind:     global_buffer
      - .actual_access:  write_only
        .address_space:  global
        .offset:         128
        .size:           8
        .value_kind:     global_buffer
      - .actual_access:  write_only
        .address_space:  global
        .offset:         136
        .size:           8
        .value_kind:     global_buffer
      - .offset:         144
        .size:           4
        .value_kind:     by_value
      - .offset:         148
        .size:           4
        .value_kind:     by_value
      - .offset:         152
        .size:           4
        .value_kind:     by_value
      - .offset:         156
        .size:           4
        .value_kind:     by_value
      - .offset:         160
        .size:           1
        .value_kind:     by_value
      - .offset:         161
        .size:           1
        .value_kind:     by_value
      - .offset:         162
        .size:           1
        .value_kind:     by_value
    .group_segment_fixed_size: 4608
    .kernarg_segment_align: 8
    .kernarg_segment_size: 164
    .language:       OpenCL C
    .language_version:
      - 2
      - 0
    .max_flat_workgroup_size: 256
    .name:           _ZN9rocsparseL27bsrgemm_fill_wf_per_row_2x2ILj256ELj16ELj8ELj137Eii21rocsparse_complex_numIfEEEv20rocsparse_direction_T4_S4_PKS4_S6_NS_24const_host_device_scalarIT5_EEPKT3_S6_PKS8_SC_S6_SE_S9_SC_S6_SE_SC_PS4_PS8_21rocsparse_index_base_SH_SH_SH_bbb
    .private_segment_fixed_size: 0
    .sgpr_count:     50
    .sgpr_spill_count: 0
    .symbol:         _ZN9rocsparseL27bsrgemm_fill_wf_per_row_2x2ILj256ELj16ELj8ELj137Eii21rocsparse_complex_numIfEEEv20rocsparse_direction_T4_S4_PKS4_S6_NS_24const_host_device_scalarIT5_EEPKT3_S6_PKS8_SC_S6_SE_S9_SC_S6_SE_SC_PS4_PS8_21rocsparse_index_base_SH_SH_SH_bbb.kd
    .uniform_work_group_size: 1
    .uses_dynamic_stack: false
    .vgpr_count:     35
    .vgpr_spill_count: 0
    .wavefront_size: 32
    .workgroup_processor_mode: 1
  - .args:
      - .offset:         0
        .size:           4
        .value_kind:     by_value
      - .offset:         4
        .size:           4
        .value_kind:     by_value
      - .offset:         8
        .size:           4
        .value_kind:     by_value
      - .actual_access:  read_only
        .address_space:  global
        .offset:         16
        .size:           8
        .value_kind:     global_buffer
      - .actual_access:  read_only
        .address_space:  global
        .offset:         24
        .size:           8
        .value_kind:     global_buffer
      - .offset:         32
        .size:           8
        .value_kind:     by_value
      - .actual_access:  read_only
        .address_space:  global
        .offset:         40
        .size:           8
        .value_kind:     global_buffer
      - .actual_access:  read_only
        .address_space:  global
        .offset:         48
        .size:           8
        .value_kind:     global_buffer
      - .actual_access:  read_only
        .address_space:  global
        .offset:         56
        .size:           8
        .value_kind:     global_buffer
      - .actual_access:  read_only
        .address_space:  global
        .offset:         64
        .size:           8
        .value_kind:     global_buffer
      - .actual_access:  read_only
        .address_space:  global
        .offset:         72
        .size:           8
        .value_kind:     global_buffer
      - .actual_access:  read_only
        .address_space:  global
        .offset:         80
        .size:           8
        .value_kind:     global_buffer
      - .offset:         88
        .size:           8
        .value_kind:     by_value
      - .actual_access:  read_only
        .address_space:  global
        .offset:         96
        .size:           8
        .value_kind:     global_buffer
      - .actual_access:  read_only
        .address_space:  global
        .offset:         104
        .size:           8
        .value_kind:     global_buffer
      - .actual_access:  read_only
        .address_space:  global
        .offset:         112
        .size:           8
        .value_kind:     global_buffer
      - .actual_access:  read_only
        .address_space:  global
        .offset:         120
        .size:           8
        .value_kind:     global_buffer
      - .actual_access:  write_only
        .address_space:  global
        .offset:         128
        .size:           8
        .value_kind:     global_buffer
      - .actual_access:  write_only
        .address_space:  global
        .offset:         136
        .size:           8
        .value_kind:     global_buffer
      - .offset:         144
        .size:           4
        .value_kind:     by_value
      - .offset:         148
        .size:           4
        .value_kind:     by_value
      - .offset:         152
        .size:           4
        .value_kind:     by_value
      - .offset:         156
        .size:           4
        .value_kind:     by_value
      - .offset:         160
        .size:           1
        .value_kind:     by_value
      - .offset:         161
        .size:           1
        .value_kind:     by_value
      - .offset:         162
        .size:           1
        .value_kind:     by_value
    .group_segment_fixed_size: 9216
    .kernarg_segment_align: 8
    .kernarg_segment_size: 164
    .language:       OpenCL C
    .language_version:
      - 2
      - 0
    .max_flat_workgroup_size: 256
    .name:           _ZN9rocsparseL27bsrgemm_fill_wf_per_row_2x2ILj256ELj16ELj16ELj137Eii21rocsparse_complex_numIfEEEv20rocsparse_direction_T4_S4_PKS4_S6_NS_24const_host_device_scalarIT5_EEPKT3_S6_PKS8_SC_S6_SE_S9_SC_S6_SE_SC_PS4_PS8_21rocsparse_index_base_SH_SH_SH_bbb
    .private_segment_fixed_size: 0
    .sgpr_count:     48
    .sgpr_spill_count: 0
    .symbol:         _ZN9rocsparseL27bsrgemm_fill_wf_per_row_2x2ILj256ELj16ELj16ELj137Eii21rocsparse_complex_numIfEEEv20rocsparse_direction_T4_S4_PKS4_S6_NS_24const_host_device_scalarIT5_EEPKT3_S6_PKS8_SC_S6_SE_S9_SC_S6_SE_SC_PS4_PS8_21rocsparse_index_base_SH_SH_SH_bbb.kd
    .uniform_work_group_size: 1
    .uses_dynamic_stack: false
    .vgpr_count:     36
    .vgpr_spill_count: 0
    .wavefront_size: 32
    .workgroup_processor_mode: 1
  - .args:
      - .offset:         0
        .size:           4
        .value_kind:     by_value
      - .offset:         4
        .size:           4
        .value_kind:     by_value
      - .offset:         8
        .size:           4
        .value_kind:     by_value
      - .actual_access:  read_only
        .address_space:  global
        .offset:         16
        .size:           8
        .value_kind:     global_buffer
      - .actual_access:  read_only
        .address_space:  global
        .offset:         24
        .size:           8
        .value_kind:     global_buffer
      - .offset:         32
        .size:           8
        .value_kind:     by_value
      - .actual_access:  read_only
        .address_space:  global
        .offset:         40
        .size:           8
        .value_kind:     global_buffer
      - .actual_access:  read_only
        .address_space:  global
        .offset:         48
        .size:           8
        .value_kind:     global_buffer
      - .actual_access:  read_only
        .address_space:  global
        .offset:         56
        .size:           8
        .value_kind:     global_buffer
      - .actual_access:  read_only
        .address_space:  global
        .offset:         64
        .size:           8
        .value_kind:     global_buffer
      - .actual_access:  read_only
        .address_space:  global
        .offset:         72
        .size:           8
        .value_kind:     global_buffer
      - .actual_access:  read_only
        .address_space:  global
        .offset:         80
        .size:           8
        .value_kind:     global_buffer
      - .offset:         88
        .size:           8
        .value_kind:     by_value
      - .actual_access:  read_only
        .address_space:  global
        .offset:         96
        .size:           8
        .value_kind:     global_buffer
      - .actual_access:  read_only
        .address_space:  global
        .offset:         104
        .size:           8
        .value_kind:     global_buffer
      - .actual_access:  read_only
        .address_space:  global
        .offset:         112
        .size:           8
        .value_kind:     global_buffer
      - .actual_access:  read_only
        .address_space:  global
        .offset:         120
        .size:           8
        .value_kind:     global_buffer
      - .actual_access:  write_only
        .address_space:  global
        .offset:         128
        .size:           8
        .value_kind:     global_buffer
      - .actual_access:  write_only
        .address_space:  global
        .offset:         136
        .size:           8
        .value_kind:     global_buffer
      - .offset:         144
        .size:           4
        .value_kind:     by_value
      - .offset:         148
        .size:           4
        .value_kind:     by_value
      - .offset:         152
        .size:           4
        .value_kind:     by_value
      - .offset:         156
        .size:           4
        .value_kind:     by_value
      - .offset:         160
        .size:           1
        .value_kind:     by_value
      - .offset:         161
        .size:           1
        .value_kind:     by_value
      - .offset:         162
        .size:           1
        .value_kind:     by_value
    .group_segment_fixed_size: 18432
    .kernarg_segment_align: 8
    .kernarg_segment_size: 164
    .language:       OpenCL C
    .language_version:
      - 2
      - 0
    .max_flat_workgroup_size: 256
    .name:           _ZN9rocsparseL27bsrgemm_fill_wf_per_row_2x2ILj256ELj16ELj32ELj137Eii21rocsparse_complex_numIfEEEv20rocsparse_direction_T4_S4_PKS4_S6_NS_24const_host_device_scalarIT5_EEPKT3_S6_PKS8_SC_S6_SE_S9_SC_S6_SE_SC_PS4_PS8_21rocsparse_index_base_SH_SH_SH_bbb
    .private_segment_fixed_size: 0
    .sgpr_count:     48
    .sgpr_spill_count: 0
    .symbol:         _ZN9rocsparseL27bsrgemm_fill_wf_per_row_2x2ILj256ELj16ELj32ELj137Eii21rocsparse_complex_numIfEEEv20rocsparse_direction_T4_S4_PKS4_S6_NS_24const_host_device_scalarIT5_EEPKT3_S6_PKS8_SC_S6_SE_S9_SC_S6_SE_SC_PS4_PS8_21rocsparse_index_base_SH_SH_SH_bbb.kd
    .uniform_work_group_size: 1
    .uses_dynamic_stack: false
    .vgpr_count:     43
    .vgpr_spill_count: 0
    .wavefront_size: 32
    .workgroup_processor_mode: 1
  - .args:
      - .offset:         0
        .size:           4
        .value_kind:     by_value
      - .offset:         4
        .size:           4
        .value_kind:     by_value
      - .offset:         8
        .size:           4
        .value_kind:     by_value
      - .actual_access:  read_only
        .address_space:  global
        .offset:         16
        .size:           8
        .value_kind:     global_buffer
      - .actual_access:  read_only
        .address_space:  global
        .offset:         24
        .size:           8
        .value_kind:     global_buffer
      - .offset:         32
        .size:           8
        .value_kind:     by_value
      - .actual_access:  read_only
        .address_space:  global
        .offset:         40
        .size:           8
        .value_kind:     global_buffer
      - .actual_access:  read_only
        .address_space:  global
        .offset:         48
        .size:           8
        .value_kind:     global_buffer
      - .actual_access:  read_only
        .address_space:  global
        .offset:         56
        .size:           8
        .value_kind:     global_buffer
      - .actual_access:  read_only
        .address_space:  global
        .offset:         64
        .size:           8
        .value_kind:     global_buffer
      - .actual_access:  read_only
        .address_space:  global
        .offset:         72
        .size:           8
        .value_kind:     global_buffer
      - .actual_access:  read_only
        .address_space:  global
        .offset:         80
        .size:           8
        .value_kind:     global_buffer
      - .offset:         88
        .size:           8
        .value_kind:     by_value
      - .actual_access:  read_only
        .address_space:  global
        .offset:         96
        .size:           8
        .value_kind:     global_buffer
      - .actual_access:  read_only
        .address_space:  global
        .offset:         104
        .size:           8
        .value_kind:     global_buffer
      - .actual_access:  read_only
        .address_space:  global
        .offset:         112
        .size:           8
        .value_kind:     global_buffer
      - .actual_access:  read_only
        .address_space:  global
        .offset:         120
        .size:           8
        .value_kind:     global_buffer
      - .actual_access:  write_only
        .address_space:  global
        .offset:         128
        .size:           8
        .value_kind:     global_buffer
      - .actual_access:  write_only
        .address_space:  global
        .offset:         136
        .size:           8
        .value_kind:     global_buffer
      - .offset:         144
        .size:           4
        .value_kind:     by_value
      - .offset:         148
        .size:           4
        .value_kind:     by_value
      - .offset:         152
        .size:           4
        .value_kind:     by_value
      - .offset:         156
        .size:           4
        .value_kind:     by_value
      - .offset:         160
        .size:           1
        .value_kind:     by_value
      - .offset:         161
        .size:           1
        .value_kind:     by_value
      - .offset:         162
        .size:           1
        .value_kind:     by_value
    .group_segment_fixed_size: 0
    .kernarg_segment_align: 8
    .kernarg_segment_size: 164
    .language:       OpenCL C
    .language_version:
      - 2
      - 0
    .max_flat_workgroup_size: 256
    .name:           _ZN9rocsparseL30bsrgemm_fill_block_per_row_2x2ILj256ELj16ELj64ELj137Eii21rocsparse_complex_numIfEEEv20rocsparse_direction_T4_S4_PKS4_S6_NS_24const_host_device_scalarIT5_EEPKT3_S6_PKS8_SC_S6_SE_S9_SC_S6_SE_SC_PS4_PS8_21rocsparse_index_base_SH_SH_SH_bbb
    .private_segment_fixed_size: 0
    .sgpr_count:     52
    .sgpr_spill_count: 0
    .symbol:         _ZN9rocsparseL30bsrgemm_fill_block_per_row_2x2ILj256ELj16ELj64ELj137Eii21rocsparse_complex_numIfEEEv20rocsparse_direction_T4_S4_PKS4_S6_NS_24const_host_device_scalarIT5_EEPKT3_S6_PKS8_SC_S6_SE_S9_SC_S6_SE_SC_PS4_PS8_21rocsparse_index_base_SH_SH_SH_bbb.kd
    .uniform_work_group_size: 1
    .uses_dynamic_stack: false
    .vgpr_count:     39
    .vgpr_spill_count: 0
    .wavefront_size: 32
    .workgroup_processor_mode: 1
  - .args:
      - .offset:         0
        .size:           4
        .value_kind:     by_value
      - .offset:         4
        .size:           4
        .value_kind:     by_value
      - .offset:         8
        .size:           4
        .value_kind:     by_value
      - .actual_access:  read_only
        .address_space:  global
        .offset:         16
        .size:           8
        .value_kind:     global_buffer
      - .actual_access:  read_only
        .address_space:  global
        .offset:         24
        .size:           8
        .value_kind:     global_buffer
      - .offset:         32
        .size:           8
        .value_kind:     by_value
      - .actual_access:  read_only
        .address_space:  global
        .offset:         40
        .size:           8
        .value_kind:     global_buffer
      - .actual_access:  read_only
        .address_space:  global
        .offset:         48
        .size:           8
        .value_kind:     global_buffer
      - .actual_access:  read_only
        .address_space:  global
        .offset:         56
        .size:           8
        .value_kind:     global_buffer
      - .actual_access:  read_only
        .address_space:  global
        .offset:         64
        .size:           8
        .value_kind:     global_buffer
      - .actual_access:  read_only
        .address_space:  global
        .offset:         72
        .size:           8
        .value_kind:     global_buffer
      - .actual_access:  read_only
        .address_space:  global
        .offset:         80
        .size:           8
        .value_kind:     global_buffer
      - .offset:         88
        .size:           8
        .value_kind:     by_value
      - .actual_access:  read_only
        .address_space:  global
        .offset:         96
        .size:           8
        .value_kind:     global_buffer
      - .actual_access:  read_only
        .address_space:  global
        .offset:         104
        .size:           8
        .value_kind:     global_buffer
      - .actual_access:  read_only
        .address_space:  global
        .offset:         112
        .size:           8
        .value_kind:     global_buffer
      - .actual_access:  read_only
        .address_space:  global
        .offset:         120
        .size:           8
        .value_kind:     global_buffer
      - .actual_access:  write_only
        .address_space:  global
        .offset:         128
        .size:           8
        .value_kind:     global_buffer
      - .actual_access:  write_only
        .address_space:  global
        .offset:         136
        .size:           8
        .value_kind:     global_buffer
      - .offset:         144
        .size:           4
        .value_kind:     by_value
      - .offset:         148
        .size:           4
        .value_kind:     by_value
      - .offset:         152
        .size:           4
        .value_kind:     by_value
      - .offset:         156
        .size:           4
        .value_kind:     by_value
      - .offset:         160
        .size:           1
        .value_kind:     by_value
      - .offset:         161
        .size:           1
        .value_kind:     by_value
      - .offset:         162
        .size:           1
        .value_kind:     by_value
    .group_segment_fixed_size: 0
    .kernarg_segment_align: 8
    .kernarg_segment_size: 164
    .language:       OpenCL C
    .language_version:
      - 2
      - 0
    .max_flat_workgroup_size: 256
    .name:           _ZN9rocsparseL30bsrgemm_fill_block_per_row_2x2ILj256ELj16ELj128ELj137Eii21rocsparse_complex_numIfEEEv20rocsparse_direction_T4_S4_PKS4_S6_NS_24const_host_device_scalarIT5_EEPKT3_S6_PKS8_SC_S6_SE_S9_SC_S6_SE_SC_PS4_PS8_21rocsparse_index_base_SH_SH_SH_bbb
    .private_segment_fixed_size: 0
    .sgpr_count:     52
    .sgpr_spill_count: 0
    .symbol:         _ZN9rocsparseL30bsrgemm_fill_block_per_row_2x2ILj256ELj16ELj128ELj137Eii21rocsparse_complex_numIfEEEv20rocsparse_direction_T4_S4_PKS4_S6_NS_24const_host_device_scalarIT5_EEPKT3_S6_PKS8_SC_S6_SE_S9_SC_S6_SE_SC_PS4_PS8_21rocsparse_index_base_SH_SH_SH_bbb.kd
    .uniform_work_group_size: 1
    .uses_dynamic_stack: false
    .vgpr_count:     39
    .vgpr_spill_count: 0
    .wavefront_size: 32
    .workgroup_processor_mode: 1
  - .args:
      - .offset:         0
        .size:           4
        .value_kind:     by_value
      - .offset:         4
        .size:           4
        .value_kind:     by_value
      - .offset:         8
        .size:           4
        .value_kind:     by_value
      - .actual_access:  read_only
        .address_space:  global
        .offset:         16
        .size:           8
        .value_kind:     global_buffer
      - .actual_access:  read_only
        .address_space:  global
        .offset:         24
        .size:           8
        .value_kind:     global_buffer
      - .offset:         32
        .size:           8
        .value_kind:     by_value
      - .actual_access:  read_only
        .address_space:  global
        .offset:         40
        .size:           8
        .value_kind:     global_buffer
      - .actual_access:  read_only
        .address_space:  global
        .offset:         48
        .size:           8
        .value_kind:     global_buffer
      - .actual_access:  read_only
        .address_space:  global
        .offset:         56
        .size:           8
        .value_kind:     global_buffer
      - .actual_access:  read_only
        .address_space:  global
        .offset:         64
        .size:           8
        .value_kind:     global_buffer
      - .actual_access:  read_only
        .address_space:  global
        .offset:         72
        .size:           8
        .value_kind:     global_buffer
      - .actual_access:  read_only
        .address_space:  global
        .offset:         80
        .size:           8
        .value_kind:     global_buffer
      - .offset:         88
        .size:           8
        .value_kind:     by_value
      - .actual_access:  read_only
        .address_space:  global
        .offset:         96
        .size:           8
        .value_kind:     global_buffer
      - .actual_access:  read_only
        .address_space:  global
        .offset:         104
        .size:           8
        .value_kind:     global_buffer
      - .actual_access:  read_only
        .address_space:  global
        .offset:         112
        .size:           8
        .value_kind:     global_buffer
      - .actual_access:  read_only
        .address_space:  global
        .offset:         120
        .size:           8
        .value_kind:     global_buffer
      - .actual_access:  write_only
        .address_space:  global
        .offset:         128
        .size:           8
        .value_kind:     global_buffer
      - .actual_access:  write_only
        .address_space:  global
        .offset:         136
        .size:           8
        .value_kind:     global_buffer
      - .offset:         144
        .size:           4
        .value_kind:     by_value
      - .offset:         148
        .size:           4
        .value_kind:     by_value
      - .offset:         152
        .size:           4
        .value_kind:     by_value
      - .offset:         156
        .size:           4
        .value_kind:     by_value
      - .offset:         160
        .size:           1
        .value_kind:     by_value
      - .offset:         161
        .size:           1
        .value_kind:     by_value
      - .offset:         162
        .size:           1
        .value_kind:     by_value
    .group_segment_fixed_size: 0
    .kernarg_segment_align: 8
    .kernarg_segment_size: 164
    .language:       OpenCL C
    .language_version:
      - 2
      - 0
    .max_flat_workgroup_size: 256
    .name:           _ZN9rocsparseL30bsrgemm_fill_block_per_row_2x2ILj256ELj16ELj256ELj137Eii21rocsparse_complex_numIfEEEv20rocsparse_direction_T4_S4_PKS4_S6_NS_24const_host_device_scalarIT5_EEPKT3_S6_PKS8_SC_S6_SE_S9_SC_S6_SE_SC_PS4_PS8_21rocsparse_index_base_SH_SH_SH_bbb
    .private_segment_fixed_size: 0
    .sgpr_count:     52
    .sgpr_spill_count: 0
    .symbol:         _ZN9rocsparseL30bsrgemm_fill_block_per_row_2x2ILj256ELj16ELj256ELj137Eii21rocsparse_complex_numIfEEEv20rocsparse_direction_T4_S4_PKS4_S6_NS_24const_host_device_scalarIT5_EEPKT3_S6_PKS8_SC_S6_SE_S9_SC_S6_SE_SC_PS4_PS8_21rocsparse_index_base_SH_SH_SH_bbb.kd
    .uniform_work_group_size: 1
    .uses_dynamic_stack: false
    .vgpr_count:     30
    .vgpr_spill_count: 0
    .wavefront_size: 32
    .workgroup_processor_mode: 1
  - .args:
      - .offset:         0
        .size:           4
        .value_kind:     by_value
      - .offset:         4
        .size:           4
        .value_kind:     by_value
      - .offset:         8
        .size:           4
        .value_kind:     by_value
      - .actual_access:  read_only
        .address_space:  global
        .offset:         16
        .size:           8
        .value_kind:     global_buffer
      - .actual_access:  read_only
        .address_space:  global
        .offset:         24
        .size:           8
        .value_kind:     global_buffer
      - .offset:         32
        .size:           8
        .value_kind:     by_value
      - .actual_access:  read_only
        .address_space:  global
        .offset:         40
        .size:           8
        .value_kind:     global_buffer
      - .actual_access:  read_only
        .address_space:  global
        .offset:         48
        .size:           8
        .value_kind:     global_buffer
      - .actual_access:  read_only
        .address_space:  global
        .offset:         56
        .size:           8
        .value_kind:     global_buffer
      - .actual_access:  read_only
        .address_space:  global
        .offset:         64
        .size:           8
        .value_kind:     global_buffer
      - .actual_access:  read_only
        .address_space:  global
        .offset:         72
        .size:           8
        .value_kind:     global_buffer
      - .actual_access:  read_only
        .address_space:  global
        .offset:         80
        .size:           8
        .value_kind:     global_buffer
      - .offset:         88
        .size:           8
        .value_kind:     by_value
      - .actual_access:  read_only
        .address_space:  global
        .offset:         96
        .size:           8
        .value_kind:     global_buffer
      - .actual_access:  read_only
        .address_space:  global
        .offset:         104
        .size:           8
        .value_kind:     global_buffer
      - .actual_access:  read_only
        .address_space:  global
        .offset:         112
        .size:           8
        .value_kind:     global_buffer
      - .actual_access:  read_only
        .address_space:  global
        .offset:         120
        .size:           8
        .value_kind:     global_buffer
      - .actual_access:  write_only
        .address_space:  global
        .offset:         128
        .size:           8
        .value_kind:     global_buffer
      - .actual_access:  write_only
        .address_space:  global
        .offset:         136
        .size:           8
        .value_kind:     global_buffer
      - .offset:         144
        .size:           4
        .value_kind:     by_value
      - .offset:         148
        .size:           4
        .value_kind:     by_value
      - .offset:         152
        .size:           4
        .value_kind:     by_value
      - .offset:         156
        .size:           4
        .value_kind:     by_value
      - .offset:         160
        .size:           1
        .value_kind:     by_value
      - .offset:         161
        .size:           1
        .value_kind:     by_value
      - .offset:         162
        .size:           1
        .value_kind:     by_value
    .group_segment_fixed_size: 0
    .kernarg_segment_align: 8
    .kernarg_segment_size: 164
    .language:       OpenCL C
    .language_version:
      - 2
      - 0
    .max_flat_workgroup_size: 256
    .name:           _ZN9rocsparseL30bsrgemm_fill_block_per_row_2x2ILj256ELj16ELj512ELj137Eii21rocsparse_complex_numIfEEEv20rocsparse_direction_T4_S4_PKS4_S6_NS_24const_host_device_scalarIT5_EEPKT3_S6_PKS8_SC_S6_SE_S9_SC_S6_SE_SC_PS4_PS8_21rocsparse_index_base_SH_SH_SH_bbb
    .private_segment_fixed_size: 0
    .sgpr_count:     52
    .sgpr_spill_count: 0
    .symbol:         _ZN9rocsparseL30bsrgemm_fill_block_per_row_2x2ILj256ELj16ELj512ELj137Eii21rocsparse_complex_numIfEEEv20rocsparse_direction_T4_S4_PKS4_S6_NS_24const_host_device_scalarIT5_EEPKT3_S6_PKS8_SC_S6_SE_S9_SC_S6_SE_SC_PS4_PS8_21rocsparse_index_base_SH_SH_SH_bbb.kd
    .uniform_work_group_size: 1
    .uses_dynamic_stack: false
    .vgpr_count:     29
    .vgpr_spill_count: 0
    .wavefront_size: 32
    .workgroup_processor_mode: 1
  - .args:
      - .offset:         0
        .size:           4
        .value_kind:     by_value
      - .offset:         4
        .size:           4
        .value_kind:     by_value
      - .offset:         8
        .size:           4
        .value_kind:     by_value
      - .actual_access:  read_only
        .address_space:  global
        .offset:         16
        .size:           8
        .value_kind:     global_buffer
      - .actual_access:  read_only
        .address_space:  global
        .offset:         24
        .size:           8
        .value_kind:     global_buffer
      - .offset:         32
        .size:           8
        .value_kind:     by_value
      - .actual_access:  read_only
        .address_space:  global
        .offset:         40
        .size:           8
        .value_kind:     global_buffer
      - .actual_access:  read_only
        .address_space:  global
        .offset:         48
        .size:           8
        .value_kind:     global_buffer
      - .actual_access:  read_only
        .address_space:  global
        .offset:         56
        .size:           8
        .value_kind:     global_buffer
      - .actual_access:  read_only
        .address_space:  global
        .offset:         64
        .size:           8
        .value_kind:     global_buffer
      - .actual_access:  read_only
        .address_space:  global
        .offset:         72
        .size:           8
        .value_kind:     global_buffer
      - .actual_access:  read_only
        .address_space:  global
        .offset:         80
        .size:           8
        .value_kind:     global_buffer
      - .offset:         88
        .size:           8
        .value_kind:     by_value
      - .actual_access:  read_only
        .address_space:  global
        .offset:         96
        .size:           8
        .value_kind:     global_buffer
      - .actual_access:  read_only
        .address_space:  global
        .offset:         104
        .size:           8
        .value_kind:     global_buffer
      - .actual_access:  read_only
        .address_space:  global
        .offset:         112
        .size:           8
        .value_kind:     global_buffer
      - .actual_access:  read_only
        .address_space:  global
        .offset:         120
        .size:           8
        .value_kind:     global_buffer
      - .actual_access:  write_only
        .address_space:  global
        .offset:         128
        .size:           8
        .value_kind:     global_buffer
      - .actual_access:  write_only
        .address_space:  global
        .offset:         136
        .size:           8
        .value_kind:     global_buffer
      - .address_space:  global
        .offset:         144
        .size:           8
        .value_kind:     global_buffer
      - .offset:         152
        .size:           4
        .value_kind:     by_value
      - .offset:         156
        .size:           4
        .value_kind:     by_value
      - .offset:         160
        .size:           4
        .value_kind:     by_value
      - .offset:         164
        .size:           4
        .value_kind:     by_value
      - .offset:         168
        .size:           1
        .value_kind:     by_value
      - .offset:         169
        .size:           1
        .value_kind:     by_value
      - .offset:         170
        .size:           1
        .value_kind:     by_value
    .group_segment_fixed_size: 11268
    .kernarg_segment_align: 8
    .kernarg_segment_size: 172
    .language:       OpenCL C
    .language_version:
      - 2
      - 0
    .max_flat_workgroup_size: 256
    .name:           _ZN9rocsparseL38bsrgemm_block_per_row_atomic_multipassILj256ELj256ELj2Eii21rocsparse_complex_numIfEEEv20rocsparse_direction_T3_S4_PKS4_S6_NS_24const_host_device_scalarIT4_EEPKT2_S6_PKS8_SC_S6_SE_S9_SC_S6_SE_SC_PS4_PS8_PSA_21rocsparse_index_base_SI_SI_SI_bbb
    .private_segment_fixed_size: 0
    .sgpr_count:     70
    .sgpr_spill_count: 0
    .symbol:         _ZN9rocsparseL38bsrgemm_block_per_row_atomic_multipassILj256ELj256ELj2Eii21rocsparse_complex_numIfEEEv20rocsparse_direction_T3_S4_PKS4_S6_NS_24const_host_device_scalarIT4_EEPKT2_S6_PKS8_SC_S6_SE_S9_SC_S6_SE_SC_PS4_PS8_PSA_21rocsparse_index_base_SI_SI_SI_bbb.kd
    .uniform_work_group_size: 1
    .uses_dynamic_stack: false
    .vgpr_count:     46
    .vgpr_spill_count: 0
    .wavefront_size: 32
    .workgroup_processor_mode: 1
  - .args:
      - .offset:         0
        .size:           4
        .value_kind:     by_value
      - .offset:         4
        .size:           4
        .value_kind:     by_value
      - .offset:         8
        .size:           4
        .value_kind:     by_value
      - .offset:         12
        .size:           4
        .value_kind:     by_value
      - .actual_access:  read_only
        .address_space:  global
        .offset:         16
        .size:           8
        .value_kind:     global_buffer
      - .actual_access:  read_only
        .address_space:  global
        .offset:         24
        .size:           8
        .value_kind:     global_buffer
      - .offset:         32
        .size:           8
        .value_kind:     by_value
      - .actual_access:  read_only
        .address_space:  global
        .offset:         40
        .size:           8
        .value_kind:     global_buffer
      - .actual_access:  read_only
        .address_space:  global
        .offset:         48
        .size:           8
        .value_kind:     global_buffer
      - .actual_access:  read_only
        .address_space:  global
        .offset:         56
        .size:           8
        .value_kind:     global_buffer
      - .actual_access:  read_only
        .address_space:  global
        .offset:         64
        .size:           8
        .value_kind:     global_buffer
      - .actual_access:  read_only
        .address_space:  global
        .offset:         72
        .size:           8
        .value_kind:     global_buffer
      - .actual_access:  read_only
        .address_space:  global
        .offset:         80
        .size:           8
        .value_kind:     global_buffer
      - .offset:         88
        .size:           8
        .value_kind:     by_value
      - .actual_access:  read_only
        .address_space:  global
        .offset:         96
        .size:           8
        .value_kind:     global_buffer
      - .actual_access:  read_only
        .address_space:  global
        .offset:         104
        .size:           8
        .value_kind:     global_buffer
      - .actual_access:  read_only
        .address_space:  global
        .offset:         112
        .size:           8
        .value_kind:     global_buffer
      - .actual_access:  read_only
        .address_space:  global
        .offset:         120
        .size:           8
        .value_kind:     global_buffer
      - .actual_access:  write_only
        .address_space:  global
        .offset:         128
        .size:           8
        .value_kind:     global_buffer
      - .actual_access:  write_only
        .address_space:  global
        .offset:         136
        .size:           8
        .value_kind:     global_buffer
      - .offset:         144
        .size:           4
        .value_kind:     by_value
      - .offset:         148
        .size:           4
        .value_kind:     by_value
      - .offset:         152
        .size:           4
        .value_kind:     by_value
      - .offset:         156
        .size:           4
        .value_kind:     by_value
      - .offset:         160
        .size:           1
        .value_kind:     by_value
      - .offset:         161
        .size:           1
        .value_kind:     by_value
      - .offset:         162
        .size:           1
        .value_kind:     by_value
    .group_segment_fixed_size: 4224
    .kernarg_segment_align: 8
    .kernarg_segment_size: 164
    .language:       OpenCL C
    .language_version:
      - 2
      - 0
    .max_flat_workgroup_size: 256
    .name:           _ZN9rocsparseL23bsrgemm_fill_wf_per_rowILj256ELj64ELj8ELj137ELj4Eii21rocsparse_complex_numIfEEEv20rocsparse_direction_T5_S4_S4_PKS4_S6_NS_24const_host_device_scalarIT6_EEPKT4_S6_PKS8_SC_S6_SE_S9_SC_S6_SE_SC_PS4_PS8_21rocsparse_index_base_SH_SH_SH_bbb
    .private_segment_fixed_size: 0
    .sgpr_count:     57
    .sgpr_spill_count: 0
    .symbol:         _ZN9rocsparseL23bsrgemm_fill_wf_per_rowILj256ELj64ELj8ELj137ELj4Eii21rocsparse_complex_numIfEEEv20rocsparse_direction_T5_S4_S4_PKS4_S6_NS_24const_host_device_scalarIT6_EEPKT4_S6_PKS8_SC_S6_SE_S9_SC_S6_SE_SC_PS4_PS8_21rocsparse_index_base_SH_SH_SH_bbb.kd
    .uniform_work_group_size: 1
    .uses_dynamic_stack: false
    .vgpr_count:     32
    .vgpr_spill_count: 0
    .wavefront_size: 32
    .workgroup_processor_mode: 1
  - .args:
      - .offset:         0
        .size:           4
        .value_kind:     by_value
      - .offset:         4
        .size:           4
        .value_kind:     by_value
      - .offset:         8
        .size:           4
        .value_kind:     by_value
      - .offset:         12
        .size:           4
        .value_kind:     by_value
      - .actual_access:  read_only
        .address_space:  global
        .offset:         16
        .size:           8
        .value_kind:     global_buffer
      - .actual_access:  read_only
        .address_space:  global
        .offset:         24
        .size:           8
        .value_kind:     global_buffer
      - .offset:         32
        .size:           8
        .value_kind:     by_value
      - .actual_access:  read_only
        .address_space:  global
        .offset:         40
        .size:           8
        .value_kind:     global_buffer
      - .actual_access:  read_only
        .address_space:  global
        .offset:         48
        .size:           8
        .value_kind:     global_buffer
      - .actual_access:  read_only
        .address_space:  global
        .offset:         56
        .size:           8
        .value_kind:     global_buffer
      - .actual_access:  read_only
        .address_space:  global
        .offset:         64
        .size:           8
        .value_kind:     global_buffer
      - .actual_access:  read_only
        .address_space:  global
        .offset:         72
        .size:           8
        .value_kind:     global_buffer
      - .actual_access:  read_only
        .address_space:  global
        .offset:         80
        .size:           8
        .value_kind:     global_buffer
      - .offset:         88
        .size:           8
        .value_kind:     by_value
      - .actual_access:  read_only
        .address_space:  global
        .offset:         96
        .size:           8
        .value_kind:     global_buffer
      - .actual_access:  read_only
        .address_space:  global
        .offset:         104
        .size:           8
        .value_kind:     global_buffer
      - .actual_access:  read_only
        .address_space:  global
        .offset:         112
        .size:           8
        .value_kind:     global_buffer
      - .actual_access:  read_only
        .address_space:  global
        .offset:         120
        .size:           8
        .value_kind:     global_buffer
      - .actual_access:  write_only
        .address_space:  global
        .offset:         128
        .size:           8
        .value_kind:     global_buffer
      - .actual_access:  write_only
        .address_space:  global
        .offset:         136
        .size:           8
        .value_kind:     global_buffer
      - .offset:         144
        .size:           4
        .value_kind:     by_value
      - .offset:         148
        .size:           4
        .value_kind:     by_value
      - .offset:         152
        .size:           4
        .value_kind:     by_value
      - .offset:         156
        .size:           4
        .value_kind:     by_value
      - .offset:         160
        .size:           1
        .value_kind:     by_value
      - .offset:         161
        .size:           1
        .value_kind:     by_value
      - .offset:         162
        .size:           1
        .value_kind:     by_value
    .group_segment_fixed_size: 8448
    .kernarg_segment_align: 8
    .kernarg_segment_size: 164
    .language:       OpenCL C
    .language_version:
      - 2
      - 0
    .max_flat_workgroup_size: 256
    .name:           _ZN9rocsparseL23bsrgemm_fill_wf_per_rowILj256ELj64ELj16ELj137ELj4Eii21rocsparse_complex_numIfEEEv20rocsparse_direction_T5_S4_S4_PKS4_S6_NS_24const_host_device_scalarIT6_EEPKT4_S6_PKS8_SC_S6_SE_S9_SC_S6_SE_SC_PS4_PS8_21rocsparse_index_base_SH_SH_SH_bbb
    .private_segment_fixed_size: 0
    .sgpr_count:     57
    .sgpr_spill_count: 0
    .symbol:         _ZN9rocsparseL23bsrgemm_fill_wf_per_rowILj256ELj64ELj16ELj137ELj4Eii21rocsparse_complex_numIfEEEv20rocsparse_direction_T5_S4_S4_PKS4_S6_NS_24const_host_device_scalarIT6_EEPKT4_S6_PKS8_SC_S6_SE_S9_SC_S6_SE_SC_PS4_PS8_21rocsparse_index_base_SH_SH_SH_bbb.kd
    .uniform_work_group_size: 1
    .uses_dynamic_stack: false
    .vgpr_count:     32
    .vgpr_spill_count: 0
    .wavefront_size: 32
    .workgroup_processor_mode: 1
  - .args:
      - .offset:         0
        .size:           4
        .value_kind:     by_value
      - .offset:         4
        .size:           4
        .value_kind:     by_value
      - .offset:         8
        .size:           4
        .value_kind:     by_value
      - .actual_access:  read_only
        .address_space:  global
        .offset:         16
        .size:           8
        .value_kind:     global_buffer
      - .actual_access:  read_only
        .address_space:  global
        .offset:         24
        .size:           8
        .value_kind:     global_buffer
      - .offset:         32
        .size:           8
        .value_kind:     by_value
      - .actual_access:  read_only
        .address_space:  global
        .offset:         40
        .size:           8
        .value_kind:     global_buffer
      - .actual_access:  read_only
        .address_space:  global
        .offset:         48
        .size:           8
        .value_kind:     global_buffer
      - .actual_access:  read_only
        .address_space:  global
        .offset:         56
        .size:           8
        .value_kind:     global_buffer
      - .actual_access:  read_only
        .address_space:  global
        .offset:         64
        .size:           8
        .value_kind:     global_buffer
      - .actual_access:  read_only
        .address_space:  global
        .offset:         72
        .size:           8
        .value_kind:     global_buffer
      - .actual_access:  read_only
        .address_space:  global
        .offset:         80
        .size:           8
        .value_kind:     global_buffer
      - .offset:         88
        .size:           8
        .value_kind:     by_value
      - .actual_access:  read_only
        .address_space:  global
        .offset:         96
        .size:           8
        .value_kind:     global_buffer
      - .actual_access:  read_only
        .address_space:  global
        .offset:         104
        .size:           8
        .value_kind:     global_buffer
      - .actual_access:  read_only
        .address_space:  global
        .offset:         112
        .size:           8
        .value_kind:     global_buffer
      - .actual_access:  read_only
        .address_space:  global
        .offset:         120
        .size:           8
        .value_kind:     global_buffer
      - .actual_access:  write_only
        .address_space:  global
        .offset:         128
        .size:           8
        .value_kind:     global_buffer
      - .actual_access:  write_only
        .address_space:  global
        .offset:         136
        .size:           8
        .value_kind:     global_buffer
      - .address_space:  global
        .offset:         144
        .size:           8
        .value_kind:     global_buffer
      - .offset:         152
        .size:           4
        .value_kind:     by_value
      - .offset:         156
        .size:           4
        .value_kind:     by_value
      - .offset:         160
        .size:           4
        .value_kind:     by_value
      - .offset:         164
        .size:           4
        .value_kind:     by_value
      - .offset:         168
        .size:           1
        .value_kind:     by_value
      - .offset:         169
        .size:           1
        .value_kind:     by_value
      - .offset:         170
        .size:           1
        .value_kind:     by_value
    .group_segment_fixed_size: 6276
    .kernarg_segment_align: 8
    .kernarg_segment_size: 172
    .language:       OpenCL C
    .language_version:
      - 2
      - 0
    .max_flat_workgroup_size: 256
    .name:           _ZN9rocsparseL38bsrgemm_block_per_row_atomic_multipassILj256ELj32ELj4Eii21rocsparse_complex_numIfEEEv20rocsparse_direction_T3_S4_PKS4_S6_NS_24const_host_device_scalarIT4_EEPKT2_S6_PKS8_SC_S6_SE_S9_SC_S6_SE_SC_PS4_PS8_PSA_21rocsparse_index_base_SI_SI_SI_bbb
    .private_segment_fixed_size: 0
    .sgpr_count:     68
    .sgpr_spill_count: 0
    .symbol:         _ZN9rocsparseL38bsrgemm_block_per_row_atomic_multipassILj256ELj32ELj4Eii21rocsparse_complex_numIfEEEv20rocsparse_direction_T3_S4_PKS4_S6_NS_24const_host_device_scalarIT4_EEPKT2_S6_PKS8_SC_S6_SE_S9_SC_S6_SE_SC_PS4_PS8_PSA_21rocsparse_index_base_SI_SI_SI_bbb.kd
    .uniform_work_group_size: 1
    .uses_dynamic_stack: false
    .vgpr_count:     43
    .vgpr_spill_count: 0
    .wavefront_size: 32
    .workgroup_processor_mode: 1
  - .args:
      - .offset:         0
        .size:           4
        .value_kind:     by_value
      - .offset:         4
        .size:           4
        .value_kind:     by_value
      - .offset:         8
        .size:           4
        .value_kind:     by_value
      - .actual_access:  read_only
        .address_space:  global
        .offset:         16
        .size:           8
        .value_kind:     global_buffer
      - .actual_access:  read_only
        .address_space:  global
        .offset:         24
        .size:           8
        .value_kind:     global_buffer
      - .offset:         32
        .size:           8
        .value_kind:     by_value
      - .actual_access:  read_only
        .address_space:  global
        .offset:         40
        .size:           8
        .value_kind:     global_buffer
      - .actual_access:  read_only
        .address_space:  global
        .offset:         48
        .size:           8
        .value_kind:     global_buffer
      - .actual_access:  read_only
        .address_space:  global
        .offset:         56
        .size:           8
        .value_kind:     global_buffer
      - .actual_access:  read_only
        .address_space:  global
        .offset:         64
        .size:           8
        .value_kind:     global_buffer
      - .actual_access:  read_only
        .address_space:  global
        .offset:         72
        .size:           8
        .value_kind:     global_buffer
      - .actual_access:  read_only
        .address_space:  global
        .offset:         80
        .size:           8
        .value_kind:     global_buffer
      - .offset:         88
        .size:           8
        .value_kind:     by_value
      - .actual_access:  read_only
        .address_space:  global
        .offset:         96
        .size:           8
        .value_kind:     global_buffer
      - .actual_access:  read_only
        .address_space:  global
        .offset:         104
        .size:           8
        .value_kind:     global_buffer
      - .actual_access:  read_only
        .address_space:  global
        .offset:         112
        .size:           8
        .value_kind:     global_buffer
      - .actual_access:  read_only
        .address_space:  global
        .offset:         120
        .size:           8
        .value_kind:     global_buffer
      - .actual_access:  write_only
        .address_space:  global
        .offset:         128
        .size:           8
        .value_kind:     global_buffer
      - .actual_access:  write_only
        .address_space:  global
        .offset:         136
        .size:           8
        .value_kind:     global_buffer
      - .address_space:  global
        .offset:         144
        .size:           8
        .value_kind:     global_buffer
      - .offset:         152
        .size:           4
        .value_kind:     by_value
      - .offset:         156
        .size:           4
        .value_kind:     by_value
      - .offset:         160
        .size:           4
        .value_kind:     by_value
      - .offset:         164
        .size:           4
        .value_kind:     by_value
      - .offset:         168
        .size:           1
        .value_kind:     by_value
      - .offset:         169
        .size:           1
        .value_kind:     by_value
      - .offset:         170
        .size:           1
        .value_kind:     by_value
    .group_segment_fixed_size: 10500
    .kernarg_segment_align: 8
    .kernarg_segment_size: 172
    .language:       OpenCL C
    .language_version:
      - 2
      - 0
    .max_flat_workgroup_size: 256
    .name:           _ZN9rocsparseL38bsrgemm_block_per_row_atomic_multipassILj256ELj64ELj4Eii21rocsparse_complex_numIfEEEv20rocsparse_direction_T3_S4_PKS4_S6_NS_24const_host_device_scalarIT4_EEPKT2_S6_PKS8_SC_S6_SE_S9_SC_S6_SE_SC_PS4_PS8_PSA_21rocsparse_index_base_SI_SI_SI_bbb
    .private_segment_fixed_size: 0
    .sgpr_count:     68
    .sgpr_spill_count: 0
    .symbol:         _ZN9rocsparseL38bsrgemm_block_per_row_atomic_multipassILj256ELj64ELj4Eii21rocsparse_complex_numIfEEEv20rocsparse_direction_T3_S4_PKS4_S6_NS_24const_host_device_scalarIT4_EEPKT2_S6_PKS8_SC_S6_SE_S9_SC_S6_SE_SC_PS4_PS8_PSA_21rocsparse_index_base_SI_SI_SI_bbb.kd
    .uniform_work_group_size: 1
    .uses_dynamic_stack: false
    .vgpr_count:     44
    .vgpr_spill_count: 0
    .wavefront_size: 32
    .workgroup_processor_mode: 1
  - .args:
      - .offset:         0
        .size:           4
        .value_kind:     by_value
      - .offset:         4
        .size:           4
        .value_kind:     by_value
      - .offset:         8
        .size:           4
        .value_kind:     by_value
      - .actual_access:  read_only
        .address_space:  global
        .offset:         16
        .size:           8
        .value_kind:     global_buffer
      - .actual_access:  read_only
        .address_space:  global
        .offset:         24
        .size:           8
        .value_kind:     global_buffer
      - .offset:         32
        .size:           8
        .value_kind:     by_value
      - .actual_access:  read_only
        .address_space:  global
        .offset:         40
        .size:           8
        .value_kind:     global_buffer
      - .actual_access:  read_only
        .address_space:  global
        .offset:         48
        .size:           8
        .value_kind:     global_buffer
      - .actual_access:  read_only
        .address_space:  global
        .offset:         56
        .size:           8
        .value_kind:     global_buffer
      - .actual_access:  read_only
        .address_space:  global
        .offset:         64
        .size:           8
        .value_kind:     global_buffer
      - .actual_access:  read_only
        .address_space:  global
        .offset:         72
        .size:           8
        .value_kind:     global_buffer
      - .actual_access:  read_only
        .address_space:  global
        .offset:         80
        .size:           8
        .value_kind:     global_buffer
      - .offset:         88
        .size:           8
        .value_kind:     by_value
      - .actual_access:  read_only
        .address_space:  global
        .offset:         96
        .size:           8
        .value_kind:     global_buffer
      - .actual_access:  read_only
        .address_space:  global
        .offset:         104
        .size:           8
        .value_kind:     global_buffer
      - .actual_access:  read_only
        .address_space:  global
        .offset:         112
        .size:           8
        .value_kind:     global_buffer
      - .actual_access:  read_only
        .address_space:  global
        .offset:         120
        .size:           8
        .value_kind:     global_buffer
      - .actual_access:  write_only
        .address_space:  global
        .offset:         128
        .size:           8
        .value_kind:     global_buffer
      - .actual_access:  write_only
        .address_space:  global
        .offset:         136
        .size:           8
        .value_kind:     global_buffer
      - .address_space:  global
        .offset:         144
        .size:           8
        .value_kind:     global_buffer
      - .offset:         152
        .size:           4
        .value_kind:     by_value
      - .offset:         156
        .size:           4
        .value_kind:     by_value
      - .offset:         160
        .size:           4
        .value_kind:     by_value
      - .offset:         164
        .size:           4
        .value_kind:     by_value
      - .offset:         168
        .size:           1
        .value_kind:     by_value
      - .offset:         169
        .size:           1
        .value_kind:     by_value
      - .offset:         170
        .size:           1
        .value_kind:     by_value
    .group_segment_fixed_size: 18948
    .kernarg_segment_align: 8
    .kernarg_segment_size: 172
    .language:       OpenCL C
    .language_version:
      - 2
      - 0
    .max_flat_workgroup_size: 256
    .name:           _ZN9rocsparseL38bsrgemm_block_per_row_atomic_multipassILj256ELj128ELj4Eii21rocsparse_complex_numIfEEEv20rocsparse_direction_T3_S4_PKS4_S6_NS_24const_host_device_scalarIT4_EEPKT2_S6_PKS8_SC_S6_SE_S9_SC_S6_SE_SC_PS4_PS8_PSA_21rocsparse_index_base_SI_SI_SI_bbb
    .private_segment_fixed_size: 0
    .sgpr_count:     72
    .sgpr_spill_count: 0
    .symbol:         _ZN9rocsparseL38bsrgemm_block_per_row_atomic_multipassILj256ELj128ELj4Eii21rocsparse_complex_numIfEEEv20rocsparse_direction_T3_S4_PKS4_S6_NS_24const_host_device_scalarIT4_EEPKT2_S6_PKS8_SC_S6_SE_S9_SC_S6_SE_SC_PS4_PS8_PSA_21rocsparse_index_base_SI_SI_SI_bbb.kd
    .uniform_work_group_size: 1
    .uses_dynamic_stack: false
    .vgpr_count:     47
    .vgpr_spill_count: 0
    .wavefront_size: 32
    .workgroup_processor_mode: 1
  - .args:
      - .offset:         0
        .size:           4
        .value_kind:     by_value
      - .offset:         4
        .size:           4
        .value_kind:     by_value
      - .offset:         8
        .size:           4
        .value_kind:     by_value
      - .offset:         12
        .size:           4
        .value_kind:     by_value
      - .actual_access:  read_only
        .address_space:  global
        .offset:         16
        .size:           8
        .value_kind:     global_buffer
      - .actual_access:  read_only
        .address_space:  global
        .offset:         24
        .size:           8
        .value_kind:     global_buffer
      - .offset:         32
        .size:           8
        .value_kind:     by_value
      - .actual_access:  read_only
        .address_space:  global
        .offset:         40
        .size:           8
        .value_kind:     global_buffer
      - .actual_access:  read_only
        .address_space:  global
        .offset:         48
        .size:           8
        .value_kind:     global_buffer
      - .actual_access:  read_only
        .address_space:  global
        .offset:         56
        .size:           8
        .value_kind:     global_buffer
      - .actual_access:  read_only
        .address_space:  global
        .offset:         64
        .size:           8
        .value_kind:     global_buffer
      - .actual_access:  read_only
        .address_space:  global
        .offset:         72
        .size:           8
        .value_kind:     global_buffer
      - .actual_access:  read_only
        .address_space:  global
        .offset:         80
        .size:           8
        .value_kind:     global_buffer
      - .offset:         88
        .size:           8
        .value_kind:     by_value
      - .actual_access:  read_only
        .address_space:  global
        .offset:         96
        .size:           8
        .value_kind:     global_buffer
      - .actual_access:  read_only
        .address_space:  global
        .offset:         104
        .size:           8
        .value_kind:     global_buffer
      - .actual_access:  read_only
        .address_space:  global
        .offset:         112
        .size:           8
        .value_kind:     global_buffer
      - .actual_access:  read_only
        .address_space:  global
        .offset:         120
        .size:           8
        .value_kind:     global_buffer
      - .actual_access:  write_only
        .address_space:  global
        .offset:         128
        .size:           8
        .value_kind:     global_buffer
      - .actual_access:  write_only
        .address_space:  global
        .offset:         136
        .size:           8
        .value_kind:     global_buffer
      - .offset:         144
        .size:           4
        .value_kind:     by_value
      - .offset:         148
        .size:           4
        .value_kind:     by_value
      - .offset:         152
        .size:           4
        .value_kind:     by_value
      - .offset:         156
        .size:           4
        .value_kind:     by_value
      - .offset:         160
        .size:           1
        .value_kind:     by_value
      - .offset:         161
        .size:           1
        .value_kind:     by_value
      - .offset:         162
        .size:           1
        .value_kind:     by_value
    .group_segment_fixed_size: 16512
    .kernarg_segment_align: 8
    .kernarg_segment_size: 164
    .language:       OpenCL C
    .language_version:
      - 2
      - 0
    .max_flat_workgroup_size: 256
    .name:           _ZN9rocsparseL23bsrgemm_fill_wf_per_rowILj256ELj64ELj8ELj137ELj8Eii21rocsparse_complex_numIfEEEv20rocsparse_direction_T5_S4_S4_PKS4_S6_NS_24const_host_device_scalarIT6_EEPKT4_S6_PKS8_SC_S6_SE_S9_SC_S6_SE_SC_PS4_PS8_21rocsparse_index_base_SH_SH_SH_bbb
    .private_segment_fixed_size: 0
    .sgpr_count:     56
    .sgpr_spill_count: 0
    .symbol:         _ZN9rocsparseL23bsrgemm_fill_wf_per_rowILj256ELj64ELj8ELj137ELj8Eii21rocsparse_complex_numIfEEEv20rocsparse_direction_T5_S4_S4_PKS4_S6_NS_24const_host_device_scalarIT6_EEPKT4_S6_PKS8_SC_S6_SE_S9_SC_S6_SE_SC_PS4_PS8_21rocsparse_index_base_SH_SH_SH_bbb.kd
    .uniform_work_group_size: 1
    .uses_dynamic_stack: false
    .vgpr_count:     30
    .vgpr_spill_count: 0
    .wavefront_size: 32
    .workgroup_processor_mode: 1
  - .args:
      - .offset:         0
        .size:           4
        .value_kind:     by_value
      - .offset:         4
        .size:           4
        .value_kind:     by_value
      - .offset:         8
        .size:           4
        .value_kind:     by_value
      - .actual_access:  read_only
        .address_space:  global
        .offset:         16
        .size:           8
        .value_kind:     global_buffer
      - .actual_access:  read_only
        .address_space:  global
        .offset:         24
        .size:           8
        .value_kind:     global_buffer
      - .offset:         32
        .size:           8
        .value_kind:     by_value
      - .actual_access:  read_only
        .address_space:  global
        .offset:         40
        .size:           8
        .value_kind:     global_buffer
      - .actual_access:  read_only
        .address_space:  global
        .offset:         48
        .size:           8
        .value_kind:     global_buffer
      - .actual_access:  read_only
        .address_space:  global
        .offset:         56
        .size:           8
        .value_kind:     global_buffer
      - .actual_access:  read_only
        .address_space:  global
        .offset:         64
        .size:           8
        .value_kind:     global_buffer
      - .actual_access:  read_only
        .address_space:  global
        .offset:         72
        .size:           8
        .value_kind:     global_buffer
      - .actual_access:  read_only
        .address_space:  global
        .offset:         80
        .size:           8
        .value_kind:     global_buffer
      - .offset:         88
        .size:           8
        .value_kind:     by_value
      - .actual_access:  read_only
        .address_space:  global
        .offset:         96
        .size:           8
        .value_kind:     global_buffer
      - .actual_access:  read_only
        .address_space:  global
        .offset:         104
        .size:           8
        .value_kind:     global_buffer
      - .actual_access:  read_only
        .address_space:  global
        .offset:         112
        .size:           8
        .value_kind:     global_buffer
      - .actual_access:  read_only
        .address_space:  global
        .offset:         120
        .size:           8
        .value_kind:     global_buffer
      - .actual_access:  write_only
        .address_space:  global
        .offset:         128
        .size:           8
        .value_kind:     global_buffer
      - .actual_access:  write_only
        .address_space:  global
        .offset:         136
        .size:           8
        .value_kind:     global_buffer
      - .address_space:  global
        .offset:         144
        .size:           8
        .value_kind:     global_buffer
      - .offset:         152
        .size:           4
        .value_kind:     by_value
      - .offset:         156
        .size:           4
        .value_kind:     by_value
      - .offset:         160
        .size:           4
        .value_kind:     by_value
      - .offset:         164
        .size:           4
        .value_kind:     by_value
      - .offset:         168
        .size:           1
        .value_kind:     by_value
      - .offset:         169
        .size:           1
        .value_kind:     by_value
      - .offset:         170
        .size:           1
        .value_kind:     by_value
    .group_segment_fixed_size: 10308
    .kernarg_segment_align: 8
    .kernarg_segment_size: 172
    .language:       OpenCL C
    .language_version:
      - 2
      - 0
    .max_flat_workgroup_size: 256
    .name:           _ZN9rocsparseL38bsrgemm_block_per_row_atomic_multipassILj256ELj16ELj8Eii21rocsparse_complex_numIfEEEv20rocsparse_direction_T3_S4_PKS4_S6_NS_24const_host_device_scalarIT4_EEPKT2_S6_PKS8_SC_S6_SE_S9_SC_S6_SE_SC_PS4_PS8_PSA_21rocsparse_index_base_SI_SI_SI_bbb
    .private_segment_fixed_size: 0
    .sgpr_count:     66
    .sgpr_spill_count: 0
    .symbol:         _ZN9rocsparseL38bsrgemm_block_per_row_atomic_multipassILj256ELj16ELj8Eii21rocsparse_complex_numIfEEEv20rocsparse_direction_T3_S4_PKS4_S6_NS_24const_host_device_scalarIT4_EEPKT2_S6_PKS8_SC_S6_SE_S9_SC_S6_SE_SC_PS4_PS8_PSA_21rocsparse_index_base_SI_SI_SI_bbb.kd
    .uniform_work_group_size: 1
    .uses_dynamic_stack: false
    .vgpr_count:     42
    .vgpr_spill_count: 0
    .wavefront_size: 32
    .workgroup_processor_mode: 1
  - .args:
      - .offset:         0
        .size:           4
        .value_kind:     by_value
      - .offset:         4
        .size:           4
        .value_kind:     by_value
      - .offset:         8
        .size:           4
        .value_kind:     by_value
      - .actual_access:  read_only
        .address_space:  global
        .offset:         16
        .size:           8
        .value_kind:     global_buffer
      - .actual_access:  read_only
        .address_space:  global
        .offset:         24
        .size:           8
        .value_kind:     global_buffer
      - .offset:         32
        .size:           8
        .value_kind:     by_value
      - .actual_access:  read_only
        .address_space:  global
        .offset:         40
        .size:           8
        .value_kind:     global_buffer
      - .actual_access:  read_only
        .address_space:  global
        .offset:         48
        .size:           8
        .value_kind:     global_buffer
      - .actual_access:  read_only
        .address_space:  global
        .offset:         56
        .size:           8
        .value_kind:     global_buffer
      - .actual_access:  read_only
        .address_space:  global
        .offset:         64
        .size:           8
        .value_kind:     global_buffer
      - .actual_access:  read_only
        .address_space:  global
        .offset:         72
        .size:           8
        .value_kind:     global_buffer
      - .actual_access:  read_only
        .address_space:  global
        .offset:         80
        .size:           8
        .value_kind:     global_buffer
      - .offset:         88
        .size:           8
        .value_kind:     by_value
      - .actual_access:  read_only
        .address_space:  global
        .offset:         96
        .size:           8
        .value_kind:     global_buffer
      - .actual_access:  read_only
        .address_space:  global
        .offset:         104
        .size:           8
        .value_kind:     global_buffer
      - .actual_access:  read_only
        .address_space:  global
        .offset:         112
        .size:           8
        .value_kind:     global_buffer
      - .actual_access:  read_only
        .address_space:  global
        .offset:         120
        .size:           8
        .value_kind:     global_buffer
      - .actual_access:  write_only
        .address_space:  global
        .offset:         128
        .size:           8
        .value_kind:     global_buffer
      - .actual_access:  write_only
        .address_space:  global
        .offset:         136
        .size:           8
        .value_kind:     global_buffer
      - .address_space:  global
        .offset:         144
        .size:           8
        .value_kind:     global_buffer
      - .offset:         152
        .size:           4
        .value_kind:     by_value
      - .offset:         156
        .size:           4
        .value_kind:     by_value
      - .offset:         160
        .size:           4
        .value_kind:     by_value
      - .offset:         164
        .size:           4
        .value_kind:     by_value
      - .offset:         168
        .size:           1
        .value_kind:     by_value
      - .offset:         169
        .size:           1
        .value_kind:     by_value
      - .offset:         170
        .size:           1
        .value_kind:     by_value
    .group_segment_fixed_size: 18564
    .kernarg_segment_align: 8
    .kernarg_segment_size: 172
    .language:       OpenCL C
    .language_version:
      - 2
      - 0
    .max_flat_workgroup_size: 256
    .name:           _ZN9rocsparseL38bsrgemm_block_per_row_atomic_multipassILj256ELj32ELj8Eii21rocsparse_complex_numIfEEEv20rocsparse_direction_T3_S4_PKS4_S6_NS_24const_host_device_scalarIT4_EEPKT2_S6_PKS8_SC_S6_SE_S9_SC_S6_SE_SC_PS4_PS8_PSA_21rocsparse_index_base_SI_SI_SI_bbb
    .private_segment_fixed_size: 0
    .sgpr_count:     70
    .sgpr_spill_count: 0
    .symbol:         _ZN9rocsparseL38bsrgemm_block_per_row_atomic_multipassILj256ELj32ELj8Eii21rocsparse_complex_numIfEEEv20rocsparse_direction_T3_S4_PKS4_S6_NS_24const_host_device_scalarIT4_EEPKT2_S6_PKS8_SC_S6_SE_S9_SC_S6_SE_SC_PS4_PS8_PSA_21rocsparse_index_base_SI_SI_SI_bbb.kd
    .uniform_work_group_size: 1
    .uses_dynamic_stack: false
    .vgpr_count:     44
    .vgpr_spill_count: 0
    .wavefront_size: 32
    .workgroup_processor_mode: 1
  - .args:
      - .offset:         0
        .size:           4
        .value_kind:     by_value
      - .offset:         4
        .size:           4
        .value_kind:     by_value
      - .offset:         8
        .size:           4
        .value_kind:     by_value
      - .actual_access:  read_only
        .address_space:  global
        .offset:         16
        .size:           8
        .value_kind:     global_buffer
      - .actual_access:  read_only
        .address_space:  global
        .offset:         24
        .size:           8
        .value_kind:     global_buffer
      - .offset:         32
        .size:           8
        .value_kind:     by_value
      - .actual_access:  read_only
        .address_space:  global
        .offset:         40
        .size:           8
        .value_kind:     global_buffer
      - .actual_access:  read_only
        .address_space:  global
        .offset:         48
        .size:           8
        .value_kind:     global_buffer
      - .actual_access:  read_only
        .address_space:  global
        .offset:         56
        .size:           8
        .value_kind:     global_buffer
      - .actual_access:  read_only
        .address_space:  global
        .offset:         64
        .size:           8
        .value_kind:     global_buffer
      - .actual_access:  read_only
        .address_space:  global
        .offset:         72
        .size:           8
        .value_kind:     global_buffer
      - .actual_access:  read_only
        .address_space:  global
        .offset:         80
        .size:           8
        .value_kind:     global_buffer
      - .offset:         88
        .size:           8
        .value_kind:     by_value
      - .actual_access:  read_only
        .address_space:  global
        .offset:         96
        .size:           8
        .value_kind:     global_buffer
      - .actual_access:  read_only
        .address_space:  global
        .offset:         104
        .size:           8
        .value_kind:     global_buffer
      - .actual_access:  read_only
        .address_space:  global
        .offset:         112
        .size:           8
        .value_kind:     global_buffer
      - .actual_access:  read_only
        .address_space:  global
        .offset:         120
        .size:           8
        .value_kind:     global_buffer
      - .actual_access:  write_only
        .address_space:  global
        .offset:         128
        .size:           8
        .value_kind:     global_buffer
      - .actual_access:  write_only
        .address_space:  global
        .offset:         136
        .size:           8
        .value_kind:     global_buffer
      - .address_space:  global
        .offset:         144
        .size:           8
        .value_kind:     global_buffer
      - .offset:         152
        .size:           4
        .value_kind:     by_value
      - .offset:         156
        .size:           4
        .value_kind:     by_value
      - .offset:         160
        .size:           4
        .value_kind:     by_value
      - .offset:         164
        .size:           4
        .value_kind:     by_value
      - .offset:         168
        .size:           1
        .value_kind:     by_value
      - .offset:         169
        .size:           1
        .value_kind:     by_value
      - .offset:         170
        .size:           1
        .value_kind:     by_value
    .group_segment_fixed_size: 16392
    .kernarg_segment_align: 8
    .kernarg_segment_size: 172
    .language:       OpenCL C
    .language_version:
      - 2
      - 0
    .max_flat_workgroup_size: 256
    .name:           _ZN9rocsparseL31bsrgemm_block_per_row_multipassILj256ELj8ELj16Eii21rocsparse_complex_numIfEEEv20rocsparse_direction_T3_S4_PKS4_S6_NS_24const_host_device_scalarIT4_EEPKT2_S6_PKS8_SC_S6_SE_S9_SC_S6_SE_SC_PS4_PS8_PSA_21rocsparse_index_base_SI_SI_SI_bbb
    .private_segment_fixed_size: 0
    .sgpr_count:     69
    .sgpr_spill_count: 0
    .symbol:         _ZN9rocsparseL31bsrgemm_block_per_row_multipassILj256ELj8ELj16Eii21rocsparse_complex_numIfEEEv20rocsparse_direction_T3_S4_PKS4_S6_NS_24const_host_device_scalarIT4_EEPKT2_S6_PKS8_SC_S6_SE_S9_SC_S6_SE_SC_PS4_PS8_PSA_21rocsparse_index_base_SI_SI_SI_bbb.kd
    .uniform_work_group_size: 1
    .uses_dynamic_stack: false
    .vgpr_count:     29
    .vgpr_spill_count: 0
    .wavefront_size: 32
    .workgroup_processor_mode: 1
  - .args:
      - .offset:         0
        .size:           4
        .value_kind:     by_value
      - .offset:         4
        .size:           4
        .value_kind:     by_value
      - .offset:         8
        .size:           4
        .value_kind:     by_value
      - .actual_access:  read_only
        .address_space:  global
        .offset:         16
        .size:           8
        .value_kind:     global_buffer
      - .actual_access:  read_only
        .address_space:  global
        .offset:         24
        .size:           8
        .value_kind:     global_buffer
      - .offset:         32
        .size:           8
        .value_kind:     by_value
      - .actual_access:  read_only
        .address_space:  global
        .offset:         40
        .size:           8
        .value_kind:     global_buffer
      - .actual_access:  read_only
        .address_space:  global
        .offset:         48
        .size:           8
        .value_kind:     global_buffer
      - .actual_access:  read_only
        .address_space:  global
        .offset:         56
        .size:           8
        .value_kind:     global_buffer
      - .actual_access:  read_only
        .address_space:  global
        .offset:         64
        .size:           8
        .value_kind:     global_buffer
      - .actual_access:  read_only
        .address_space:  global
        .offset:         72
        .size:           8
        .value_kind:     global_buffer
      - .actual_access:  read_only
        .address_space:  global
        .offset:         80
        .size:           8
        .value_kind:     global_buffer
      - .offset:         88
        .size:           8
        .value_kind:     by_value
      - .actual_access:  read_only
        .address_space:  global
        .offset:         96
        .size:           8
        .value_kind:     global_buffer
      - .actual_access:  read_only
        .address_space:  global
        .offset:         104
        .size:           8
        .value_kind:     global_buffer
      - .actual_access:  read_only
        .address_space:  global
        .offset:         112
        .size:           8
        .value_kind:     global_buffer
      - .actual_access:  read_only
        .address_space:  global
        .offset:         120
        .size:           8
        .value_kind:     global_buffer
      - .actual_access:  write_only
        .address_space:  global
        .offset:         128
        .size:           8
        .value_kind:     global_buffer
      - .actual_access:  write_only
        .address_space:  global
        .offset:         136
        .size:           8
        .value_kind:     global_buffer
      - .address_space:  global
        .offset:         144
        .size:           8
        .value_kind:     global_buffer
      - .offset:         152
        .size:           4
        .value_kind:     by_value
      - .offset:         156
        .size:           4
        .value_kind:     by_value
      - .offset:         160
        .size:           4
        .value_kind:     by_value
      - .offset:         164
        .size:           4
        .value_kind:     by_value
      - .offset:         168
        .size:           1
        .value_kind:     by_value
      - .offset:         169
        .size:           1
        .value_kind:     by_value
      - .offset:         170
        .size:           1
        .value_kind:     by_value
    .group_segment_fixed_size: 16388
    .kernarg_segment_align: 8
    .kernarg_segment_size: 172
    .language:       OpenCL C
    .language_version:
      - 2
      - 0
    .max_flat_workgroup_size: 256
    .name:           _ZN9rocsparseL31bsrgemm_block_per_row_multipassILj256ELj2ELj32Eii21rocsparse_complex_numIfEEEv20rocsparse_direction_T3_S4_PKS4_S6_NS_24const_host_device_scalarIT4_EEPKT2_S6_PKS8_SC_S6_SE_S9_SC_S6_SE_SC_PS4_PS8_PSA_21rocsparse_index_base_SI_SI_SI_bbb
    .private_segment_fixed_size: 0
    .sgpr_count:     72
    .sgpr_spill_count: 0
    .symbol:         _ZN9rocsparseL31bsrgemm_block_per_row_multipassILj256ELj2ELj32Eii21rocsparse_complex_numIfEEEv20rocsparse_direction_T3_S4_PKS4_S6_NS_24const_host_device_scalarIT4_EEPKT2_S6_PKS8_SC_S6_SE_S9_SC_S6_SE_SC_PS4_PS8_PSA_21rocsparse_index_base_SI_SI_SI_bbb.kd
    .uniform_work_group_size: 1
    .uses_dynamic_stack: false
    .vgpr_count:     41
    .vgpr_spill_count: 0
    .wavefront_size: 32
    .workgroup_processor_mode: 1
  - .args:
      - .offset:         0
        .size:           4
        .value_kind:     by_value
      - .actual_access:  read_only
        .address_space:  global
        .offset:         8
        .size:           8
        .value_kind:     global_buffer
      - .actual_access:  write_only
        .address_space:  global
        .offset:         16
        .size:           8
        .value_kind:     global_buffer
      - .actual_access:  write_only
        .address_space:  global
        .offset:         24
        .size:           8
        .value_kind:     global_buffer
      - .offset:         32
        .size:           4
        .value_kind:     hidden_block_count_x
      - .offset:         36
        .size:           4
        .value_kind:     hidden_block_count_y
      - .offset:         40
        .size:           4
        .value_kind:     hidden_block_count_z
      - .offset:         44
        .size:           2
        .value_kind:     hidden_group_size_x
      - .offset:         46
        .size:           2
        .value_kind:     hidden_group_size_y
      - .offset:         48
        .size:           2
        .value_kind:     hidden_group_size_z
      - .offset:         50
        .size:           2
        .value_kind:     hidden_remainder_x
      - .offset:         52
        .size:           2
        .value_kind:     hidden_remainder_y
      - .offset:         54
        .size:           2
        .value_kind:     hidden_remainder_z
      - .offset:         72
        .size:           8
        .value_kind:     hidden_global_offset_x
      - .offset:         80
        .size:           8
        .value_kind:     hidden_global_offset_y
      - .offset:         88
        .size:           8
        .value_kind:     hidden_global_offset_z
      - .offset:         96
        .size:           2
        .value_kind:     hidden_grid_dims
    .group_segment_fixed_size: 8192
    .kernarg_segment_align: 8
    .kernarg_segment_size: 288
    .language:       OpenCL C
    .language_version:
      - 2
      - 0
    .max_flat_workgroup_size: 256
    .name:           _ZN9rocsparseL26bsrgemm_group_reduce_part2ILj256ELj8ELj2E21rocsparse_complex_numIdEiiEEvT4_PKT3_PS3_Pi
    .private_segment_fixed_size: 0
    .sgpr_count:     19
    .sgpr_spill_count: 0
    .symbol:         _ZN9rocsparseL26bsrgemm_group_reduce_part2ILj256ELj8ELj2E21rocsparse_complex_numIdEiiEEvT4_PKT3_PS3_Pi.kd
    .uniform_work_group_size: 1
    .uses_dynamic_stack: false
    .vgpr_count:     21
    .vgpr_spill_count: 0
    .wavefront_size: 32
    .workgroup_processor_mode: 1
  - .args:
      - .offset:         0
        .size:           4
        .value_kind:     by_value
      - .actual_access:  read_only
        .address_space:  global
        .offset:         8
        .size:           8
        .value_kind:     global_buffer
      - .actual_access:  write_only
        .address_space:  global
        .offset:         16
        .size:           8
        .value_kind:     global_buffer
      - .actual_access:  write_only
        .address_space:  global
        .offset:         24
        .size:           8
        .value_kind:     global_buffer
      - .offset:         32
        .size:           4
        .value_kind:     hidden_block_count_x
      - .offset:         36
        .size:           4
        .value_kind:     hidden_block_count_y
      - .offset:         40
        .size:           4
        .value_kind:     hidden_block_count_z
      - .offset:         44
        .size:           2
        .value_kind:     hidden_group_size_x
      - .offset:         46
        .size:           2
        .value_kind:     hidden_group_size_y
      - .offset:         48
        .size:           2
        .value_kind:     hidden_group_size_z
      - .offset:         50
        .size:           2
        .value_kind:     hidden_remainder_x
      - .offset:         52
        .size:           2
        .value_kind:     hidden_remainder_y
      - .offset:         54
        .size:           2
        .value_kind:     hidden_remainder_z
      - .offset:         72
        .size:           8
        .value_kind:     hidden_global_offset_x
      - .offset:         80
        .size:           8
        .value_kind:     hidden_global_offset_y
      - .offset:         88
        .size:           8
        .value_kind:     hidden_global_offset_z
      - .offset:         96
        .size:           2
        .value_kind:     hidden_grid_dims
    .group_segment_fixed_size: 8192
    .kernarg_segment_align: 8
    .kernarg_segment_size: 288
    .language:       OpenCL C
    .language_version:
      - 2
      - 0
    .max_flat_workgroup_size: 256
    .name:           _ZN9rocsparseL26bsrgemm_group_reduce_part2ILj256ELj8ELj8E21rocsparse_complex_numIdEiiEEvT4_PKT3_PS3_Pi
    .private_segment_fixed_size: 0
    .sgpr_count:     20
    .sgpr_spill_count: 0
    .symbol:         _ZN9rocsparseL26bsrgemm_group_reduce_part2ILj256ELj8ELj8E21rocsparse_complex_numIdEiiEEvT4_PKT3_PS3_Pi.kd
    .uniform_work_group_size: 1
    .uses_dynamic_stack: false
    .vgpr_count:     21
    .vgpr_spill_count: 0
    .wavefront_size: 32
    .workgroup_processor_mode: 1
  - .args:
      - .offset:         0
        .size:           4
        .value_kind:     by_value
      - .offset:         4
        .size:           4
        .value_kind:     by_value
      - .offset:         8
        .size:           4
        .value_kind:     by_value
      - .actual_access:  read_only
        .address_space:  global
        .offset:         16
        .size:           8
        .value_kind:     global_buffer
      - .actual_access:  read_only
        .address_space:  global
        .offset:         24
        .size:           8
        .value_kind:     global_buffer
      - .offset:         32
        .size:           16
        .value_kind:     by_value
      - .actual_access:  read_only
        .address_space:  global
        .offset:         48
        .size:           8
        .value_kind:     global_buffer
      - .actual_access:  read_only
        .address_space:  global
        .offset:         56
        .size:           8
        .value_kind:     global_buffer
      - .actual_access:  read_only
        .address_space:  global
        .offset:         64
        .size:           8
        .value_kind:     global_buffer
      - .actual_access:  read_only
        .address_space:  global
        .offset:         72
        .size:           8
        .value_kind:     global_buffer
      - .actual_access:  read_only
        .address_space:  global
        .offset:         80
        .size:           8
        .value_kind:     global_buffer
      - .actual_access:  read_only
        .address_space:  global
        .offset:         88
        .size:           8
        .value_kind:     global_buffer
      - .offset:         96
        .size:           16
        .value_kind:     by_value
      - .actual_access:  read_only
        .address_space:  global
        .offset:         112
        .size:           8
        .value_kind:     global_buffer
      - .actual_access:  read_only
        .address_space:  global
        .offset:         120
        .size:           8
        .value_kind:     global_buffer
      - .actual_access:  read_only
        .address_space:  global
        .offset:         128
        .size:           8
        .value_kind:     global_buffer
      - .actual_access:  read_only
        .address_space:  global
        .offset:         136
        .size:           8
        .value_kind:     global_buffer
      - .actual_access:  write_only
        .address_space:  global
        .offset:         144
        .size:           8
        .value_kind:     global_buffer
      - .actual_access:  write_only
        .address_space:  global
        .offset:         152
        .size:           8
        .value_kind:     global_buffer
      - .offset:         160
        .size:           4
        .value_kind:     by_value
      - .offset:         164
        .size:           4
        .value_kind:     by_value
      - .offset:         168
        .size:           4
        .value_kind:     by_value
      - .offset:         172
        .size:           4
        .value_kind:     by_value
      - .offset:         176
        .size:           1
        .value_kind:     by_value
      - .offset:         177
        .size:           1
        .value_kind:     by_value
      - .offset:         178
        .size:           1
        .value_kind:     by_value
    .group_segment_fixed_size: 12800
    .kernarg_segment_align: 8
    .kernarg_segment_size: 180
    .language:       OpenCL C
    .language_version:
      - 2
      - 0
    .max_flat_workgroup_size: 256
    .name:           _ZN9rocsparseL27bsrgemm_fill_wf_per_row_2x2ILj256ELj16ELj8ELj137Eii21rocsparse_complex_numIdEEEv20rocsparse_direction_T4_S4_PKS4_S6_NS_24const_host_device_scalarIT5_EEPKT3_S6_PKS8_SC_S6_SE_S9_SC_S6_SE_SC_PS4_PS8_21rocsparse_index_base_SH_SH_SH_bbb
    .private_segment_fixed_size: 0
    .sgpr_count:     50
    .sgpr_spill_count: 0
    .symbol:         _ZN9rocsparseL27bsrgemm_fill_wf_per_row_2x2ILj256ELj16ELj8ELj137Eii21rocsparse_complex_numIdEEEv20rocsparse_direction_T4_S4_PKS4_S6_NS_24const_host_device_scalarIT5_EEPKT3_S6_PKS8_SC_S6_SE_S9_SC_S6_SE_SC_PS4_PS8_21rocsparse_index_base_SH_SH_SH_bbb.kd
    .uniform_work_group_size: 1
    .uses_dynamic_stack: false
    .vgpr_count:     64
    .vgpr_spill_count: 0
    .wavefront_size: 32
    .workgroup_processor_mode: 1
  - .args:
      - .offset:         0
        .size:           4
        .value_kind:     by_value
      - .offset:         4
        .size:           4
        .value_kind:     by_value
      - .offset:         8
        .size:           4
        .value_kind:     by_value
      - .actual_access:  read_only
        .address_space:  global
        .offset:         16
        .size:           8
        .value_kind:     global_buffer
      - .actual_access:  read_only
        .address_space:  global
        .offset:         24
        .size:           8
        .value_kind:     global_buffer
      - .offset:         32
        .size:           16
        .value_kind:     by_value
      - .actual_access:  read_only
        .address_space:  global
        .offset:         48
        .size:           8
        .value_kind:     global_buffer
      - .actual_access:  read_only
        .address_space:  global
        .offset:         56
        .size:           8
        .value_kind:     global_buffer
      - .actual_access:  read_only
        .address_space:  global
        .offset:         64
        .size:           8
        .value_kind:     global_buffer
      - .actual_access:  read_only
        .address_space:  global
        .offset:         72
        .size:           8
        .value_kind:     global_buffer
      - .actual_access:  read_only
        .address_space:  global
        .offset:         80
        .size:           8
        .value_kind:     global_buffer
      - .actual_access:  read_only
        .address_space:  global
        .offset:         88
        .size:           8
        .value_kind:     global_buffer
      - .offset:         96
        .size:           16
        .value_kind:     by_value
      - .actual_access:  read_only
        .address_space:  global
        .offset:         112
        .size:           8
        .value_kind:     global_buffer
      - .actual_access:  read_only
        .address_space:  global
        .offset:         120
        .size:           8
        .value_kind:     global_buffer
      - .actual_access:  read_only
        .address_space:  global
        .offset:         128
        .size:           8
        .value_kind:     global_buffer
      - .actual_access:  read_only
        .address_space:  global
        .offset:         136
        .size:           8
        .value_kind:     global_buffer
      - .actual_access:  write_only
        .address_space:  global
        .offset:         144
        .size:           8
        .value_kind:     global_buffer
      - .actual_access:  write_only
        .address_space:  global
        .offset:         152
        .size:           8
        .value_kind:     global_buffer
      - .offset:         160
        .size:           4
        .value_kind:     by_value
      - .offset:         164
        .size:           4
        .value_kind:     by_value
      - .offset:         168
        .size:           4
        .value_kind:     by_value
      - .offset:         172
        .size:           4
        .value_kind:     by_value
      - .offset:         176
        .size:           1
        .value_kind:     by_value
      - .offset:         177
        .size:           1
        .value_kind:     by_value
      - .offset:         178
        .size:           1
        .value_kind:     by_value
    .group_segment_fixed_size: 17408
    .kernarg_segment_align: 8
    .kernarg_segment_size: 180
    .language:       OpenCL C
    .language_version:
      - 2
      - 0
    .max_flat_workgroup_size: 256
    .name:           _ZN9rocsparseL27bsrgemm_fill_wf_per_row_2x2ILj256ELj16ELj16ELj137Eii21rocsparse_complex_numIdEEEv20rocsparse_direction_T4_S4_PKS4_S6_NS_24const_host_device_scalarIT5_EEPKT3_S6_PKS8_SC_S6_SE_S9_SC_S6_SE_SC_PS4_PS8_21rocsparse_index_base_SH_SH_SH_bbb
    .private_segment_fixed_size: 24
    .sgpr_count:     50
    .sgpr_spill_count: 0
    .symbol:         _ZN9rocsparseL27bsrgemm_fill_wf_per_row_2x2ILj256ELj16ELj16ELj137Eii21rocsparse_complex_numIdEEEv20rocsparse_direction_T4_S4_PKS4_S6_NS_24const_host_device_scalarIT5_EEPKT3_S6_PKS8_SC_S6_SE_S9_SC_S6_SE_SC_PS4_PS8_21rocsparse_index_base_SH_SH_SH_bbb.kd
    .uniform_work_group_size: 1
    .uses_dynamic_stack: false
    .vgpr_count:     65
    .vgpr_spill_count: 0
    .wavefront_size: 32
    .workgroup_processor_mode: 1
  - .args:
      - .offset:         0
        .size:           4
        .value_kind:     by_value
      - .offset:         4
        .size:           4
        .value_kind:     by_value
      - .offset:         8
        .size:           4
        .value_kind:     by_value
      - .actual_access:  read_only
        .address_space:  global
        .offset:         16
        .size:           8
        .value_kind:     global_buffer
      - .actual_access:  read_only
        .address_space:  global
        .offset:         24
        .size:           8
        .value_kind:     global_buffer
      - .offset:         32
        .size:           16
        .value_kind:     by_value
      - .actual_access:  read_only
        .address_space:  global
        .offset:         48
        .size:           8
        .value_kind:     global_buffer
      - .actual_access:  read_only
        .address_space:  global
        .offset:         56
        .size:           8
        .value_kind:     global_buffer
      - .actual_access:  read_only
        .address_space:  global
        .offset:         64
        .size:           8
        .value_kind:     global_buffer
      - .actual_access:  read_only
        .address_space:  global
        .offset:         72
        .size:           8
        .value_kind:     global_buffer
      - .actual_access:  read_only
        .address_space:  global
        .offset:         80
        .size:           8
        .value_kind:     global_buffer
      - .actual_access:  read_only
        .address_space:  global
        .offset:         88
        .size:           8
        .value_kind:     global_buffer
      - .offset:         96
        .size:           16
        .value_kind:     by_value
      - .actual_access:  read_only
        .address_space:  global
        .offset:         112
        .size:           8
        .value_kind:     global_buffer
      - .actual_access:  read_only
        .address_space:  global
        .offset:         120
        .size:           8
        .value_kind:     global_buffer
      - .actual_access:  read_only
        .address_space:  global
        .offset:         128
        .size:           8
        .value_kind:     global_buffer
      - .actual_access:  read_only
        .address_space:  global
        .offset:         136
        .size:           8
        .value_kind:     global_buffer
      - .actual_access:  write_only
        .address_space:  global
        .offset:         144
        .size:           8
        .value_kind:     global_buffer
      - .actual_access:  write_only
        .address_space:  global
        .offset:         152
        .size:           8
        .value_kind:     global_buffer
      - .offset:         160
        .size:           4
        .value_kind:     by_value
      - .offset:         164
        .size:           4
        .value_kind:     by_value
      - .offset:         168
        .size:           4
        .value_kind:     by_value
      - .offset:         172
        .size:           4
        .value_kind:     by_value
      - .offset:         176
        .size:           1
        .value_kind:     by_value
      - .offset:         177
        .size:           1
        .value_kind:     by_value
      - .offset:         178
        .size:           1
        .value_kind:     by_value
    .group_segment_fixed_size: 38912
    .kernarg_segment_align: 8
    .kernarg_segment_size: 180
    .language:       OpenCL C
    .language_version:
      - 2
      - 0
    .max_flat_workgroup_size: 256
    .name:           _ZN9rocsparseL27bsrgemm_fill_wf_per_row_2x2ILj256ELj16ELj32ELj137Eii21rocsparse_complex_numIdEEEv20rocsparse_direction_T4_S4_PKS4_S6_NS_24const_host_device_scalarIT5_EEPKT3_S6_PKS8_SC_S6_SE_S9_SC_S6_SE_SC_PS4_PS8_21rocsparse_index_base_SH_SH_SH_bbb
    .private_segment_fixed_size: 0
    .sgpr_count:     50
    .sgpr_spill_count: 0
    .symbol:         _ZN9rocsparseL27bsrgemm_fill_wf_per_row_2x2ILj256ELj16ELj32ELj137Eii21rocsparse_complex_numIdEEEv20rocsparse_direction_T4_S4_PKS4_S6_NS_24const_host_device_scalarIT5_EEPKT3_S6_PKS8_SC_S6_SE_S9_SC_S6_SE_SC_PS4_PS8_21rocsparse_index_base_SH_SH_SH_bbb.kd
    .uniform_work_group_size: 1
    .uses_dynamic_stack: false
    .vgpr_count:     67
    .vgpr_spill_count: 0
    .wavefront_size: 32
    .workgroup_processor_mode: 1
  - .args:
      - .offset:         0
        .size:           4
        .value_kind:     by_value
      - .offset:         4
        .size:           4
        .value_kind:     by_value
      - .offset:         8
        .size:           4
        .value_kind:     by_value
      - .actual_access:  read_only
        .address_space:  global
        .offset:         16
        .size:           8
        .value_kind:     global_buffer
      - .actual_access:  read_only
        .address_space:  global
        .offset:         24
        .size:           8
        .value_kind:     global_buffer
      - .offset:         32
        .size:           16
        .value_kind:     by_value
      - .actual_access:  read_only
        .address_space:  global
        .offset:         48
        .size:           8
        .value_kind:     global_buffer
      - .actual_access:  read_only
        .address_space:  global
        .offset:         56
        .size:           8
        .value_kind:     global_buffer
      - .actual_access:  read_only
        .address_space:  global
        .offset:         64
        .size:           8
        .value_kind:     global_buffer
      - .actual_access:  read_only
        .address_space:  global
        .offset:         72
        .size:           8
        .value_kind:     global_buffer
      - .actual_access:  read_only
        .address_space:  global
        .offset:         80
        .size:           8
        .value_kind:     global_buffer
      - .actual_access:  read_only
        .address_space:  global
        .offset:         88
        .size:           8
        .value_kind:     global_buffer
      - .offset:         96
        .size:           16
        .value_kind:     by_value
      - .actual_access:  read_only
        .address_space:  global
        .offset:         112
        .size:           8
        .value_kind:     global_buffer
      - .actual_access:  read_only
        .address_space:  global
        .offset:         120
        .size:           8
        .value_kind:     global_buffer
      - .actual_access:  read_only
        .address_space:  global
        .offset:         128
        .size:           8
        .value_kind:     global_buffer
      - .actual_access:  read_only
        .address_space:  global
        .offset:         136
        .size:           8
        .value_kind:     global_buffer
      - .actual_access:  write_only
        .address_space:  global
        .offset:         144
        .size:           8
        .value_kind:     global_buffer
      - .actual_access:  write_only
        .address_space:  global
        .offset:         152
        .size:           8
        .value_kind:     global_buffer
      - .offset:         160
        .size:           4
        .value_kind:     by_value
      - .offset:         164
        .size:           4
        .value_kind:     by_value
      - .offset:         168
        .size:           4
        .value_kind:     by_value
      - .offset:         172
        .size:           4
        .value_kind:     by_value
      - .offset:         176
        .size:           1
        .value_kind:     by_value
      - .offset:         177
        .size:           1
        .value_kind:     by_value
      - .offset:         178
        .size:           1
        .value_kind:     by_value
    .group_segment_fixed_size: 0
    .kernarg_segment_align: 8
    .kernarg_segment_size: 180
    .language:       OpenCL C
    .language_version:
      - 2
      - 0
    .max_flat_workgroup_size: 256
    .name:           _ZN9rocsparseL30bsrgemm_fill_block_per_row_2x2ILj256ELj16ELj64ELj137Eii21rocsparse_complex_numIdEEEv20rocsparse_direction_T4_S4_PKS4_S6_NS_24const_host_device_scalarIT5_EEPKT3_S6_PKS8_SC_S6_SE_S9_SC_S6_SE_SC_PS4_PS8_21rocsparse_index_base_SH_SH_SH_bbb
    .private_segment_fixed_size: 24
    .sgpr_count:     38
    .sgpr_spill_count: 0
    .symbol:         _ZN9rocsparseL30bsrgemm_fill_block_per_row_2x2ILj256ELj16ELj64ELj137Eii21rocsparse_complex_numIdEEEv20rocsparse_direction_T4_S4_PKS4_S6_NS_24const_host_device_scalarIT5_EEPKT3_S6_PKS8_SC_S6_SE_S9_SC_S6_SE_SC_PS4_PS8_21rocsparse_index_base_SH_SH_SH_bbb.kd
    .uniform_work_group_size: 1
    .uses_dynamic_stack: false
    .vgpr_count:     66
    .vgpr_spill_count: 0
    .wavefront_size: 32
    .workgroup_processor_mode: 1
  - .args:
      - .offset:         0
        .size:           4
        .value_kind:     by_value
      - .offset:         4
        .size:           4
        .value_kind:     by_value
      - .offset:         8
        .size:           4
        .value_kind:     by_value
      - .actual_access:  read_only
        .address_space:  global
        .offset:         16
        .size:           8
        .value_kind:     global_buffer
      - .actual_access:  read_only
        .address_space:  global
        .offset:         24
        .size:           8
        .value_kind:     global_buffer
      - .offset:         32
        .size:           16
        .value_kind:     by_value
      - .actual_access:  read_only
        .address_space:  global
        .offset:         48
        .size:           8
        .value_kind:     global_buffer
      - .actual_access:  read_only
        .address_space:  global
        .offset:         56
        .size:           8
        .value_kind:     global_buffer
      - .actual_access:  read_only
        .address_space:  global
        .offset:         64
        .size:           8
        .value_kind:     global_buffer
      - .actual_access:  read_only
        .address_space:  global
        .offset:         72
        .size:           8
        .value_kind:     global_buffer
      - .actual_access:  read_only
        .address_space:  global
        .offset:         80
        .size:           8
        .value_kind:     global_buffer
      - .actual_access:  read_only
        .address_space:  global
        .offset:         88
        .size:           8
        .value_kind:     global_buffer
      - .offset:         96
        .size:           16
        .value_kind:     by_value
      - .actual_access:  read_only
        .address_space:  global
        .offset:         112
        .size:           8
        .value_kind:     global_buffer
      - .actual_access:  read_only
        .address_space:  global
        .offset:         120
        .size:           8
        .value_kind:     global_buffer
      - .actual_access:  read_only
        .address_space:  global
        .offset:         128
        .size:           8
        .value_kind:     global_buffer
      - .actual_access:  read_only
        .address_space:  global
        .offset:         136
        .size:           8
        .value_kind:     global_buffer
      - .actual_access:  write_only
        .address_space:  global
        .offset:         144
        .size:           8
        .value_kind:     global_buffer
      - .actual_access:  write_only
        .address_space:  global
        .offset:         152
        .size:           8
        .value_kind:     global_buffer
      - .offset:         160
        .size:           4
        .value_kind:     by_value
      - .offset:         164
        .size:           4
        .value_kind:     by_value
      - .offset:         168
        .size:           4
        .value_kind:     by_value
      - .offset:         172
        .size:           4
        .value_kind:     by_value
      - .offset:         176
        .size:           1
        .value_kind:     by_value
      - .offset:         177
        .size:           1
        .value_kind:     by_value
      - .offset:         178
        .size:           1
        .value_kind:     by_value
    .group_segment_fixed_size: 0
    .kernarg_segment_align: 8
    .kernarg_segment_size: 180
    .language:       OpenCL C
    .language_version:
      - 2
      - 0
    .max_flat_workgroup_size: 256
    .name:           _ZN9rocsparseL30bsrgemm_fill_block_per_row_2x2ILj256ELj16ELj128ELj137Eii21rocsparse_complex_numIdEEEv20rocsparse_direction_T4_S4_PKS4_S6_NS_24const_host_device_scalarIT5_EEPKT3_S6_PKS8_SC_S6_SE_S9_SC_S6_SE_SC_PS4_PS8_21rocsparse_index_base_SH_SH_SH_bbb
    .private_segment_fixed_size: 24
    .sgpr_count:     48
    .sgpr_spill_count: 0
    .symbol:         _ZN9rocsparseL30bsrgemm_fill_block_per_row_2x2ILj256ELj16ELj128ELj137Eii21rocsparse_complex_numIdEEEv20rocsparse_direction_T4_S4_PKS4_S6_NS_24const_host_device_scalarIT5_EEPKT3_S6_PKS8_SC_S6_SE_S9_SC_S6_SE_SC_PS4_PS8_21rocsparse_index_base_SH_SH_SH_bbb.kd
    .uniform_work_group_size: 1
    .uses_dynamic_stack: false
    .vgpr_count:     58
    .vgpr_spill_count: 0
    .wavefront_size: 32
    .workgroup_processor_mode: 1
  - .args:
      - .offset:         0
        .size:           4
        .value_kind:     by_value
      - .offset:         4
        .size:           4
        .value_kind:     by_value
      - .offset:         8
        .size:           4
        .value_kind:     by_value
      - .actual_access:  read_only
        .address_space:  global
        .offset:         16
        .size:           8
        .value_kind:     global_buffer
      - .actual_access:  read_only
        .address_space:  global
        .offset:         24
        .size:           8
        .value_kind:     global_buffer
      - .offset:         32
        .size:           16
        .value_kind:     by_value
      - .actual_access:  read_only
        .address_space:  global
        .offset:         48
        .size:           8
        .value_kind:     global_buffer
      - .actual_access:  read_only
        .address_space:  global
        .offset:         56
        .size:           8
        .value_kind:     global_buffer
      - .actual_access:  read_only
        .address_space:  global
        .offset:         64
        .size:           8
        .value_kind:     global_buffer
      - .actual_access:  read_only
        .address_space:  global
        .offset:         72
        .size:           8
        .value_kind:     global_buffer
      - .actual_access:  read_only
        .address_space:  global
        .offset:         80
        .size:           8
        .value_kind:     global_buffer
      - .actual_access:  read_only
        .address_space:  global
        .offset:         88
        .size:           8
        .value_kind:     global_buffer
      - .offset:         96
        .size:           16
        .value_kind:     by_value
      - .actual_access:  read_only
        .address_space:  global
        .offset:         112
        .size:           8
        .value_kind:     global_buffer
      - .actual_access:  read_only
        .address_space:  global
        .offset:         120
        .size:           8
        .value_kind:     global_buffer
      - .actual_access:  read_only
        .address_space:  global
        .offset:         128
        .size:           8
        .value_kind:     global_buffer
      - .actual_access:  read_only
        .address_space:  global
        .offset:         136
        .size:           8
        .value_kind:     global_buffer
      - .actual_access:  write_only
        .address_space:  global
        .offset:         144
        .size:           8
        .value_kind:     global_buffer
      - .actual_access:  write_only
        .address_space:  global
        .offset:         152
        .size:           8
        .value_kind:     global_buffer
      - .offset:         160
        .size:           4
        .value_kind:     by_value
      - .offset:         164
        .size:           4
        .value_kind:     by_value
      - .offset:         168
        .size:           4
        .value_kind:     by_value
      - .offset:         172
        .size:           4
        .value_kind:     by_value
      - .offset:         176
        .size:           1
        .value_kind:     by_value
      - .offset:         177
        .size:           1
        .value_kind:     by_value
      - .offset:         178
        .size:           1
        .value_kind:     by_value
    .group_segment_fixed_size: 0
    .kernarg_segment_align: 8
    .kernarg_segment_size: 180
    .language:       OpenCL C
    .language_version:
      - 2
      - 0
    .max_flat_workgroup_size: 256
    .name:           _ZN9rocsparseL30bsrgemm_fill_block_per_row_2x2ILj256ELj16ELj256ELj137Eii21rocsparse_complex_numIdEEEv20rocsparse_direction_T4_S4_PKS4_S6_NS_24const_host_device_scalarIT5_EEPKT3_S6_PKS8_SC_S6_SE_S9_SC_S6_SE_SC_PS4_PS8_21rocsparse_index_base_SH_SH_SH_bbb
    .private_segment_fixed_size: 24
    .sgpr_count:     48
    .sgpr_spill_count: 0
    .symbol:         _ZN9rocsparseL30bsrgemm_fill_block_per_row_2x2ILj256ELj16ELj256ELj137Eii21rocsparse_complex_numIdEEEv20rocsparse_direction_T4_S4_PKS4_S6_NS_24const_host_device_scalarIT5_EEPKT3_S6_PKS8_SC_S6_SE_S9_SC_S6_SE_SC_PS4_PS8_21rocsparse_index_base_SH_SH_SH_bbb.kd
    .uniform_work_group_size: 1
    .uses_dynamic_stack: false
    .vgpr_count:     58
    .vgpr_spill_count: 0
    .wavefront_size: 32
    .workgroup_processor_mode: 1
  - .args:
      - .offset:         0
        .size:           4
        .value_kind:     by_value
      - .offset:         4
        .size:           4
        .value_kind:     by_value
      - .offset:         8
        .size:           4
        .value_kind:     by_value
      - .actual_access:  read_only
        .address_space:  global
        .offset:         16
        .size:           8
        .value_kind:     global_buffer
      - .actual_access:  read_only
        .address_space:  global
        .offset:         24
        .size:           8
        .value_kind:     global_buffer
      - .offset:         32
        .size:           16
        .value_kind:     by_value
      - .actual_access:  read_only
        .address_space:  global
        .offset:         48
        .size:           8
        .value_kind:     global_buffer
      - .actual_access:  read_only
        .address_space:  global
        .offset:         56
        .size:           8
        .value_kind:     global_buffer
      - .actual_access:  read_only
        .address_space:  global
        .offset:         64
        .size:           8
        .value_kind:     global_buffer
      - .actual_access:  read_only
        .address_space:  global
        .offset:         72
        .size:           8
        .value_kind:     global_buffer
      - .actual_access:  read_only
        .address_space:  global
        .offset:         80
        .size:           8
        .value_kind:     global_buffer
      - .actual_access:  read_only
        .address_space:  global
        .offset:         88
        .size:           8
        .value_kind:     global_buffer
      - .offset:         96
        .size:           16
        .value_kind:     by_value
      - .actual_access:  read_only
        .address_space:  global
        .offset:         112
        .size:           8
        .value_kind:     global_buffer
      - .actual_access:  read_only
        .address_space:  global
        .offset:         120
        .size:           8
        .value_kind:     global_buffer
      - .actual_access:  read_only
        .address_space:  global
        .offset:         128
        .size:           8
        .value_kind:     global_buffer
      - .actual_access:  read_only
        .address_space:  global
        .offset:         136
        .size:           8
        .value_kind:     global_buffer
      - .actual_access:  write_only
        .address_space:  global
        .offset:         144
        .size:           8
        .value_kind:     global_buffer
      - .actual_access:  write_only
        .address_space:  global
        .offset:         152
        .size:           8
        .value_kind:     global_buffer
      - .address_space:  global
        .offset:         160
        .size:           8
        .value_kind:     global_buffer
      - .offset:         168
        .size:           4
        .value_kind:     by_value
      - .offset:         172
        .size:           4
        .value_kind:     by_value
      - .offset:         176
        .size:           4
        .value_kind:     by_value
      - .offset:         180
        .size:           4
        .value_kind:     by_value
      - .offset:         184
        .size:           1
        .value_kind:     by_value
      - .offset:         185
        .size:           1
        .value_kind:     by_value
      - .offset:         186
        .size:           1
        .value_kind:     by_value
    .group_segment_fixed_size: 21512
    .kernarg_segment_align: 8
    .kernarg_segment_size: 188
    .language:       OpenCL C
    .language_version:
      - 2
      - 0
    .max_flat_workgroup_size: 256
    .name:           _ZN9rocsparseL38bsrgemm_block_per_row_atomic_multipassILj256ELj256ELj2Eii21rocsparse_complex_numIdEEEv20rocsparse_direction_T3_S4_PKS4_S6_NS_24const_host_device_scalarIT4_EEPKT2_S6_PKS8_SC_S6_SE_S9_SC_S6_SE_SC_PS4_PS8_PSA_21rocsparse_index_base_SI_SI_SI_bbb
    .private_segment_fixed_size: 24
    .sgpr_count:     64
    .sgpr_spill_count: 0
    .symbol:         _ZN9rocsparseL38bsrgemm_block_per_row_atomic_multipassILj256ELj256ELj2Eii21rocsparse_complex_numIdEEEv20rocsparse_direction_T3_S4_PKS4_S6_NS_24const_host_device_scalarIT4_EEPKT2_S6_PKS8_SC_S6_SE_S9_SC_S6_SE_SC_PS4_PS8_PSA_21rocsparse_index_base_SI_SI_SI_bbb.kd
    .uniform_work_group_size: 1
    .uses_dynamic_stack: false
    .vgpr_count:     65
    .vgpr_spill_count: 0
    .wavefront_size: 32
    .workgroup_processor_mode: 1
  - .args:
      - .offset:         0
        .size:           4
        .value_kind:     by_value
      - .offset:         4
        .size:           4
        .value_kind:     by_value
      - .offset:         8
        .size:           4
        .value_kind:     by_value
      - .offset:         12
        .size:           4
        .value_kind:     by_value
      - .actual_access:  read_only
        .address_space:  global
        .offset:         16
        .size:           8
        .value_kind:     global_buffer
      - .actual_access:  read_only
        .address_space:  global
        .offset:         24
        .size:           8
        .value_kind:     global_buffer
      - .offset:         32
        .size:           16
        .value_kind:     by_value
      - .actual_access:  read_only
        .address_space:  global
        .offset:         48
        .size:           8
        .value_kind:     global_buffer
      - .actual_access:  read_only
        .address_space:  global
        .offset:         56
        .size:           8
        .value_kind:     global_buffer
      - .actual_access:  read_only
        .address_space:  global
        .offset:         64
        .size:           8
        .value_kind:     global_buffer
      - .actual_access:  read_only
        .address_space:  global
        .offset:         72
        .size:           8
        .value_kind:     global_buffer
      - .actual_access:  read_only
        .address_space:  global
        .offset:         80
        .size:           8
        .value_kind:     global_buffer
      - .actual_access:  read_only
        .address_space:  global
        .offset:         88
        .size:           8
        .value_kind:     global_buffer
      - .offset:         96
        .size:           16
        .value_kind:     by_value
      - .actual_access:  read_only
        .address_space:  global
        .offset:         112
        .size:           8
        .value_kind:     global_buffer
      - .actual_access:  read_only
        .address_space:  global
        .offset:         120
        .size:           8
        .value_kind:     global_buffer
      - .actual_access:  read_only
        .address_space:  global
        .offset:         128
        .size:           8
        .value_kind:     global_buffer
      - .actual_access:  read_only
        .address_space:  global
        .offset:         136
        .size:           8
        .value_kind:     global_buffer
      - .actual_access:  write_only
        .address_space:  global
        .offset:         144
        .size:           8
        .value_kind:     global_buffer
      - .actual_access:  write_only
        .address_space:  global
        .offset:         152
        .size:           8
        .value_kind:     global_buffer
      - .offset:         160
        .size:           4
        .value_kind:     by_value
      - .offset:         164
        .size:           4
        .value_kind:     by_value
      - .offset:         168
        .size:           4
        .value_kind:     by_value
      - .offset:         172
        .size:           4
        .value_kind:     by_value
      - .offset:         176
        .size:           1
        .value_kind:     by_value
      - .offset:         177
        .size:           1
        .value_kind:     by_value
      - .offset:         178
        .size:           1
        .value_kind:     by_value
    .group_segment_fixed_size: 12416
    .kernarg_segment_align: 8
    .kernarg_segment_size: 180
    .language:       OpenCL C
    .language_version:
      - 2
      - 0
    .max_flat_workgroup_size: 256
    .name:           _ZN9rocsparseL23bsrgemm_fill_wf_per_rowILj256ELj64ELj8ELj137ELj4Eii21rocsparse_complex_numIdEEEv20rocsparse_direction_T5_S4_S4_PKS4_S6_NS_24const_host_device_scalarIT6_EEPKT4_S6_PKS8_SC_S6_SE_S9_SC_S6_SE_SC_PS4_PS8_21rocsparse_index_base_SH_SH_SH_bbb
    .private_segment_fixed_size: 0
    .sgpr_count:     53
    .sgpr_spill_count: 0
    .symbol:         _ZN9rocsparseL23bsrgemm_fill_wf_per_rowILj256ELj64ELj8ELj137ELj4Eii21rocsparse_complex_numIdEEEv20rocsparse_direction_T5_S4_S4_PKS4_S6_NS_24const_host_device_scalarIT6_EEPKT4_S6_PKS8_SC_S6_SE_S9_SC_S6_SE_SC_PS4_PS8_21rocsparse_index_base_SH_SH_SH_bbb.kd
    .uniform_work_group_size: 1
    .uses_dynamic_stack: false
    .vgpr_count:     48
    .vgpr_spill_count: 0
    .wavefront_size: 32
    .workgroup_processor_mode: 1
  - .args:
      - .offset:         0
        .size:           4
        .value_kind:     by_value
      - .offset:         4
        .size:           4
        .value_kind:     by_value
      - .offset:         8
        .size:           4
        .value_kind:     by_value
      - .offset:         12
        .size:           4
        .value_kind:     by_value
      - .actual_access:  read_only
        .address_space:  global
        .offset:         16
        .size:           8
        .value_kind:     global_buffer
      - .actual_access:  read_only
        .address_space:  global
        .offset:         24
        .size:           8
        .value_kind:     global_buffer
      - .offset:         32
        .size:           16
        .value_kind:     by_value
      - .actual_access:  read_only
        .address_space:  global
        .offset:         48
        .size:           8
        .value_kind:     global_buffer
      - .actual_access:  read_only
        .address_space:  global
        .offset:         56
        .size:           8
        .value_kind:     global_buffer
      - .actual_access:  read_only
        .address_space:  global
        .offset:         64
        .size:           8
        .value_kind:     global_buffer
      - .actual_access:  read_only
        .address_space:  global
        .offset:         72
        .size:           8
        .value_kind:     global_buffer
      - .actual_access:  read_only
        .address_space:  global
        .offset:         80
        .size:           8
        .value_kind:     global_buffer
      - .actual_access:  read_only
        .address_space:  global
        .offset:         88
        .size:           8
        .value_kind:     global_buffer
      - .offset:         96
        .size:           16
        .value_kind:     by_value
      - .actual_access:  read_only
        .address_space:  global
        .offset:         112
        .size:           8
        .value_kind:     global_buffer
      - .actual_access:  read_only
        .address_space:  global
        .offset:         120
        .size:           8
        .value_kind:     global_buffer
      - .actual_access:  read_only
        .address_space:  global
        .offset:         128
        .size:           8
        .value_kind:     global_buffer
      - .actual_access:  read_only
        .address_space:  global
        .offset:         136
        .size:           8
        .value_kind:     global_buffer
      - .actual_access:  write_only
        .address_space:  global
        .offset:         144
        .size:           8
        .value_kind:     global_buffer
      - .actual_access:  write_only
        .address_space:  global
        .offset:         152
        .size:           8
        .value_kind:     global_buffer
      - .offset:         160
        .size:           4
        .value_kind:     by_value
      - .offset:         164
        .size:           4
        .value_kind:     by_value
      - .offset:         168
        .size:           4
        .value_kind:     by_value
      - .offset:         172
        .size:           4
        .value_kind:     by_value
      - .offset:         176
        .size:           1
        .value_kind:     by_value
      - .offset:         177
        .size:           1
        .value_kind:     by_value
      - .offset:         178
        .size:           1
        .value_kind:     by_value
    .group_segment_fixed_size: 18688
    .kernarg_segment_align: 8
    .kernarg_segment_size: 180
    .language:       OpenCL C
    .language_version:
      - 2
      - 0
    .max_flat_workgroup_size: 256
    .name:           _ZN9rocsparseL23bsrgemm_fill_wf_per_rowILj256ELj64ELj16ELj137ELj4Eii21rocsparse_complex_numIdEEEv20rocsparse_direction_T5_S4_S4_PKS4_S6_NS_24const_host_device_scalarIT6_EEPKT4_S6_PKS8_SC_S6_SE_S9_SC_S6_SE_SC_PS4_PS8_21rocsparse_index_base_SH_SH_SH_bbb
    .private_segment_fixed_size: 16
    .sgpr_count:     53
    .sgpr_spill_count: 0
    .symbol:         _ZN9rocsparseL23bsrgemm_fill_wf_per_rowILj256ELj64ELj16ELj137ELj4Eii21rocsparse_complex_numIdEEEv20rocsparse_direction_T5_S4_S4_PKS4_S6_NS_24const_host_device_scalarIT6_EEPKT4_S6_PKS8_SC_S6_SE_S9_SC_S6_SE_SC_PS4_PS8_21rocsparse_index_base_SH_SH_SH_bbb.kd
    .uniform_work_group_size: 1
    .uses_dynamic_stack: false
    .vgpr_count:     48
    .vgpr_spill_count: 0
    .wavefront_size: 32
    .workgroup_processor_mode: 1
  - .args:
      - .offset:         0
        .size:           4
        .value_kind:     by_value
      - .offset:         4
        .size:           4
        .value_kind:     by_value
      - .offset:         8
        .size:           4
        .value_kind:     by_value
      - .actual_access:  read_only
        .address_space:  global
        .offset:         16
        .size:           8
        .value_kind:     global_buffer
      - .actual_access:  read_only
        .address_space:  global
        .offset:         24
        .size:           8
        .value_kind:     global_buffer
      - .offset:         32
        .size:           16
        .value_kind:     by_value
      - .actual_access:  read_only
        .address_space:  global
        .offset:         48
        .size:           8
        .value_kind:     global_buffer
      - .actual_access:  read_only
        .address_space:  global
        .offset:         56
        .size:           8
        .value_kind:     global_buffer
      - .actual_access:  read_only
        .address_space:  global
        .offset:         64
        .size:           8
        .value_kind:     global_buffer
      - .actual_access:  read_only
        .address_space:  global
        .offset:         72
        .size:           8
        .value_kind:     global_buffer
      - .actual_access:  read_only
        .address_space:  global
        .offset:         80
        .size:           8
        .value_kind:     global_buffer
      - .actual_access:  read_only
        .address_space:  global
        .offset:         88
        .size:           8
        .value_kind:     global_buffer
      - .offset:         96
        .size:           16
        .value_kind:     by_value
      - .actual_access:  read_only
        .address_space:  global
        .offset:         112
        .size:           8
        .value_kind:     global_buffer
      - .actual_access:  read_only
        .address_space:  global
        .offset:         120
        .size:           8
        .value_kind:     global_buffer
      - .actual_access:  read_only
        .address_space:  global
        .offset:         128
        .size:           8
        .value_kind:     global_buffer
      - .actual_access:  read_only
        .address_space:  global
        .offset:         136
        .size:           8
        .value_kind:     global_buffer
      - .actual_access:  write_only
        .address_space:  global
        .offset:         144
        .size:           8
        .value_kind:     global_buffer
      - .actual_access:  write_only
        .address_space:  global
        .offset:         152
        .size:           8
        .value_kind:     global_buffer
      - .address_space:  global
        .offset:         160
        .size:           8
        .value_kind:     global_buffer
      - .offset:         168
        .size:           4
        .value_kind:     by_value
      - .offset:         172
        .size:           4
        .value_kind:     by_value
      - .offset:         176
        .size:           4
        .value_kind:     by_value
      - .offset:         180
        .size:           4
        .value_kind:     by_value
      - .offset:         184
        .size:           1
        .value_kind:     by_value
      - .offset:         185
        .size:           1
        .value_kind:     by_value
      - .offset:         186
        .size:           1
        .value_kind:     by_value
    .group_segment_fixed_size: 14472
    .kernarg_segment_align: 8
    .kernarg_segment_size: 188
    .language:       OpenCL C
    .language_version:
      - 2
      - 0
    .max_flat_workgroup_size: 256
    .name:           _ZN9rocsparseL38bsrgemm_block_per_row_atomic_multipassILj256ELj32ELj4Eii21rocsparse_complex_numIdEEEv20rocsparse_direction_T3_S4_PKS4_S6_NS_24const_host_device_scalarIT4_EEPKT2_S6_PKS8_SC_S6_SE_S9_SC_S6_SE_SC_PS4_PS8_PSA_21rocsparse_index_base_SI_SI_SI_bbb
    .private_segment_fixed_size: 16
    .sgpr_count:     61
    .sgpr_spill_count: 0
    .symbol:         _ZN9rocsparseL38bsrgemm_block_per_row_atomic_multipassILj256ELj32ELj4Eii21rocsparse_complex_numIdEEEv20rocsparse_direction_T3_S4_PKS4_S6_NS_24const_host_device_scalarIT4_EEPKT2_S6_PKS8_SC_S6_SE_S9_SC_S6_SE_SC_PS4_PS8_PSA_21rocsparse_index_base_SI_SI_SI_bbb.kd
    .uniform_work_group_size: 1
    .uses_dynamic_stack: false
    .vgpr_count:     61
    .vgpr_spill_count: 0
    .wavefront_size: 32
    .workgroup_processor_mode: 1
  - .args:
      - .offset:         0
        .size:           4
        .value_kind:     by_value
      - .offset:         4
        .size:           4
        .value_kind:     by_value
      - .offset:         8
        .size:           4
        .value_kind:     by_value
      - .actual_access:  read_only
        .address_space:  global
        .offset:         16
        .size:           8
        .value_kind:     global_buffer
      - .actual_access:  read_only
        .address_space:  global
        .offset:         24
        .size:           8
        .value_kind:     global_buffer
      - .offset:         32
        .size:           16
        .value_kind:     by_value
      - .actual_access:  read_only
        .address_space:  global
        .offset:         48
        .size:           8
        .value_kind:     global_buffer
      - .actual_access:  read_only
        .address_space:  global
        .offset:         56
        .size:           8
        .value_kind:     global_buffer
      - .actual_access:  read_only
        .address_space:  global
        .offset:         64
        .size:           8
        .value_kind:     global_buffer
      - .actual_access:  read_only
        .address_space:  global
        .offset:         72
        .size:           8
        .value_kind:     global_buffer
      - .actual_access:  read_only
        .address_space:  global
        .offset:         80
        .size:           8
        .value_kind:     global_buffer
      - .actual_access:  read_only
        .address_space:  global
        .offset:         88
        .size:           8
        .value_kind:     global_buffer
      - .offset:         96
        .size:           16
        .value_kind:     by_value
      - .actual_access:  read_only
        .address_space:  global
        .offset:         112
        .size:           8
        .value_kind:     global_buffer
      - .actual_access:  read_only
        .address_space:  global
        .offset:         120
        .size:           8
        .value_kind:     global_buffer
      - .actual_access:  read_only
        .address_space:  global
        .offset:         128
        .size:           8
        .value_kind:     global_buffer
      - .actual_access:  read_only
        .address_space:  global
        .offset:         136
        .size:           8
        .value_kind:     global_buffer
      - .actual_access:  write_only
        .address_space:  global
        .offset:         144
        .size:           8
        .value_kind:     global_buffer
      - .actual_access:  write_only
        .address_space:  global
        .offset:         152
        .size:           8
        .value_kind:     global_buffer
      - .address_space:  global
        .offset:         160
        .size:           8
        .value_kind:     global_buffer
      - .offset:         168
        .size:           4
        .value_kind:     by_value
      - .offset:         172
        .size:           4
        .value_kind:     by_value
      - .offset:         176
        .size:           4
        .value_kind:     by_value
      - .offset:         180
        .size:           4
        .value_kind:     by_value
      - .offset:         184
        .size:           1
        .value_kind:     by_value
      - .offset:         185
        .size:           1
        .value_kind:     by_value
      - .offset:         186
        .size:           1
        .value_kind:     by_value
    .group_segment_fixed_size: 20744
    .kernarg_segment_align: 8
    .kernarg_segment_size: 188
    .language:       OpenCL C
    .language_version:
      - 2
      - 0
    .max_flat_workgroup_size: 256
    .name:           _ZN9rocsparseL38bsrgemm_block_per_row_atomic_multipassILj256ELj64ELj4Eii21rocsparse_complex_numIdEEEv20rocsparse_direction_T3_S4_PKS4_S6_NS_24const_host_device_scalarIT4_EEPKT2_S6_PKS8_SC_S6_SE_S9_SC_S6_SE_SC_PS4_PS8_PSA_21rocsparse_index_base_SI_SI_SI_bbb
    .private_segment_fixed_size: 24
    .sgpr_count:     62
    .sgpr_spill_count: 0
    .symbol:         _ZN9rocsparseL38bsrgemm_block_per_row_atomic_multipassILj256ELj64ELj4Eii21rocsparse_complex_numIdEEEv20rocsparse_direction_T3_S4_PKS4_S6_NS_24const_host_device_scalarIT4_EEPKT2_S6_PKS8_SC_S6_SE_S9_SC_S6_SE_SC_PS4_PS8_PSA_21rocsparse_index_base_SI_SI_SI_bbb.kd
    .uniform_work_group_size: 1
    .uses_dynamic_stack: false
    .vgpr_count:     63
    .vgpr_spill_count: 0
    .wavefront_size: 32
    .workgroup_processor_mode: 1
  - .args:
      - .offset:         0
        .size:           4
        .value_kind:     by_value
      - .offset:         4
        .size:           4
        .value_kind:     by_value
      - .offset:         8
        .size:           4
        .value_kind:     by_value
      - .actual_access:  read_only
        .address_space:  global
        .offset:         16
        .size:           8
        .value_kind:     global_buffer
      - .actual_access:  read_only
        .address_space:  global
        .offset:         24
        .size:           8
        .value_kind:     global_buffer
      - .offset:         32
        .size:           16
        .value_kind:     by_value
      - .actual_access:  read_only
        .address_space:  global
        .offset:         48
        .size:           8
        .value_kind:     global_buffer
      - .actual_access:  read_only
        .address_space:  global
        .offset:         56
        .size:           8
        .value_kind:     global_buffer
      - .actual_access:  read_only
        .address_space:  global
        .offset:         64
        .size:           8
        .value_kind:     global_buffer
      - .actual_access:  read_only
        .address_space:  global
        .offset:         72
        .size:           8
        .value_kind:     global_buffer
      - .actual_access:  read_only
        .address_space:  global
        .offset:         80
        .size:           8
        .value_kind:     global_buffer
      - .actual_access:  read_only
        .address_space:  global
        .offset:         88
        .size:           8
        .value_kind:     global_buffer
      - .offset:         96
        .size:           16
        .value_kind:     by_value
      - .actual_access:  read_only
        .address_space:  global
        .offset:         112
        .size:           8
        .value_kind:     global_buffer
      - .actual_access:  read_only
        .address_space:  global
        .offset:         120
        .size:           8
        .value_kind:     global_buffer
      - .actual_access:  read_only
        .address_space:  global
        .offset:         128
        .size:           8
        .value_kind:     global_buffer
      - .actual_access:  read_only
        .address_space:  global
        .offset:         136
        .size:           8
        .value_kind:     global_buffer
      - .actual_access:  write_only
        .address_space:  global
        .offset:         144
        .size:           8
        .value_kind:     global_buffer
      - .actual_access:  write_only
        .address_space:  global
        .offset:         152
        .size:           8
        .value_kind:     global_buffer
      - .address_space:  global
        .offset:         160
        .size:           8
        .value_kind:     global_buffer
      - .offset:         168
        .size:           4
        .value_kind:     by_value
      - .offset:         172
        .size:           4
        .value_kind:     by_value
      - .offset:         176
        .size:           4
        .value_kind:     by_value
      - .offset:         180
        .size:           4
        .value_kind:     by_value
      - .offset:         184
        .size:           1
        .value_kind:     by_value
      - .offset:         185
        .size:           1
        .value_kind:     by_value
      - .offset:         186
        .size:           1
        .value_kind:     by_value
    .group_segment_fixed_size: 41480
    .kernarg_segment_align: 8
    .kernarg_segment_size: 188
    .language:       OpenCL C
    .language_version:
      - 2
      - 0
    .max_flat_workgroup_size: 256
    .name:           _ZN9rocsparseL38bsrgemm_block_per_row_atomic_multipassILj256ELj128ELj4Eii21rocsparse_complex_numIdEEEv20rocsparse_direction_T3_S4_PKS4_S6_NS_24const_host_device_scalarIT4_EEPKT2_S6_PKS8_SC_S6_SE_S9_SC_S6_SE_SC_PS4_PS8_PSA_21rocsparse_index_base_SI_SI_SI_bbb
    .private_segment_fixed_size: 0
    .sgpr_count:     64
    .sgpr_spill_count: 0
    .symbol:         _ZN9rocsparseL38bsrgemm_block_per_row_atomic_multipassILj256ELj128ELj4Eii21rocsparse_complex_numIdEEEv20rocsparse_direction_T3_S4_PKS4_S6_NS_24const_host_device_scalarIT4_EEPKT2_S6_PKS8_SC_S6_SE_S9_SC_S6_SE_SC_PS4_PS8_PSA_21rocsparse_index_base_SI_SI_SI_bbb.kd
    .uniform_work_group_size: 1
    .uses_dynamic_stack: false
    .vgpr_count:     65
    .vgpr_spill_count: 0
    .wavefront_size: 32
    .workgroup_processor_mode: 1
  - .args:
      - .offset:         0
        .size:           4
        .value_kind:     by_value
      - .offset:         4
        .size:           4
        .value_kind:     by_value
      - .offset:         8
        .size:           4
        .value_kind:     by_value
      - .offset:         12
        .size:           4
        .value_kind:     by_value
      - .actual_access:  read_only
        .address_space:  global
        .offset:         16
        .size:           8
        .value_kind:     global_buffer
      - .actual_access:  read_only
        .address_space:  global
        .offset:         24
        .size:           8
        .value_kind:     global_buffer
      - .offset:         32
        .size:           16
        .value_kind:     by_value
      - .actual_access:  read_only
        .address_space:  global
        .offset:         48
        .size:           8
        .value_kind:     global_buffer
      - .actual_access:  read_only
        .address_space:  global
        .offset:         56
        .size:           8
        .value_kind:     global_buffer
      - .actual_access:  read_only
        .address_space:  global
        .offset:         64
        .size:           8
        .value_kind:     global_buffer
      - .actual_access:  read_only
        .address_space:  global
        .offset:         72
        .size:           8
        .value_kind:     global_buffer
      - .actual_access:  read_only
        .address_space:  global
        .offset:         80
        .size:           8
        .value_kind:     global_buffer
      - .actual_access:  read_only
        .address_space:  global
        .offset:         88
        .size:           8
        .value_kind:     global_buffer
      - .offset:         96
        .size:           16
        .value_kind:     by_value
      - .actual_access:  read_only
        .address_space:  global
        .offset:         112
        .size:           8
        .value_kind:     global_buffer
      - .actual_access:  read_only
        .address_space:  global
        .offset:         120
        .size:           8
        .value_kind:     global_buffer
      - .actual_access:  read_only
        .address_space:  global
        .offset:         128
        .size:           8
        .value_kind:     global_buffer
      - .actual_access:  read_only
        .address_space:  global
        .offset:         136
        .size:           8
        .value_kind:     global_buffer
      - .actual_access:  write_only
        .address_space:  global
        .offset:         144
        .size:           8
        .value_kind:     global_buffer
      - .actual_access:  write_only
        .address_space:  global
        .offset:         152
        .size:           8
        .value_kind:     global_buffer
      - .offset:         160
        .size:           4
        .value_kind:     by_value
      - .offset:         164
        .size:           4
        .value_kind:     by_value
      - .offset:         168
        .size:           4
        .value_kind:     by_value
      - .offset:         172
        .size:           4
        .value_kind:     by_value
      - .offset:         176
        .size:           1
        .value_kind:     by_value
      - .offset:         177
        .size:           1
        .value_kind:     by_value
      - .offset:         178
        .size:           1
        .value_kind:     by_value
    .group_segment_fixed_size: 36992
    .kernarg_segment_align: 8
    .kernarg_segment_size: 180
    .language:       OpenCL C
    .language_version:
      - 2
      - 0
    .max_flat_workgroup_size: 256
    .name:           _ZN9rocsparseL23bsrgemm_fill_wf_per_rowILj256ELj64ELj8ELj137ELj8Eii21rocsparse_complex_numIdEEEv20rocsparse_direction_T5_S4_S4_PKS4_S6_NS_24const_host_device_scalarIT6_EEPKT4_S6_PKS8_SC_S6_SE_S9_SC_S6_SE_SC_PS4_PS8_21rocsparse_index_base_SH_SH_SH_bbb
    .private_segment_fixed_size: 0
    .sgpr_count:     52
    .sgpr_spill_count: 0
    .symbol:         _ZN9rocsparseL23bsrgemm_fill_wf_per_rowILj256ELj64ELj8ELj137ELj8Eii21rocsparse_complex_numIdEEEv20rocsparse_direction_T5_S4_S4_PKS4_S6_NS_24const_host_device_scalarIT6_EEPKT4_S6_PKS8_SC_S6_SE_S9_SC_S6_SE_SC_PS4_PS8_21rocsparse_index_base_SH_SH_SH_bbb.kd
    .uniform_work_group_size: 1
    .uses_dynamic_stack: false
    .vgpr_count:     46
    .vgpr_spill_count: 0
    .wavefront_size: 32
    .workgroup_processor_mode: 1
  - .args:
      - .offset:         0
        .size:           4
        .value_kind:     by_value
      - .offset:         4
        .size:           4
        .value_kind:     by_value
      - .offset:         8
        .size:           4
        .value_kind:     by_value
      - .actual_access:  read_only
        .address_space:  global
        .offset:         16
        .size:           8
        .value_kind:     global_buffer
      - .actual_access:  read_only
        .address_space:  global
        .offset:         24
        .size:           8
        .value_kind:     global_buffer
      - .offset:         32
        .size:           16
        .value_kind:     by_value
      - .actual_access:  read_only
        .address_space:  global
        .offset:         48
        .size:           8
        .value_kind:     global_buffer
      - .actual_access:  read_only
        .address_space:  global
        .offset:         56
        .size:           8
        .value_kind:     global_buffer
      - .actual_access:  read_only
        .address_space:  global
        .offset:         64
        .size:           8
        .value_kind:     global_buffer
      - .actual_access:  read_only
        .address_space:  global
        .offset:         72
        .size:           8
        .value_kind:     global_buffer
      - .actual_access:  read_only
        .address_space:  global
        .offset:         80
        .size:           8
        .value_kind:     global_buffer
      - .actual_access:  read_only
        .address_space:  global
        .offset:         88
        .size:           8
        .value_kind:     global_buffer
      - .offset:         96
        .size:           16
        .value_kind:     by_value
      - .actual_access:  read_only
        .address_space:  global
        .offset:         112
        .size:           8
        .value_kind:     global_buffer
      - .actual_access:  read_only
        .address_space:  global
        .offset:         120
        .size:           8
        .value_kind:     global_buffer
      - .actual_access:  read_only
        .address_space:  global
        .offset:         128
        .size:           8
        .value_kind:     global_buffer
      - .actual_access:  read_only
        .address_space:  global
        .offset:         136
        .size:           8
        .value_kind:     global_buffer
      - .actual_access:  write_only
        .address_space:  global
        .offset:         144
        .size:           8
        .value_kind:     global_buffer
      - .actual_access:  write_only
        .address_space:  global
        .offset:         152
        .size:           8
        .value_kind:     global_buffer
      - .address_space:  global
        .offset:         160
        .size:           8
        .value_kind:     global_buffer
      - .offset:         168
        .size:           4
        .value_kind:     by_value
      - .offset:         172
        .size:           4
        .value_kind:     by_value
      - .offset:         176
        .size:           4
        .value_kind:     by_value
      - .offset:         180
        .size:           4
        .value_kind:     by_value
      - .offset:         184
        .size:           1
        .value_kind:     by_value
      - .offset:         185
        .size:           1
        .value_kind:     by_value
      - .offset:         186
        .size:           1
        .value_kind:     by_value
    .group_segment_fixed_size: 20552
    .kernarg_segment_align: 8
    .kernarg_segment_size: 188
    .language:       OpenCL C
    .language_version:
      - 2
      - 0
    .max_flat_workgroup_size: 256
    .name:           _ZN9rocsparseL38bsrgemm_block_per_row_atomic_multipassILj256ELj16ELj8Eii21rocsparse_complex_numIdEEEv20rocsparse_direction_T3_S4_PKS4_S6_NS_24const_host_device_scalarIT4_EEPKT2_S6_PKS8_SC_S6_SE_S9_SC_S6_SE_SC_PS4_PS8_PSA_21rocsparse_index_base_SI_SI_SI_bbb
    .private_segment_fixed_size: 24
    .sgpr_count:     60
    .sgpr_spill_count: 0
    .symbol:         _ZN9rocsparseL38bsrgemm_block_per_row_atomic_multipassILj256ELj16ELj8Eii21rocsparse_complex_numIdEEEv20rocsparse_direction_T3_S4_PKS4_S6_NS_24const_host_device_scalarIT4_EEPKT2_S6_PKS8_SC_S6_SE_S9_SC_S6_SE_SC_PS4_PS8_PSA_21rocsparse_index_base_SI_SI_SI_bbb.kd
    .uniform_work_group_size: 1
    .uses_dynamic_stack: false
    .vgpr_count:     61
    .vgpr_spill_count: 0
    .wavefront_size: 32
    .workgroup_processor_mode: 1
  - .args:
      - .offset:         0
        .size:           4
        .value_kind:     by_value
      - .offset:         4
        .size:           4
        .value_kind:     by_value
      - .offset:         8
        .size:           4
        .value_kind:     by_value
      - .actual_access:  read_only
        .address_space:  global
        .offset:         16
        .size:           8
        .value_kind:     global_buffer
      - .actual_access:  read_only
        .address_space:  global
        .offset:         24
        .size:           8
        .value_kind:     global_buffer
      - .offset:         32
        .size:           16
        .value_kind:     by_value
      - .actual_access:  read_only
        .address_space:  global
        .offset:         48
        .size:           8
        .value_kind:     global_buffer
      - .actual_access:  read_only
        .address_space:  global
        .offset:         56
        .size:           8
        .value_kind:     global_buffer
      - .actual_access:  read_only
        .address_space:  global
        .offset:         64
        .size:           8
        .value_kind:     global_buffer
      - .actual_access:  read_only
        .address_space:  global
        .offset:         72
        .size:           8
        .value_kind:     global_buffer
      - .actual_access:  read_only
        .address_space:  global
        .offset:         80
        .size:           8
        .value_kind:     global_buffer
      - .actual_access:  read_only
        .address_space:  global
        .offset:         88
        .size:           8
        .value_kind:     global_buffer
      - .offset:         96
        .size:           16
        .value_kind:     by_value
      - .actual_access:  read_only
        .address_space:  global
        .offset:         112
        .size:           8
        .value_kind:     global_buffer
      - .actual_access:  read_only
        .address_space:  global
        .offset:         120
        .size:           8
        .value_kind:     global_buffer
      - .actual_access:  read_only
        .address_space:  global
        .offset:         128
        .size:           8
        .value_kind:     global_buffer
      - .actual_access:  read_only
        .address_space:  global
        .offset:         136
        .size:           8
        .value_kind:     global_buffer
      - .actual_access:  write_only
        .address_space:  global
        .offset:         144
        .size:           8
        .value_kind:     global_buffer
      - .actual_access:  write_only
        .address_space:  global
        .offset:         152
        .size:           8
        .value_kind:     global_buffer
      - .address_space:  global
        .offset:         160
        .size:           8
        .value_kind:     global_buffer
      - .offset:         168
        .size:           4
        .value_kind:     by_value
      - .offset:         172
        .size:           4
        .value_kind:     by_value
      - .offset:         176
        .size:           4
        .value_kind:     by_value
      - .offset:         180
        .size:           4
        .value_kind:     by_value
      - .offset:         184
        .size:           1
        .value_kind:     by_value
      - .offset:         185
        .size:           1
        .value_kind:     by_value
      - .offset:         186
        .size:           1
        .value_kind:     by_value
    .group_segment_fixed_size: 41096
    .kernarg_segment_align: 8
    .kernarg_segment_size: 188
    .language:       OpenCL C
    .language_version:
      - 2
      - 0
    .max_flat_workgroup_size: 256
    .name:           _ZN9rocsparseL38bsrgemm_block_per_row_atomic_multipassILj256ELj32ELj8Eii21rocsparse_complex_numIdEEEv20rocsparse_direction_T3_S4_PKS4_S6_NS_24const_host_device_scalarIT4_EEPKT2_S6_PKS8_SC_S6_SE_S9_SC_S6_SE_SC_PS4_PS8_PSA_21rocsparse_index_base_SI_SI_SI_bbb
    .private_segment_fixed_size: 0
    .sgpr_count:     62
    .sgpr_spill_count: 0
    .symbol:         _ZN9rocsparseL38bsrgemm_block_per_row_atomic_multipassILj256ELj32ELj8Eii21rocsparse_complex_numIdEEEv20rocsparse_direction_T3_S4_PKS4_S6_NS_24const_host_device_scalarIT4_EEPKT2_S6_PKS8_SC_S6_SE_S9_SC_S6_SE_SC_PS4_PS8_PSA_21rocsparse_index_base_SI_SI_SI_bbb.kd
    .uniform_work_group_size: 1
    .uses_dynamic_stack: false
    .vgpr_count:     63
    .vgpr_spill_count: 0
    .wavefront_size: 32
    .workgroup_processor_mode: 1
  - .args:
      - .offset:         0
        .size:           4
        .value_kind:     by_value
      - .offset:         4
        .size:           4
        .value_kind:     by_value
      - .offset:         8
        .size:           4
        .value_kind:     by_value
      - .actual_access:  read_only
        .address_space:  global
        .offset:         16
        .size:           8
        .value_kind:     global_buffer
      - .actual_access:  read_only
        .address_space:  global
        .offset:         24
        .size:           8
        .value_kind:     global_buffer
      - .offset:         32
        .size:           16
        .value_kind:     by_value
      - .actual_access:  read_only
        .address_space:  global
        .offset:         48
        .size:           8
        .value_kind:     global_buffer
      - .actual_access:  read_only
        .address_space:  global
        .offset:         56
        .size:           8
        .value_kind:     global_buffer
      - .actual_access:  read_only
        .address_space:  global
        .offset:         64
        .size:           8
        .value_kind:     global_buffer
      - .actual_access:  read_only
        .address_space:  global
        .offset:         72
        .size:           8
        .value_kind:     global_buffer
      - .actual_access:  read_only
        .address_space:  global
        .offset:         80
        .size:           8
        .value_kind:     global_buffer
      - .actual_access:  read_only
        .address_space:  global
        .offset:         88
        .size:           8
        .value_kind:     global_buffer
      - .offset:         96
        .size:           16
        .value_kind:     by_value
      - .actual_access:  read_only
        .address_space:  global
        .offset:         112
        .size:           8
        .value_kind:     global_buffer
      - .actual_access:  read_only
        .address_space:  global
        .offset:         120
        .size:           8
        .value_kind:     global_buffer
      - .actual_access:  read_only
        .address_space:  global
        .offset:         128
        .size:           8
        .value_kind:     global_buffer
      - .actual_access:  read_only
        .address_space:  global
        .offset:         136
        .size:           8
        .value_kind:     global_buffer
      - .actual_access:  write_only
        .address_space:  global
        .offset:         144
        .size:           8
        .value_kind:     global_buffer
      - .actual_access:  write_only
        .address_space:  global
        .offset:         152
        .size:           8
        .value_kind:     global_buffer
      - .address_space:  global
        .offset:         160
        .size:           8
        .value_kind:     global_buffer
      - .offset:         168
        .size:           4
        .value_kind:     by_value
      - .offset:         172
        .size:           4
        .value_kind:     by_value
      - .offset:         176
        .size:           4
        .value_kind:     by_value
      - .offset:         180
        .size:           4
        .value_kind:     by_value
      - .offset:         184
        .size:           1
        .value_kind:     by_value
      - .offset:         185
        .size:           1
        .value_kind:     by_value
      - .offset:         186
        .size:           1
        .value_kind:     by_value
    .group_segment_fixed_size: 36872
    .kernarg_segment_align: 8
    .kernarg_segment_size: 188
    .language:       OpenCL C
    .language_version:
      - 2
      - 0
    .max_flat_workgroup_size: 256
    .name:           _ZN9rocsparseL31bsrgemm_block_per_row_multipassILj256ELj8ELj16Eii21rocsparse_complex_numIdEEEv20rocsparse_direction_T3_S4_PKS4_S6_NS_24const_host_device_scalarIT4_EEPKT2_S6_PKS8_SC_S6_SE_S9_SC_S6_SE_SC_PS4_PS8_PSA_21rocsparse_index_base_SI_SI_SI_bbb
    .private_segment_fixed_size: 0
    .sgpr_count:     63
    .sgpr_spill_count: 0
    .symbol:         _ZN9rocsparseL31bsrgemm_block_per_row_multipassILj256ELj8ELj16Eii21rocsparse_complex_numIdEEEv20rocsparse_direction_T3_S4_PKS4_S6_NS_24const_host_device_scalarIT4_EEPKT2_S6_PKS8_SC_S6_SE_S9_SC_S6_SE_SC_PS4_PS8_PSA_21rocsparse_index_base_SI_SI_SI_bbb.kd
    .uniform_work_group_size: 1
    .uses_dynamic_stack: false
    .vgpr_count:     51
    .vgpr_spill_count: 0
    .wavefront_size: 32
    .workgroup_processor_mode: 1
  - .args:
      - .offset:         0
        .size:           4
        .value_kind:     by_value
      - .offset:         4
        .size:           4
        .value_kind:     by_value
      - .offset:         8
        .size:           4
        .value_kind:     by_value
      - .actual_access:  read_only
        .address_space:  global
        .offset:         16
        .size:           8
        .value_kind:     global_buffer
      - .actual_access:  read_only
        .address_space:  global
        .offset:         24
        .size:           8
        .value_kind:     global_buffer
      - .offset:         32
        .size:           16
        .value_kind:     by_value
      - .actual_access:  read_only
        .address_space:  global
        .offset:         48
        .size:           8
        .value_kind:     global_buffer
      - .actual_access:  read_only
        .address_space:  global
        .offset:         56
        .size:           8
        .value_kind:     global_buffer
      - .actual_access:  read_only
        .address_space:  global
        .offset:         64
        .size:           8
        .value_kind:     global_buffer
      - .actual_access:  read_only
        .address_space:  global
        .offset:         72
        .size:           8
        .value_kind:     global_buffer
      - .actual_access:  read_only
        .address_space:  global
        .offset:         80
        .size:           8
        .value_kind:     global_buffer
      - .actual_access:  read_only
        .address_space:  global
        .offset:         88
        .size:           8
        .value_kind:     global_buffer
      - .offset:         96
        .size:           16
        .value_kind:     by_value
      - .actual_access:  read_only
        .address_space:  global
        .offset:         112
        .size:           8
        .value_kind:     global_buffer
      - .actual_access:  read_only
        .address_space:  global
        .offset:         120
        .size:           8
        .value_kind:     global_buffer
      - .actual_access:  read_only
        .address_space:  global
        .offset:         128
        .size:           8
        .value_kind:     global_buffer
      - .actual_access:  read_only
        .address_space:  global
        .offset:         136
        .size:           8
        .value_kind:     global_buffer
      - .actual_access:  write_only
        .address_space:  global
        .offset:         144
        .size:           8
        .value_kind:     global_buffer
      - .actual_access:  write_only
        .address_space:  global
        .offset:         152
        .size:           8
        .value_kind:     global_buffer
      - .address_space:  global
        .offset:         160
        .size:           8
        .value_kind:     global_buffer
      - .offset:         168
        .size:           4
        .value_kind:     by_value
      - .offset:         172
        .size:           4
        .value_kind:     by_value
      - .offset:         176
        .size:           4
        .value_kind:     by_value
      - .offset:         180
        .size:           4
        .value_kind:     by_value
      - .offset:         184
        .size:           1
        .value_kind:     by_value
      - .offset:         185
        .size:           1
        .value_kind:     by_value
      - .offset:         186
        .size:           1
        .value_kind:     by_value
    .group_segment_fixed_size: 36872
    .kernarg_segment_align: 8
    .kernarg_segment_size: 188
    .language:       OpenCL C
    .language_version:
      - 2
      - 0
    .max_flat_workgroup_size: 256
    .name:           _ZN9rocsparseL31bsrgemm_block_per_row_multipassILj256ELj2ELj32Eii21rocsparse_complex_numIdEEEv20rocsparse_direction_T3_S4_PKS4_S6_NS_24const_host_device_scalarIT4_EEPKT2_S6_PKS8_SC_S6_SE_S9_SC_S6_SE_SC_PS4_PS8_PSA_21rocsparse_index_base_SI_SI_SI_bbb
    .private_segment_fixed_size: 0
    .sgpr_count:     66
    .sgpr_spill_count: 0
    .symbol:         _ZN9rocsparseL31bsrgemm_block_per_row_multipassILj256ELj2ELj32Eii21rocsparse_complex_numIdEEEv20rocsparse_direction_T3_S4_PKS4_S6_NS_24const_host_device_scalarIT4_EEPKT2_S6_PKS8_SC_S6_SE_S9_SC_S6_SE_SC_PS4_PS8_PSA_21rocsparse_index_base_SI_SI_SI_bbb.kd
    .uniform_work_group_size: 1
    .uses_dynamic_stack: false
    .vgpr_count:     61
    .vgpr_spill_count: 0
    .wavefront_size: 32
    .workgroup_processor_mode: 1
  - .args:
      - .offset:         0
        .size:           8
        .value_kind:     by_value
      - .actual_access:  read_only
        .address_space:  global
        .offset:         8
        .size:           8
        .value_kind:     global_buffer
      - .actual_access:  write_only
        .address_space:  global
        .offset:         16
        .size:           8
        .value_kind:     global_buffer
      - .offset:         24
        .size:           4
        .value_kind:     hidden_block_count_x
      - .offset:         28
        .size:           4
        .value_kind:     hidden_block_count_y
      - .offset:         32
        .size:           4
        .value_kind:     hidden_block_count_z
      - .offset:         36
        .size:           2
        .value_kind:     hidden_group_size_x
      - .offset:         38
        .size:           2
        .value_kind:     hidden_group_size_y
      - .offset:         40
        .size:           2
        .value_kind:     hidden_group_size_z
      - .offset:         42
        .size:           2
        .value_kind:     hidden_remainder_x
      - .offset:         44
        .size:           2
        .value_kind:     hidden_remainder_y
      - .offset:         46
        .size:           2
        .value_kind:     hidden_remainder_z
      - .offset:         64
        .size:           8
        .value_kind:     hidden_global_offset_x
      - .offset:         72
        .size:           8
        .value_kind:     hidden_global_offset_y
      - .offset:         80
        .size:           8
        .value_kind:     hidden_global_offset_z
      - .offset:         88
        .size:           2
        .value_kind:     hidden_grid_dims
    .group_segment_fixed_size: 2048
    .kernarg_segment_align: 8
    .kernarg_segment_size: 280
    .language:       OpenCL C
    .language_version:
      - 2
      - 0
    .max_flat_workgroup_size: 256
    .name:           _ZN9rocsparseL25csrgemm_max_row_nnz_part1ILj256EllEEvT1_PKT0_PS1_
    .private_segment_fixed_size: 0
    .sgpr_count:     18
    .sgpr_spill_count: 0
    .symbol:         _ZN9rocsparseL25csrgemm_max_row_nnz_part1ILj256EllEEvT1_PKT0_PS1_.kd
    .uniform_work_group_size: 1
    .uses_dynamic_stack: false
    .vgpr_count:     11
    .vgpr_spill_count: 0
    .wavefront_size: 32
    .workgroup_processor_mode: 1
  - .args:
      - .address_space:  global
        .offset:         0
        .size:           8
        .value_kind:     global_buffer
    .group_segment_fixed_size: 2048
    .kernarg_segment_align: 8
    .kernarg_segment_size: 8
    .language:       OpenCL C
    .language_version:
      - 2
      - 0
    .max_flat_workgroup_size: 256
    .name:           _ZN9rocsparseL25csrgemm_max_row_nnz_part2ILj256ElEEvPT0_
    .private_segment_fixed_size: 0
    .sgpr_count:     6
    .sgpr_spill_count: 0
    .symbol:         _ZN9rocsparseL25csrgemm_max_row_nnz_part2ILj256ElEEvPT0_.kd
    .uniform_work_group_size: 1
    .uses_dynamic_stack: false
    .vgpr_count:     6
    .vgpr_spill_count: 0
    .wavefront_size: 32
    .workgroup_processor_mode: 1
  - .args:
      - .offset:         0
        .size:           8
        .value_kind:     by_value
      - .actual_access:  read_only
        .address_space:  global
        .offset:         8
        .size:           8
        .value_kind:     global_buffer
      - .actual_access:  write_only
        .address_space:  global
        .offset:         16
        .size:           8
        .value_kind:     global_buffer
      - .actual_access:  write_only
        .address_space:  global
        .offset:         24
        .size:           8
        .value_kind:     global_buffer
      - .offset:         32
        .size:           4
        .value_kind:     hidden_block_count_x
      - .offset:         36
        .size:           4
        .value_kind:     hidden_block_count_y
      - .offset:         40
        .size:           4
        .value_kind:     hidden_block_count_z
      - .offset:         44
        .size:           2
        .value_kind:     hidden_group_size_x
      - .offset:         46
        .size:           2
        .value_kind:     hidden_group_size_y
      - .offset:         48
        .size:           2
        .value_kind:     hidden_group_size_z
      - .offset:         50
        .size:           2
        .value_kind:     hidden_remainder_x
      - .offset:         52
        .size:           2
        .value_kind:     hidden_remainder_y
      - .offset:         54
        .size:           2
        .value_kind:     hidden_remainder_z
      - .offset:         72
        .size:           8
        .value_kind:     hidden_global_offset_x
      - .offset:         80
        .size:           8
        .value_kind:     hidden_global_offset_y
      - .offset:         88
        .size:           8
        .value_kind:     hidden_global_offset_z
      - .offset:         96
        .size:           2
        .value_kind:     hidden_grid_dims
    .group_segment_fixed_size: 16384
    .kernarg_segment_align: 8
    .kernarg_segment_size: 288
    .language:       OpenCL C
    .language_version:
      - 2
      - 0
    .max_flat_workgroup_size: 256
    .name:           _ZN9rocsparseL26bsrgemm_group_reduce_part2ILj256ELj8ELj2EfllEEvT4_PKT3_PS1_Pi
    .private_segment_fixed_size: 0
    .sgpr_count:     21
    .sgpr_spill_count: 0
    .symbol:         _ZN9rocsparseL26bsrgemm_group_reduce_part2ILj256ELj8ELj2EfllEEvT4_PKT3_PS1_Pi.kd
    .uniform_work_group_size: 1
    .uses_dynamic_stack: false
    .vgpr_count:     36
    .vgpr_spill_count: 0
    .wavefront_size: 32
    .workgroup_processor_mode: 1
  - .args:
      - .offset:         0
        .size:           8
        .value_kind:     by_value
      - .actual_access:  read_only
        .address_space:  global
        .offset:         8
        .size:           8
        .value_kind:     global_buffer
      - .actual_access:  write_only
        .address_space:  global
        .offset:         16
        .size:           8
        .value_kind:     global_buffer
      - .actual_access:  write_only
        .address_space:  global
        .offset:         24
        .size:           8
        .value_kind:     global_buffer
      - .offset:         32
        .size:           4
        .value_kind:     hidden_block_count_x
      - .offset:         36
        .size:           4
        .value_kind:     hidden_block_count_y
      - .offset:         40
        .size:           4
        .value_kind:     hidden_block_count_z
      - .offset:         44
        .size:           2
        .value_kind:     hidden_group_size_x
      - .offset:         46
        .size:           2
        .value_kind:     hidden_group_size_y
      - .offset:         48
        .size:           2
        .value_kind:     hidden_group_size_z
      - .offset:         50
        .size:           2
        .value_kind:     hidden_remainder_x
      - .offset:         52
        .size:           2
        .value_kind:     hidden_remainder_y
      - .offset:         54
        .size:           2
        .value_kind:     hidden_remainder_z
      - .offset:         72
        .size:           8
        .value_kind:     hidden_global_offset_x
      - .offset:         80
        .size:           8
        .value_kind:     hidden_global_offset_y
      - .offset:         88
        .size:           8
        .value_kind:     hidden_global_offset_z
      - .offset:         96
        .size:           2
        .value_kind:     hidden_grid_dims
    .group_segment_fixed_size: 16384
    .kernarg_segment_align: 8
    .kernarg_segment_size: 288
    .language:       OpenCL C
    .language_version:
      - 2
      - 0
    .max_flat_workgroup_size: 256
    .name:           _ZN9rocsparseL26bsrgemm_group_reduce_part2ILj256ELj8ELj8EfllEEvT4_PKT3_PS1_Pi
    .private_segment_fixed_size: 0
    .sgpr_count:     21
    .sgpr_spill_count: 0
    .symbol:         _ZN9rocsparseL26bsrgemm_group_reduce_part2ILj256ELj8ELj8EfllEEvT4_PKT3_PS1_Pi.kd
    .uniform_work_group_size: 1
    .uses_dynamic_stack: false
    .vgpr_count:     36
    .vgpr_spill_count: 0
    .wavefront_size: 32
    .workgroup_processor_mode: 1
  - .args:
      - .address_space:  global
        .offset:         0
        .size:           8
        .value_kind:     global_buffer
    .group_segment_fixed_size: 16384
    .kernarg_segment_align: 8
    .kernarg_segment_size: 8
    .language:       OpenCL C
    .language_version:
      - 2
      - 0
    .max_flat_workgroup_size: 256
    .name:           _ZN9rocsparseL26bsrgemm_group_reduce_part3ILj256ELj8ElEEvPT1_
    .private_segment_fixed_size: 0
    .sgpr_count:     6
    .sgpr_spill_count: 0
    .symbol:         _ZN9rocsparseL26bsrgemm_group_reduce_part3ILj256ELj8ElEEvPT1_.kd
    .uniform_work_group_size: 1
    .uses_dynamic_stack: false
    .vgpr_count:     37
    .vgpr_spill_count: 0
    .wavefront_size: 32
    .workgroup_processor_mode: 1
  - .args:
      - .offset:         0
        .size:           4
        .value_kind:     by_value
      - .offset:         8
        .size:           8
        .value_kind:     by_value
      - .offset:         16
        .size:           8
        .value_kind:     by_value
      - .actual_access:  read_only
        .address_space:  global
        .offset:         24
        .size:           8
        .value_kind:     global_buffer
      - .actual_access:  read_only
        .address_space:  global
        .offset:         32
        .size:           8
        .value_kind:     global_buffer
      - .offset:         40
        .size:           8
        .value_kind:     by_value
      - .actual_access:  read_only
        .address_space:  global
        .offset:         48
        .size:           8
        .value_kind:     global_buffer
      - .actual_access:  read_only
        .address_space:  global
        .offset:         56
        .size:           8
        .value_kind:     global_buffer
      - .actual_access:  read_only
        .address_space:  global
        .offset:         64
        .size:           8
        .value_kind:     global_buffer
      - .actual_access:  read_only
        .address_space:  global
        .offset:         72
        .size:           8
        .value_kind:     global_buffer
      - .actual_access:  read_only
        .address_space:  global
        .offset:         80
        .size:           8
        .value_kind:     global_buffer
      - .actual_access:  read_only
        .address_space:  global
        .offset:         88
        .size:           8
        .value_kind:     global_buffer
      - .offset:         96
        .size:           8
        .value_kind:     by_value
      - .actual_access:  read_only
        .address_space:  global
        .offset:         104
        .size:           8
        .value_kind:     global_buffer
      - .actual_access:  read_only
        .address_space:  global
        .offset:         112
        .size:           8
        .value_kind:     global_buffer
      - .actual_access:  read_only
        .address_space:  global
        .offset:         120
        .size:           8
        .value_kind:     global_buffer
      - .actual_access:  read_only
        .address_space:  global
        .offset:         128
        .size:           8
        .value_kind:     global_buffer
      - .actual_access:  write_only
        .address_space:  global
        .offset:         136
        .size:           8
        .value_kind:     global_buffer
      - .actual_access:  write_only
        .address_space:  global
        .offset:         144
        .size:           8
        .value_kind:     global_buffer
      - .offset:         152
        .size:           4
        .value_kind:     by_value
      - .offset:         156
        .size:           4
        .value_kind:     by_value
      - .offset:         160
        .size:           4
        .value_kind:     by_value
      - .offset:         164
        .size:           4
        .value_kind:     by_value
      - .offset:         168
        .size:           1
        .value_kind:     by_value
      - .offset:         169
        .size:           1
        .value_kind:     by_value
      - .offset:         170
        .size:           1
        .value_kind:     by_value
    .group_segment_fixed_size: 3072
    .kernarg_segment_align: 8
    .kernarg_segment_size: 172
    .language:       OpenCL C
    .language_version:
      - 2
      - 0
    .max_flat_workgroup_size: 256
    .name:           _ZN9rocsparseL27bsrgemm_fill_wf_per_row_2x2ILj256ELj16ELj8ELj137EllfEEv20rocsparse_direction_T4_S2_PKS2_S4_NS_24const_host_device_scalarIT5_EEPKT3_S4_PKS6_SA_S4_SC_S7_SA_S4_SC_SA_PS2_PS6_21rocsparse_index_base_SF_SF_SF_bbb
    .private_segment_fixed_size: 0
    .sgpr_count:     50
    .sgpr_spill_count: 0
    .symbol:         _ZN9rocsparseL27bsrgemm_fill_wf_per_row_2x2ILj256ELj16ELj8ELj137EllfEEv20rocsparse_direction_T4_S2_PKS2_S4_NS_24const_host_device_scalarIT5_EEPKT3_S4_PKS6_SA_S4_SC_S7_SA_S4_SC_SA_PS2_PS6_21rocsparse_index_base_SF_SF_SF_bbb.kd
    .uniform_work_group_size: 1
    .uses_dynamic_stack: false
    .vgpr_count:     32
    .vgpr_spill_count: 0
    .wavefront_size: 32
    .workgroup_processor_mode: 1
  - .args:
      - .offset:         0
        .size:           4
        .value_kind:     by_value
      - .offset:         8
        .size:           8
        .value_kind:     by_value
      - .offset:         16
        .size:           8
        .value_kind:     by_value
      - .actual_access:  read_only
        .address_space:  global
        .offset:         24
        .size:           8
        .value_kind:     global_buffer
      - .actual_access:  read_only
        .address_space:  global
        .offset:         32
        .size:           8
        .value_kind:     global_buffer
      - .offset:         40
        .size:           8
        .value_kind:     by_value
      - .actual_access:  read_only
        .address_space:  global
        .offset:         48
        .size:           8
        .value_kind:     global_buffer
      - .actual_access:  read_only
        .address_space:  global
        .offset:         56
        .size:           8
        .value_kind:     global_buffer
      - .actual_access:  read_only
        .address_space:  global
        .offset:         64
        .size:           8
        .value_kind:     global_buffer
      - .actual_access:  read_only
        .address_space:  global
        .offset:         72
        .size:           8
        .value_kind:     global_buffer
      - .actual_access:  read_only
        .address_space:  global
        .offset:         80
        .size:           8
        .value_kind:     global_buffer
      - .actual_access:  read_only
        .address_space:  global
        .offset:         88
        .size:           8
        .value_kind:     global_buffer
      - .offset:         96
        .size:           8
        .value_kind:     by_value
      - .actual_access:  read_only
        .address_space:  global
        .offset:         104
        .size:           8
        .value_kind:     global_buffer
      - .actual_access:  read_only
        .address_space:  global
        .offset:         112
        .size:           8
        .value_kind:     global_buffer
      - .actual_access:  read_only
        .address_space:  global
        .offset:         120
        .size:           8
        .value_kind:     global_buffer
      - .actual_access:  read_only
        .address_space:  global
        .offset:         128
        .size:           8
        .value_kind:     global_buffer
      - .actual_access:  write_only
        .address_space:  global
        .offset:         136
        .size:           8
        .value_kind:     global_buffer
      - .actual_access:  write_only
        .address_space:  global
        .offset:         144
        .size:           8
        .value_kind:     global_buffer
      - .offset:         152
        .size:           4
        .value_kind:     by_value
      - .offset:         156
        .size:           4
        .value_kind:     by_value
      - .offset:         160
        .size:           4
        .value_kind:     by_value
      - .offset:         164
        .size:           4
        .value_kind:     by_value
      - .offset:         168
        .size:           1
        .value_kind:     by_value
      - .offset:         169
        .size:           1
        .value_kind:     by_value
      - .offset:         170
        .size:           1
        .value_kind:     by_value
    .group_segment_fixed_size: 6144
    .kernarg_segment_align: 8
    .kernarg_segment_size: 172
    .language:       OpenCL C
    .language_version:
      - 2
      - 0
    .max_flat_workgroup_size: 256
    .name:           _ZN9rocsparseL27bsrgemm_fill_wf_per_row_2x2ILj256ELj16ELj16ELj137EllfEEv20rocsparse_direction_T4_S2_PKS2_S4_NS_24const_host_device_scalarIT5_EEPKT3_S4_PKS6_SA_S4_SC_S7_SA_S4_SC_SA_PS2_PS6_21rocsparse_index_base_SF_SF_SF_bbb
    .private_segment_fixed_size: 0
    .sgpr_count:     50
    .sgpr_spill_count: 0
    .symbol:         _ZN9rocsparseL27bsrgemm_fill_wf_per_row_2x2ILj256ELj16ELj16ELj137EllfEEv20rocsparse_direction_T4_S2_PKS2_S4_NS_24const_host_device_scalarIT5_EEPKT3_S4_PKS6_SA_S4_SC_S7_SA_S4_SC_SA_PS2_PS6_21rocsparse_index_base_SF_SF_SF_bbb.kd
    .uniform_work_group_size: 1
    .uses_dynamic_stack: false
    .vgpr_count:     42
    .vgpr_spill_count: 0
    .wavefront_size: 32
    .workgroup_processor_mode: 1
  - .args:
      - .offset:         0
        .size:           4
        .value_kind:     by_value
      - .offset:         8
        .size:           8
        .value_kind:     by_value
      - .offset:         16
        .size:           8
        .value_kind:     by_value
      - .actual_access:  read_only
        .address_space:  global
        .offset:         24
        .size:           8
        .value_kind:     global_buffer
      - .actual_access:  read_only
        .address_space:  global
        .offset:         32
        .size:           8
        .value_kind:     global_buffer
      - .offset:         40
        .size:           8
        .value_kind:     by_value
      - .actual_access:  read_only
        .address_space:  global
        .offset:         48
        .size:           8
        .value_kind:     global_buffer
      - .actual_access:  read_only
        .address_space:  global
        .offset:         56
        .size:           8
        .value_kind:     global_buffer
      - .actual_access:  read_only
        .address_space:  global
        .offset:         64
        .size:           8
        .value_kind:     global_buffer
      - .actual_access:  read_only
        .address_space:  global
        .offset:         72
        .size:           8
        .value_kind:     global_buffer
      - .actual_access:  read_only
        .address_space:  global
        .offset:         80
        .size:           8
        .value_kind:     global_buffer
      - .actual_access:  read_only
        .address_space:  global
        .offset:         88
        .size:           8
        .value_kind:     global_buffer
      - .offset:         96
        .size:           8
        .value_kind:     by_value
      - .actual_access:  read_only
        .address_space:  global
        .offset:         104
        .size:           8
        .value_kind:     global_buffer
      - .actual_access:  read_only
        .address_space:  global
        .offset:         112
        .size:           8
        .value_kind:     global_buffer
      - .actual_access:  read_only
        .address_space:  global
        .offset:         120
        .size:           8
        .value_kind:     global_buffer
      - .actual_access:  read_only
        .address_space:  global
        .offset:         128
        .size:           8
        .value_kind:     global_buffer
      - .actual_access:  write_only
        .address_space:  global
        .offset:         136
        .size:           8
        .value_kind:     global_buffer
      - .actual_access:  write_only
        .address_space:  global
        .offset:         144
        .size:           8
        .value_kind:     global_buffer
      - .offset:         152
        .size:           4
        .value_kind:     by_value
      - .offset:         156
        .size:           4
        .value_kind:     by_value
      - .offset:         160
        .size:           4
        .value_kind:     by_value
      - .offset:         164
        .size:           4
        .value_kind:     by_value
      - .offset:         168
        .size:           1
        .value_kind:     by_value
      - .offset:         169
        .size:           1
        .value_kind:     by_value
      - .offset:         170
        .size:           1
        .value_kind:     by_value
    .group_segment_fixed_size: 12288
    .kernarg_segment_align: 8
    .kernarg_segment_size: 172
    .language:       OpenCL C
    .language_version:
      - 2
      - 0
    .max_flat_workgroup_size: 256
    .name:           _ZN9rocsparseL27bsrgemm_fill_wf_per_row_2x2ILj256ELj16ELj32ELj137EllfEEv20rocsparse_direction_T4_S2_PKS2_S4_NS_24const_host_device_scalarIT5_EEPKT3_S4_PKS6_SA_S4_SC_S7_SA_S4_SC_SA_PS2_PS6_21rocsparse_index_base_SF_SF_SF_bbb
    .private_segment_fixed_size: 0
    .sgpr_count:     50
    .sgpr_spill_count: 0
    .symbol:         _ZN9rocsparseL27bsrgemm_fill_wf_per_row_2x2ILj256ELj16ELj32ELj137EllfEEv20rocsparse_direction_T4_S2_PKS2_S4_NS_24const_host_device_scalarIT5_EEPKT3_S4_PKS6_SA_S4_SC_S7_SA_S4_SC_SA_PS2_PS6_21rocsparse_index_base_SF_SF_SF_bbb.kd
    .uniform_work_group_size: 1
    .uses_dynamic_stack: false
    .vgpr_count:     43
    .vgpr_spill_count: 0
    .wavefront_size: 32
    .workgroup_processor_mode: 1
  - .args:
      - .offset:         0
        .size:           4
        .value_kind:     by_value
      - .offset:         8
        .size:           8
        .value_kind:     by_value
      - .offset:         16
        .size:           8
        .value_kind:     by_value
      - .actual_access:  read_only
        .address_space:  global
        .offset:         24
        .size:           8
        .value_kind:     global_buffer
      - .actual_access:  read_only
        .address_space:  global
        .offset:         32
        .size:           8
        .value_kind:     global_buffer
      - .offset:         40
        .size:           8
        .value_kind:     by_value
      - .actual_access:  read_only
        .address_space:  global
        .offset:         48
        .size:           8
        .value_kind:     global_buffer
      - .actual_access:  read_only
        .address_space:  global
        .offset:         56
        .size:           8
        .value_kind:     global_buffer
      - .actual_access:  read_only
        .address_space:  global
        .offset:         64
        .size:           8
        .value_kind:     global_buffer
      - .actual_access:  read_only
        .address_space:  global
        .offset:         72
        .size:           8
        .value_kind:     global_buffer
      - .actual_access:  read_only
        .address_space:  global
        .offset:         80
        .size:           8
        .value_kind:     global_buffer
      - .actual_access:  read_only
        .address_space:  global
        .offset:         88
        .size:           8
        .value_kind:     global_buffer
      - .offset:         96
        .size:           8
        .value_kind:     by_value
      - .actual_access:  read_only
        .address_space:  global
        .offset:         104
        .size:           8
        .value_kind:     global_buffer
      - .actual_access:  read_only
        .address_space:  global
        .offset:         112
        .size:           8
        .value_kind:     global_buffer
      - .actual_access:  read_only
        .address_space:  global
        .offset:         120
        .size:           8
        .value_kind:     global_buffer
      - .actual_access:  read_only
        .address_space:  global
        .offset:         128
        .size:           8
        .value_kind:     global_buffer
      - .actual_access:  write_only
        .address_space:  global
        .offset:         136
        .size:           8
        .value_kind:     global_buffer
      - .actual_access:  write_only
        .address_space:  global
        .offset:         144
        .size:           8
        .value_kind:     global_buffer
      - .offset:         152
        .size:           4
        .value_kind:     by_value
      - .offset:         156
        .size:           4
        .value_kind:     by_value
      - .offset:         160
        .size:           4
        .value_kind:     by_value
      - .offset:         164
        .size:           4
        .value_kind:     by_value
      - .offset:         168
        .size:           1
        .value_kind:     by_value
      - .offset:         169
        .size:           1
        .value_kind:     by_value
      - .offset:         170
        .size:           1
        .value_kind:     by_value
    .group_segment_fixed_size: 0
    .kernarg_segment_align: 8
    .kernarg_segment_size: 172
    .language:       OpenCL C
    .language_version:
      - 2
      - 0
    .max_flat_workgroup_size: 256
    .name:           _ZN9rocsparseL30bsrgemm_fill_block_per_row_2x2ILj256ELj16ELj64ELj137EllfEEv20rocsparse_direction_T4_S2_PKS2_S4_NS_24const_host_device_scalarIT5_EEPKT3_S4_PKS6_SA_S4_SC_S7_SA_S4_SC_SA_PS2_PS6_21rocsparse_index_base_SF_SF_SF_bbb
    .private_segment_fixed_size: 0
    .sgpr_count:     40
    .sgpr_spill_count: 0
    .symbol:         _ZN9rocsparseL30bsrgemm_fill_block_per_row_2x2ILj256ELj16ELj64ELj137EllfEEv20rocsparse_direction_T4_S2_PKS2_S4_NS_24const_host_device_scalarIT5_EEPKT3_S4_PKS6_SA_S4_SC_S7_SA_S4_SC_SA_PS2_PS6_21rocsparse_index_base_SF_SF_SF_bbb.kd
    .uniform_work_group_size: 1
    .uses_dynamic_stack: false
    .vgpr_count:     52
    .vgpr_spill_count: 0
    .wavefront_size: 32
    .workgroup_processor_mode: 1
  - .args:
      - .offset:         0
        .size:           4
        .value_kind:     by_value
      - .offset:         8
        .size:           8
        .value_kind:     by_value
      - .offset:         16
        .size:           8
        .value_kind:     by_value
      - .actual_access:  read_only
        .address_space:  global
        .offset:         24
        .size:           8
        .value_kind:     global_buffer
      - .actual_access:  read_only
        .address_space:  global
        .offset:         32
        .size:           8
        .value_kind:     global_buffer
      - .offset:         40
        .size:           8
        .value_kind:     by_value
      - .actual_access:  read_only
        .address_space:  global
        .offset:         48
        .size:           8
        .value_kind:     global_buffer
      - .actual_access:  read_only
        .address_space:  global
        .offset:         56
        .size:           8
        .value_kind:     global_buffer
      - .actual_access:  read_only
        .address_space:  global
        .offset:         64
        .size:           8
        .value_kind:     global_buffer
      - .actual_access:  read_only
        .address_space:  global
        .offset:         72
        .size:           8
        .value_kind:     global_buffer
      - .actual_access:  read_only
        .address_space:  global
        .offset:         80
        .size:           8
        .value_kind:     global_buffer
      - .actual_access:  read_only
        .address_space:  global
        .offset:         88
        .size:           8
        .value_kind:     global_buffer
      - .offset:         96
        .size:           8
        .value_kind:     by_value
      - .actual_access:  read_only
        .address_space:  global
        .offset:         104
        .size:           8
        .value_kind:     global_buffer
      - .actual_access:  read_only
        .address_space:  global
        .offset:         112
        .size:           8
        .value_kind:     global_buffer
      - .actual_access:  read_only
        .address_space:  global
        .offset:         120
        .size:           8
        .value_kind:     global_buffer
      - .actual_access:  read_only
        .address_space:  global
        .offset:         128
        .size:           8
        .value_kind:     global_buffer
      - .actual_access:  write_only
        .address_space:  global
        .offset:         136
        .size:           8
        .value_kind:     global_buffer
      - .actual_access:  write_only
        .address_space:  global
        .offset:         144
        .size:           8
        .value_kind:     global_buffer
      - .offset:         152
        .size:           4
        .value_kind:     by_value
      - .offset:         156
        .size:           4
        .value_kind:     by_value
      - .offset:         160
        .size:           4
        .value_kind:     by_value
      - .offset:         164
        .size:           4
        .value_kind:     by_value
      - .offset:         168
        .size:           1
        .value_kind:     by_value
      - .offset:         169
        .size:           1
        .value_kind:     by_value
      - .offset:         170
        .size:           1
        .value_kind:     by_value
    .group_segment_fixed_size: 0
    .kernarg_segment_align: 8
    .kernarg_segment_size: 172
    .language:       OpenCL C
    .language_version:
      - 2
      - 0
    .max_flat_workgroup_size: 256
    .name:           _ZN9rocsparseL30bsrgemm_fill_block_per_row_2x2ILj256ELj16ELj128ELj137EllfEEv20rocsparse_direction_T4_S2_PKS2_S4_NS_24const_host_device_scalarIT5_EEPKT3_S4_PKS6_SA_S4_SC_S7_SA_S4_SC_SA_PS2_PS6_21rocsparse_index_base_SF_SF_SF_bbb
    .private_segment_fixed_size: 0
    .sgpr_count:     50
    .sgpr_spill_count: 0
    .symbol:         _ZN9rocsparseL30bsrgemm_fill_block_per_row_2x2ILj256ELj16ELj128ELj137EllfEEv20rocsparse_direction_T4_S2_PKS2_S4_NS_24const_host_device_scalarIT5_EEPKT3_S4_PKS6_SA_S4_SC_S7_SA_S4_SC_SA_PS2_PS6_21rocsparse_index_base_SF_SF_SF_bbb.kd
    .uniform_work_group_size: 1
    .uses_dynamic_stack: false
    .vgpr_count:     37
    .vgpr_spill_count: 0
    .wavefront_size: 32
    .workgroup_processor_mode: 1
  - .args:
      - .offset:         0
        .size:           4
        .value_kind:     by_value
      - .offset:         8
        .size:           8
        .value_kind:     by_value
      - .offset:         16
        .size:           8
        .value_kind:     by_value
      - .actual_access:  read_only
        .address_space:  global
        .offset:         24
        .size:           8
        .value_kind:     global_buffer
      - .actual_access:  read_only
        .address_space:  global
        .offset:         32
        .size:           8
        .value_kind:     global_buffer
      - .offset:         40
        .size:           8
        .value_kind:     by_value
      - .actual_access:  read_only
        .address_space:  global
        .offset:         48
        .size:           8
        .value_kind:     global_buffer
      - .actual_access:  read_only
        .address_space:  global
        .offset:         56
        .size:           8
        .value_kind:     global_buffer
      - .actual_access:  read_only
        .address_space:  global
        .offset:         64
        .size:           8
        .value_kind:     global_buffer
      - .actual_access:  read_only
        .address_space:  global
        .offset:         72
        .size:           8
        .value_kind:     global_buffer
      - .actual_access:  read_only
        .address_space:  global
        .offset:         80
        .size:           8
        .value_kind:     global_buffer
      - .actual_access:  read_only
        .address_space:  global
        .offset:         88
        .size:           8
        .value_kind:     global_buffer
      - .offset:         96
        .size:           8
        .value_kind:     by_value
      - .actual_access:  read_only
        .address_space:  global
        .offset:         104
        .size:           8
        .value_kind:     global_buffer
      - .actual_access:  read_only
        .address_space:  global
        .offset:         112
        .size:           8
        .value_kind:     global_buffer
      - .actual_access:  read_only
        .address_space:  global
        .offset:         120
        .size:           8
        .value_kind:     global_buffer
      - .actual_access:  read_only
        .address_space:  global
        .offset:         128
        .size:           8
        .value_kind:     global_buffer
      - .actual_access:  write_only
        .address_space:  global
        .offset:         136
        .size:           8
        .value_kind:     global_buffer
      - .actual_access:  write_only
        .address_space:  global
        .offset:         144
        .size:           8
        .value_kind:     global_buffer
      - .offset:         152
        .size:           4
        .value_kind:     by_value
      - .offset:         156
        .size:           4
        .value_kind:     by_value
      - .offset:         160
        .size:           4
        .value_kind:     by_value
      - .offset:         164
        .size:           4
        .value_kind:     by_value
      - .offset:         168
        .size:           1
        .value_kind:     by_value
      - .offset:         169
        .size:           1
        .value_kind:     by_value
      - .offset:         170
        .size:           1
        .value_kind:     by_value
    .group_segment_fixed_size: 0
    .kernarg_segment_align: 8
    .kernarg_segment_size: 172
    .language:       OpenCL C
    .language_version:
      - 2
      - 0
    .max_flat_workgroup_size: 256
    .name:           _ZN9rocsparseL30bsrgemm_fill_block_per_row_2x2ILj256ELj16ELj256ELj137EllfEEv20rocsparse_direction_T4_S2_PKS2_S4_NS_24const_host_device_scalarIT5_EEPKT3_S4_PKS6_SA_S4_SC_S7_SA_S4_SC_SA_PS2_PS6_21rocsparse_index_base_SF_SF_SF_bbb
    .private_segment_fixed_size: 0
    .sgpr_count:     50
    .sgpr_spill_count: 0
    .symbol:         _ZN9rocsparseL30bsrgemm_fill_block_per_row_2x2ILj256ELj16ELj256ELj137EllfEEv20rocsparse_direction_T4_S2_PKS2_S4_NS_24const_host_device_scalarIT5_EEPKT3_S4_PKS6_SA_S4_SC_S7_SA_S4_SC_SA_PS2_PS6_21rocsparse_index_base_SF_SF_SF_bbb.kd
    .uniform_work_group_size: 1
    .uses_dynamic_stack: false
    .vgpr_count:     38
    .vgpr_spill_count: 0
    .wavefront_size: 32
    .workgroup_processor_mode: 1
  - .args:
      - .offset:         0
        .size:           4
        .value_kind:     by_value
      - .offset:         8
        .size:           8
        .value_kind:     by_value
      - .offset:         16
        .size:           8
        .value_kind:     by_value
      - .actual_access:  read_only
        .address_space:  global
        .offset:         24
        .size:           8
        .value_kind:     global_buffer
      - .actual_access:  read_only
        .address_space:  global
        .offset:         32
        .size:           8
        .value_kind:     global_buffer
      - .offset:         40
        .size:           8
        .value_kind:     by_value
      - .actual_access:  read_only
        .address_space:  global
        .offset:         48
        .size:           8
        .value_kind:     global_buffer
      - .actual_access:  read_only
        .address_space:  global
        .offset:         56
        .size:           8
        .value_kind:     global_buffer
      - .actual_access:  read_only
        .address_space:  global
        .offset:         64
        .size:           8
        .value_kind:     global_buffer
      - .actual_access:  read_only
        .address_space:  global
        .offset:         72
        .size:           8
        .value_kind:     global_buffer
      - .actual_access:  read_only
        .address_space:  global
        .offset:         80
        .size:           8
        .value_kind:     global_buffer
      - .actual_access:  read_only
        .address_space:  global
        .offset:         88
        .size:           8
        .value_kind:     global_buffer
      - .offset:         96
        .size:           8
        .value_kind:     by_value
      - .actual_access:  read_only
        .address_space:  global
        .offset:         104
        .size:           8
        .value_kind:     global_buffer
      - .actual_access:  read_only
        .address_space:  global
        .offset:         112
        .size:           8
        .value_kind:     global_buffer
      - .actual_access:  read_only
        .address_space:  global
        .offset:         120
        .size:           8
        .value_kind:     global_buffer
      - .actual_access:  read_only
        .address_space:  global
        .offset:         128
        .size:           8
        .value_kind:     global_buffer
      - .actual_access:  write_only
        .address_space:  global
        .offset:         136
        .size:           8
        .value_kind:     global_buffer
      - .actual_access:  write_only
        .address_space:  global
        .offset:         144
        .size:           8
        .value_kind:     global_buffer
      - .offset:         152
        .size:           4
        .value_kind:     by_value
      - .offset:         156
        .size:           4
        .value_kind:     by_value
      - .offset:         160
        .size:           4
        .value_kind:     by_value
      - .offset:         164
        .size:           4
        .value_kind:     by_value
      - .offset:         168
        .size:           1
        .value_kind:     by_value
      - .offset:         169
        .size:           1
        .value_kind:     by_value
      - .offset:         170
        .size:           1
        .value_kind:     by_value
    .group_segment_fixed_size: 0
    .kernarg_segment_align: 8
    .kernarg_segment_size: 172
    .language:       OpenCL C
    .language_version:
      - 2
      - 0
    .max_flat_workgroup_size: 256
    .name:           _ZN9rocsparseL30bsrgemm_fill_block_per_row_2x2ILj256ELj16ELj512ELj137EllfEEv20rocsparse_direction_T4_S2_PKS2_S4_NS_24const_host_device_scalarIT5_EEPKT3_S4_PKS6_SA_S4_SC_S7_SA_S4_SC_SA_PS2_PS6_21rocsparse_index_base_SF_SF_SF_bbb
    .private_segment_fixed_size: 0
    .sgpr_count:     50
    .sgpr_spill_count: 0
    .symbol:         _ZN9rocsparseL30bsrgemm_fill_block_per_row_2x2ILj256ELj16ELj512ELj137EllfEEv20rocsparse_direction_T4_S2_PKS2_S4_NS_24const_host_device_scalarIT5_EEPKT3_S4_PKS6_SA_S4_SC_S7_SA_S4_SC_SA_PS2_PS6_21rocsparse_index_base_SF_SF_SF_bbb.kd
    .uniform_work_group_size: 1
    .uses_dynamic_stack: false
    .vgpr_count:     37
    .vgpr_spill_count: 0
    .wavefront_size: 32
    .workgroup_processor_mode: 1
  - .args:
      - .offset:         0
        .size:           4
        .value_kind:     by_value
      - .offset:         8
        .size:           8
        .value_kind:     by_value
      - .offset:         16
        .size:           8
        .value_kind:     by_value
      - .actual_access:  read_only
        .address_space:  global
        .offset:         24
        .size:           8
        .value_kind:     global_buffer
      - .actual_access:  read_only
        .address_space:  global
        .offset:         32
        .size:           8
        .value_kind:     global_buffer
      - .offset:         40
        .size:           8
        .value_kind:     by_value
      - .actual_access:  read_only
        .address_space:  global
        .offset:         48
        .size:           8
        .value_kind:     global_buffer
      - .actual_access:  read_only
        .address_space:  global
        .offset:         56
        .size:           8
        .value_kind:     global_buffer
      - .actual_access:  read_only
        .address_space:  global
        .offset:         64
        .size:           8
        .value_kind:     global_buffer
      - .actual_access:  read_only
        .address_space:  global
        .offset:         72
        .size:           8
        .value_kind:     global_buffer
      - .actual_access:  read_only
        .address_space:  global
        .offset:         80
        .size:           8
        .value_kind:     global_buffer
      - .actual_access:  read_only
        .address_space:  global
        .offset:         88
        .size:           8
        .value_kind:     global_buffer
      - .offset:         96
        .size:           8
        .value_kind:     by_value
      - .actual_access:  read_only
        .address_space:  global
        .offset:         104
        .size:           8
        .value_kind:     global_buffer
      - .actual_access:  read_only
        .address_space:  global
        .offset:         112
        .size:           8
        .value_kind:     global_buffer
      - .actual_access:  read_only
        .address_space:  global
        .offset:         120
        .size:           8
        .value_kind:     global_buffer
      - .actual_access:  read_only
        .address_space:  global
        .offset:         128
        .size:           8
        .value_kind:     global_buffer
      - .actual_access:  write_only
        .address_space:  global
        .offset:         136
        .size:           8
        .value_kind:     global_buffer
      - .actual_access:  write_only
        .address_space:  global
        .offset:         144
        .size:           8
        .value_kind:     global_buffer
      - .address_space:  global
        .offset:         152
        .size:           8
        .value_kind:     global_buffer
      - .offset:         160
        .size:           4
        .value_kind:     by_value
      - .offset:         164
        .size:           4
        .value_kind:     by_value
      - .offset:         168
        .size:           4
        .value_kind:     by_value
      - .offset:         172
        .size:           4
        .value_kind:     by_value
      - .offset:         176
        .size:           1
        .value_kind:     by_value
      - .offset:         177
        .size:           1
        .value_kind:     by_value
      - .offset:         178
        .size:           1
        .value_kind:     by_value
    .group_segment_fixed_size: 6152
    .kernarg_segment_align: 8
    .kernarg_segment_size: 180
    .language:       OpenCL C
    .language_version:
      - 2
      - 0
    .max_flat_workgroup_size: 256
    .name:           _ZN9rocsparseL38bsrgemm_block_per_row_atomic_multipassILj256ELj256ELj2EllfEEv20rocsparse_direction_T3_S2_PKS2_S4_NS_24const_host_device_scalarIT4_EEPKT2_S4_PKS6_SA_S4_SC_S7_SA_S4_SC_SA_PS2_PS6_PS8_21rocsparse_index_base_SG_SG_SG_bbb
    .private_segment_fixed_size: 0
    .sgpr_count:     70
    .sgpr_spill_count: 0
    .symbol:         _ZN9rocsparseL38bsrgemm_block_per_row_atomic_multipassILj256ELj256ELj2EllfEEv20rocsparse_direction_T3_S2_PKS2_S4_NS_24const_host_device_scalarIT4_EEPKT2_S4_PKS6_SA_S4_SC_S7_SA_S4_SC_SA_PS2_PS6_PS8_21rocsparse_index_base_SG_SG_SG_bbb.kd
    .uniform_work_group_size: 1
    .uses_dynamic_stack: false
    .vgpr_count:     64
    .vgpr_spill_count: 0
    .wavefront_size: 32
    .workgroup_processor_mode: 1
  - .args:
      - .offset:         0
        .size:           4
        .value_kind:     by_value
      - .offset:         8
        .size:           8
        .value_kind:     by_value
      - .offset:         16
        .size:           8
        .value_kind:     by_value
      - .offset:         24
        .size:           8
        .value_kind:     by_value
      - .actual_access:  read_only
        .address_space:  global
        .offset:         32
        .size:           8
        .value_kind:     global_buffer
      - .actual_access:  read_only
        .address_space:  global
        .offset:         40
        .size:           8
        .value_kind:     global_buffer
      - .offset:         48
        .size:           8
        .value_kind:     by_value
      - .actual_access:  read_only
        .address_space:  global
        .offset:         56
        .size:           8
        .value_kind:     global_buffer
      - .actual_access:  read_only
        .address_space:  global
        .offset:         64
        .size:           8
        .value_kind:     global_buffer
      - .actual_access:  read_only
        .address_space:  global
        .offset:         72
        .size:           8
        .value_kind:     global_buffer
      - .actual_access:  read_only
        .address_space:  global
        .offset:         80
        .size:           8
        .value_kind:     global_buffer
      - .actual_access:  read_only
        .address_space:  global
        .offset:         88
        .size:           8
        .value_kind:     global_buffer
      - .actual_access:  read_only
        .address_space:  global
        .offset:         96
        .size:           8
        .value_kind:     global_buffer
      - .offset:         104
        .size:           8
        .value_kind:     by_value
      - .actual_access:  read_only
        .address_space:  global
        .offset:         112
        .size:           8
        .value_kind:     global_buffer
      - .actual_access:  read_only
        .address_space:  global
        .offset:         120
        .size:           8
        .value_kind:     global_buffer
      - .actual_access:  read_only
        .address_space:  global
        .offset:         128
        .size:           8
        .value_kind:     global_buffer
      - .actual_access:  read_only
        .address_space:  global
        .offset:         136
        .size:           8
        .value_kind:     global_buffer
      - .actual_access:  write_only
        .address_space:  global
        .offset:         144
        .size:           8
        .value_kind:     global_buffer
      - .actual_access:  write_only
        .address_space:  global
        .offset:         152
        .size:           8
        .value_kind:     global_buffer
      - .offset:         160
        .size:           4
        .value_kind:     by_value
      - .offset:         164
        .size:           4
        .value_kind:     by_value
      - .offset:         168
        .size:           4
        .value_kind:     by_value
      - .offset:         172
        .size:           4
        .value_kind:     by_value
      - .offset:         176
        .size:           1
        .value_kind:     by_value
      - .offset:         177
        .size:           1
        .value_kind:     by_value
      - .offset:         178
        .size:           1
        .value_kind:     by_value
    .group_segment_fixed_size: 2304
    .kernarg_segment_align: 8
    .kernarg_segment_size: 180
    .language:       OpenCL C
    .language_version:
      - 2
      - 0
    .max_flat_workgroup_size: 256
    .name:           _ZN9rocsparseL23bsrgemm_fill_wf_per_rowILj256ELj64ELj8ELj137ELj4EllfEEv20rocsparse_direction_T5_S2_S2_PKS2_S4_NS_24const_host_device_scalarIT6_EEPKT4_S4_PKS6_SA_S4_SC_S7_SA_S4_SC_SA_PS2_PS6_21rocsparse_index_base_SF_SF_SF_bbb
    .private_segment_fixed_size: 0
    .sgpr_count:     55
    .sgpr_spill_count: 0
    .symbol:         _ZN9rocsparseL23bsrgemm_fill_wf_per_rowILj256ELj64ELj8ELj137ELj4EllfEEv20rocsparse_direction_T5_S2_S2_PKS2_S4_NS_24const_host_device_scalarIT6_EEPKT4_S4_PKS6_SA_S4_SC_S7_SA_S4_SC_SA_PS2_PS6_21rocsparse_index_base_SF_SF_SF_bbb.kd
    .uniform_work_group_size: 1
    .uses_dynamic_stack: false
    .vgpr_count:     40
    .vgpr_spill_count: 0
    .wavefront_size: 32
    .workgroup_processor_mode: 1
  - .args:
      - .offset:         0
        .size:           4
        .value_kind:     by_value
      - .offset:         8
        .size:           8
        .value_kind:     by_value
      - .offset:         16
        .size:           8
        .value_kind:     by_value
      - .offset:         24
        .size:           8
        .value_kind:     by_value
      - .actual_access:  read_only
        .address_space:  global
        .offset:         32
        .size:           8
        .value_kind:     global_buffer
      - .actual_access:  read_only
        .address_space:  global
        .offset:         40
        .size:           8
        .value_kind:     global_buffer
      - .offset:         48
        .size:           8
        .value_kind:     by_value
      - .actual_access:  read_only
        .address_space:  global
        .offset:         56
        .size:           8
        .value_kind:     global_buffer
      - .actual_access:  read_only
        .address_space:  global
        .offset:         64
        .size:           8
        .value_kind:     global_buffer
      - .actual_access:  read_only
        .address_space:  global
        .offset:         72
        .size:           8
        .value_kind:     global_buffer
      - .actual_access:  read_only
        .address_space:  global
        .offset:         80
        .size:           8
        .value_kind:     global_buffer
      - .actual_access:  read_only
        .address_space:  global
        .offset:         88
        .size:           8
        .value_kind:     global_buffer
      - .actual_access:  read_only
        .address_space:  global
        .offset:         96
        .size:           8
        .value_kind:     global_buffer
      - .offset:         104
        .size:           8
        .value_kind:     by_value
      - .actual_access:  read_only
        .address_space:  global
        .offset:         112
        .size:           8
        .value_kind:     global_buffer
      - .actual_access:  read_only
        .address_space:  global
        .offset:         120
        .size:           8
        .value_kind:     global_buffer
      - .actual_access:  read_only
        .address_space:  global
        .offset:         128
        .size:           8
        .value_kind:     global_buffer
      - .actual_access:  read_only
        .address_space:  global
        .offset:         136
        .size:           8
        .value_kind:     global_buffer
      - .actual_access:  write_only
        .address_space:  global
        .offset:         144
        .size:           8
        .value_kind:     global_buffer
      - .actual_access:  write_only
        .address_space:  global
        .offset:         152
        .size:           8
        .value_kind:     global_buffer
      - .offset:         160
        .size:           4
        .value_kind:     by_value
      - .offset:         164
        .size:           4
        .value_kind:     by_value
      - .offset:         168
        .size:           4
        .value_kind:     by_value
      - .offset:         172
        .size:           4
        .value_kind:     by_value
      - .offset:         176
        .size:           1
        .value_kind:     by_value
      - .offset:         177
        .size:           1
        .value_kind:     by_value
      - .offset:         178
        .size:           1
        .value_kind:     by_value
    .group_segment_fixed_size: 4608
    .kernarg_segment_align: 8
    .kernarg_segment_size: 180
    .language:       OpenCL C
    .language_version:
      - 2
      - 0
    .max_flat_workgroup_size: 256
    .name:           _ZN9rocsparseL23bsrgemm_fill_wf_per_rowILj256ELj64ELj16ELj137ELj4EllfEEv20rocsparse_direction_T5_S2_S2_PKS2_S4_NS_24const_host_device_scalarIT6_EEPKT4_S4_PKS6_SA_S4_SC_S7_SA_S4_SC_SA_PS2_PS6_21rocsparse_index_base_SF_SF_SF_bbb
    .private_segment_fixed_size: 0
    .sgpr_count:     55
    .sgpr_spill_count: 0
    .symbol:         _ZN9rocsparseL23bsrgemm_fill_wf_per_rowILj256ELj64ELj16ELj137ELj4EllfEEv20rocsparse_direction_T5_S2_S2_PKS2_S4_NS_24const_host_device_scalarIT6_EEPKT4_S4_PKS6_SA_S4_SC_S7_SA_S4_SC_SA_PS2_PS6_21rocsparse_index_base_SF_SF_SF_bbb.kd
    .uniform_work_group_size: 1
    .uses_dynamic_stack: false
    .vgpr_count:     45
    .vgpr_spill_count: 0
    .wavefront_size: 32
    .workgroup_processor_mode: 1
  - .args:
      - .offset:         0
        .size:           4
        .value_kind:     by_value
      - .offset:         8
        .size:           8
        .value_kind:     by_value
      - .offset:         16
        .size:           8
        .value_kind:     by_value
      - .actual_access:  read_only
        .address_space:  global
        .offset:         24
        .size:           8
        .value_kind:     global_buffer
      - .actual_access:  read_only
        .address_space:  global
        .offset:         32
        .size:           8
        .value_kind:     global_buffer
      - .offset:         40
        .size:           8
        .value_kind:     by_value
      - .actual_access:  read_only
        .address_space:  global
        .offset:         48
        .size:           8
        .value_kind:     global_buffer
      - .actual_access:  read_only
        .address_space:  global
        .offset:         56
        .size:           8
        .value_kind:     global_buffer
      - .actual_access:  read_only
        .address_space:  global
        .offset:         64
        .size:           8
        .value_kind:     global_buffer
      - .actual_access:  read_only
        .address_space:  global
        .offset:         72
        .size:           8
        .value_kind:     global_buffer
      - .actual_access:  read_only
        .address_space:  global
        .offset:         80
        .size:           8
        .value_kind:     global_buffer
      - .actual_access:  read_only
        .address_space:  global
        .offset:         88
        .size:           8
        .value_kind:     global_buffer
      - .offset:         96
        .size:           8
        .value_kind:     by_value
      - .actual_access:  read_only
        .address_space:  global
        .offset:         104
        .size:           8
        .value_kind:     global_buffer
      - .actual_access:  read_only
        .address_space:  global
        .offset:         112
        .size:           8
        .value_kind:     global_buffer
      - .actual_access:  read_only
        .address_space:  global
        .offset:         120
        .size:           8
        .value_kind:     global_buffer
      - .actual_access:  read_only
        .address_space:  global
        .offset:         128
        .size:           8
        .value_kind:     global_buffer
      - .actual_access:  write_only
        .address_space:  global
        .offset:         136
        .size:           8
        .value_kind:     global_buffer
      - .actual_access:  write_only
        .address_space:  global
        .offset:         144
        .size:           8
        .value_kind:     global_buffer
      - .address_space:  global
        .offset:         152
        .size:           8
        .value_kind:     global_buffer
      - .offset:         160
        .size:           4
        .value_kind:     by_value
      - .offset:         164
        .size:           4
        .value_kind:     by_value
      - .offset:         168
        .size:           4
        .value_kind:     by_value
      - .offset:         172
        .size:           4
        .value_kind:     by_value
      - .offset:         176
        .size:           1
        .value_kind:     by_value
      - .offset:         177
        .size:           1
        .value_kind:     by_value
      - .offset:         178
        .size:           1
        .value_kind:     by_value
    .group_segment_fixed_size: 3208
    .kernarg_segment_align: 8
    .kernarg_segment_size: 180
    .language:       OpenCL C
    .language_version:
      - 2
      - 0
    .max_flat_workgroup_size: 256
    .name:           _ZN9rocsparseL38bsrgemm_block_per_row_atomic_multipassILj256ELj32ELj4EllfEEv20rocsparse_direction_T3_S2_PKS2_S4_NS_24const_host_device_scalarIT4_EEPKT2_S4_PKS6_SA_S4_SC_S7_SA_S4_SC_SA_PS2_PS6_PS8_21rocsparse_index_base_SG_SG_SG_bbb
    .private_segment_fixed_size: 0
    .sgpr_count:     68
    .sgpr_spill_count: 0
    .symbol:         _ZN9rocsparseL38bsrgemm_block_per_row_atomic_multipassILj256ELj32ELj4EllfEEv20rocsparse_direction_T3_S2_PKS2_S4_NS_24const_host_device_scalarIT4_EEPKT2_S4_PKS6_SA_S4_SC_S7_SA_S4_SC_SA_PS2_PS6_PS8_21rocsparse_index_base_SG_SG_SG_bbb.kd
    .uniform_work_group_size: 1
    .uses_dynamic_stack: false
    .vgpr_count:     61
    .vgpr_spill_count: 0
    .wavefront_size: 32
    .workgroup_processor_mode: 1
  - .args:
      - .offset:         0
        .size:           4
        .value_kind:     by_value
      - .offset:         8
        .size:           8
        .value_kind:     by_value
      - .offset:         16
        .size:           8
        .value_kind:     by_value
      - .actual_access:  read_only
        .address_space:  global
        .offset:         24
        .size:           8
        .value_kind:     global_buffer
      - .actual_access:  read_only
        .address_space:  global
        .offset:         32
        .size:           8
        .value_kind:     global_buffer
      - .offset:         40
        .size:           8
        .value_kind:     by_value
      - .actual_access:  read_only
        .address_space:  global
        .offset:         48
        .size:           8
        .value_kind:     global_buffer
      - .actual_access:  read_only
        .address_space:  global
        .offset:         56
        .size:           8
        .value_kind:     global_buffer
      - .actual_access:  read_only
        .address_space:  global
        .offset:         64
        .size:           8
        .value_kind:     global_buffer
      - .actual_access:  read_only
        .address_space:  global
        .offset:         72
        .size:           8
        .value_kind:     global_buffer
      - .actual_access:  read_only
        .address_space:  global
        .offset:         80
        .size:           8
        .value_kind:     global_buffer
      - .actual_access:  read_only
        .address_space:  global
        .offset:         88
        .size:           8
        .value_kind:     global_buffer
      - .offset:         96
        .size:           8
        .value_kind:     by_value
      - .actual_access:  read_only
        .address_space:  global
        .offset:         104
        .size:           8
        .value_kind:     global_buffer
      - .actual_access:  read_only
        .address_space:  global
        .offset:         112
        .size:           8
        .value_kind:     global_buffer
      - .actual_access:  read_only
        .address_space:  global
        .offset:         120
        .size:           8
        .value_kind:     global_buffer
      - .actual_access:  read_only
        .address_space:  global
        .offset:         128
        .size:           8
        .value_kind:     global_buffer
      - .actual_access:  write_only
        .address_space:  global
        .offset:         136
        .size:           8
        .value_kind:     global_buffer
      - .actual_access:  write_only
        .address_space:  global
        .offset:         144
        .size:           8
        .value_kind:     global_buffer
      - .address_space:  global
        .offset:         152
        .size:           8
        .value_kind:     global_buffer
      - .offset:         160
        .size:           4
        .value_kind:     by_value
      - .offset:         164
        .size:           4
        .value_kind:     by_value
      - .offset:         168
        .size:           4
        .value_kind:     by_value
      - .offset:         172
        .size:           4
        .value_kind:     by_value
      - .offset:         176
        .size:           1
        .value_kind:     by_value
      - .offset:         177
        .size:           1
        .value_kind:     by_value
      - .offset:         178
        .size:           1
        .value_kind:     by_value
    .group_segment_fixed_size: 5384
    .kernarg_segment_align: 8
    .kernarg_segment_size: 180
    .language:       OpenCL C
    .language_version:
      - 2
      - 0
    .max_flat_workgroup_size: 256
    .name:           _ZN9rocsparseL38bsrgemm_block_per_row_atomic_multipassILj256ELj64ELj4EllfEEv20rocsparse_direction_T3_S2_PKS2_S4_NS_24const_host_device_scalarIT4_EEPKT2_S4_PKS6_SA_S4_SC_S7_SA_S4_SC_SA_PS2_PS6_PS8_21rocsparse_index_base_SG_SG_SG_bbb
    .private_segment_fixed_size: 0
    .sgpr_count:     68
    .sgpr_spill_count: 0
    .symbol:         _ZN9rocsparseL38bsrgemm_block_per_row_atomic_multipassILj256ELj64ELj4EllfEEv20rocsparse_direction_T3_S2_PKS2_S4_NS_24const_host_device_scalarIT4_EEPKT2_S4_PKS6_SA_S4_SC_S7_SA_S4_SC_SA_PS2_PS6_PS8_21rocsparse_index_base_SG_SG_SG_bbb.kd
    .uniform_work_group_size: 1
    .uses_dynamic_stack: false
    .vgpr_count:     62
    .vgpr_spill_count: 0
    .wavefront_size: 32
    .workgroup_processor_mode: 1
  - .args:
      - .offset:         0
        .size:           4
        .value_kind:     by_value
      - .offset:         8
        .size:           8
        .value_kind:     by_value
      - .offset:         16
        .size:           8
        .value_kind:     by_value
      - .actual_access:  read_only
        .address_space:  global
        .offset:         24
        .size:           8
        .value_kind:     global_buffer
      - .actual_access:  read_only
        .address_space:  global
        .offset:         32
        .size:           8
        .value_kind:     global_buffer
      - .offset:         40
        .size:           8
        .value_kind:     by_value
      - .actual_access:  read_only
        .address_space:  global
        .offset:         48
        .size:           8
        .value_kind:     global_buffer
      - .actual_access:  read_only
        .address_space:  global
        .offset:         56
        .size:           8
        .value_kind:     global_buffer
      - .actual_access:  read_only
        .address_space:  global
        .offset:         64
        .size:           8
        .value_kind:     global_buffer
      - .actual_access:  read_only
        .address_space:  global
        .offset:         72
        .size:           8
        .value_kind:     global_buffer
      - .actual_access:  read_only
        .address_space:  global
        .offset:         80
        .size:           8
        .value_kind:     global_buffer
      - .actual_access:  read_only
        .address_space:  global
        .offset:         88
        .size:           8
        .value_kind:     global_buffer
      - .offset:         96
        .size:           8
        .value_kind:     by_value
      - .actual_access:  read_only
        .address_space:  global
        .offset:         104
        .size:           8
        .value_kind:     global_buffer
      - .actual_access:  read_only
        .address_space:  global
        .offset:         112
        .size:           8
        .value_kind:     global_buffer
      - .actual_access:  read_only
        .address_space:  global
        .offset:         120
        .size:           8
        .value_kind:     global_buffer
      - .actual_access:  read_only
        .address_space:  global
        .offset:         128
        .size:           8
        .value_kind:     global_buffer
      - .actual_access:  write_only
        .address_space:  global
        .offset:         136
        .size:           8
        .value_kind:     global_buffer
      - .actual_access:  write_only
        .address_space:  global
        .offset:         144
        .size:           8
        .value_kind:     global_buffer
      - .address_space:  global
        .offset:         152
        .size:           8
        .value_kind:     global_buffer
      - .offset:         160
        .size:           4
        .value_kind:     by_value
      - .offset:         164
        .size:           4
        .value_kind:     by_value
      - .offset:         168
        .size:           4
        .value_kind:     by_value
      - .offset:         172
        .size:           4
        .value_kind:     by_value
      - .offset:         176
        .size:           1
        .value_kind:     by_value
      - .offset:         177
        .size:           1
        .value_kind:     by_value
      - .offset:         178
        .size:           1
        .value_kind:     by_value
    .group_segment_fixed_size: 9736
    .kernarg_segment_align: 8
    .kernarg_segment_size: 180
    .language:       OpenCL C
    .language_version:
      - 2
      - 0
    .max_flat_workgroup_size: 256
    .name:           _ZN9rocsparseL38bsrgemm_block_per_row_atomic_multipassILj256ELj128ELj4EllfEEv20rocsparse_direction_T3_S2_PKS2_S4_NS_24const_host_device_scalarIT4_EEPKT2_S4_PKS6_SA_S4_SC_S7_SA_S4_SC_SA_PS2_PS6_PS8_21rocsparse_index_base_SG_SG_SG_bbb
    .private_segment_fixed_size: 0
    .sgpr_count:     72
    .sgpr_spill_count: 0
    .symbol:         _ZN9rocsparseL38bsrgemm_block_per_row_atomic_multipassILj256ELj128ELj4EllfEEv20rocsparse_direction_T3_S2_PKS2_S4_NS_24const_host_device_scalarIT4_EEPKT2_S4_PKS6_SA_S4_SC_S7_SA_S4_SC_SA_PS2_PS6_PS8_21rocsparse_index_base_SG_SG_SG_bbb.kd
    .uniform_work_group_size: 1
    .uses_dynamic_stack: false
    .vgpr_count:     62
    .vgpr_spill_count: 0
    .wavefront_size: 32
    .workgroup_processor_mode: 1
  - .args:
      - .offset:         0
        .size:           4
        .value_kind:     by_value
      - .offset:         8
        .size:           8
        .value_kind:     by_value
      - .offset:         16
        .size:           8
        .value_kind:     by_value
      - .offset:         24
        .size:           8
        .value_kind:     by_value
      - .actual_access:  read_only
        .address_space:  global
        .offset:         32
        .size:           8
        .value_kind:     global_buffer
      - .actual_access:  read_only
        .address_space:  global
        .offset:         40
        .size:           8
        .value_kind:     global_buffer
      - .offset:         48
        .size:           8
        .value_kind:     by_value
      - .actual_access:  read_only
        .address_space:  global
        .offset:         56
        .size:           8
        .value_kind:     global_buffer
      - .actual_access:  read_only
        .address_space:  global
        .offset:         64
        .size:           8
        .value_kind:     global_buffer
      - .actual_access:  read_only
        .address_space:  global
        .offset:         72
        .size:           8
        .value_kind:     global_buffer
      - .actual_access:  read_only
        .address_space:  global
        .offset:         80
        .size:           8
        .value_kind:     global_buffer
      - .actual_access:  read_only
        .address_space:  global
        .offset:         88
        .size:           8
        .value_kind:     global_buffer
      - .actual_access:  read_only
        .address_space:  global
        .offset:         96
        .size:           8
        .value_kind:     global_buffer
      - .offset:         104
        .size:           8
        .value_kind:     by_value
      - .actual_access:  read_only
        .address_space:  global
        .offset:         112
        .size:           8
        .value_kind:     global_buffer
      - .actual_access:  read_only
        .address_space:  global
        .offset:         120
        .size:           8
        .value_kind:     global_buffer
      - .actual_access:  read_only
        .address_space:  global
        .offset:         128
        .size:           8
        .value_kind:     global_buffer
      - .actual_access:  read_only
        .address_space:  global
        .offset:         136
        .size:           8
        .value_kind:     global_buffer
      - .actual_access:  write_only
        .address_space:  global
        .offset:         144
        .size:           8
        .value_kind:     global_buffer
      - .actual_access:  write_only
        .address_space:  global
        .offset:         152
        .size:           8
        .value_kind:     global_buffer
      - .offset:         160
        .size:           4
        .value_kind:     by_value
      - .offset:         164
        .size:           4
        .value_kind:     by_value
      - .offset:         168
        .size:           4
        .value_kind:     by_value
      - .offset:         172
        .size:           4
        .value_kind:     by_value
      - .offset:         176
        .size:           1
        .value_kind:     by_value
      - .offset:         177
        .size:           1
        .value_kind:     by_value
      - .offset:         178
        .size:           1
        .value_kind:     by_value
    .group_segment_fixed_size: 8448
    .kernarg_segment_align: 8
    .kernarg_segment_size: 180
    .language:       OpenCL C
    .language_version:
      - 2
      - 0
    .max_flat_workgroup_size: 256
    .name:           _ZN9rocsparseL23bsrgemm_fill_wf_per_rowILj256ELj64ELj8ELj137ELj8EllfEEv20rocsparse_direction_T5_S2_S2_PKS2_S4_NS_24const_host_device_scalarIT6_EEPKT4_S4_PKS6_SA_S4_SC_S7_SA_S4_SC_SA_PS2_PS6_21rocsparse_index_base_SF_SF_SF_bbb
    .private_segment_fixed_size: 0
    .sgpr_count:     53
    .sgpr_spill_count: 0
    .symbol:         _ZN9rocsparseL23bsrgemm_fill_wf_per_rowILj256ELj64ELj8ELj137ELj8EllfEEv20rocsparse_direction_T5_S2_S2_PKS2_S4_NS_24const_host_device_scalarIT6_EEPKT4_S4_PKS6_SA_S4_SC_S7_SA_S4_SC_SA_PS2_PS6_21rocsparse_index_base_SF_SF_SF_bbb.kd
    .uniform_work_group_size: 1
    .uses_dynamic_stack: false
    .vgpr_count:     41
    .vgpr_spill_count: 0
    .wavefront_size: 32
    .workgroup_processor_mode: 1
  - .args:
      - .offset:         0
        .size:           4
        .value_kind:     by_value
      - .offset:         8
        .size:           8
        .value_kind:     by_value
      - .offset:         16
        .size:           8
        .value_kind:     by_value
      - .actual_access:  read_only
        .address_space:  global
        .offset:         24
        .size:           8
        .value_kind:     global_buffer
      - .actual_access:  read_only
        .address_space:  global
        .offset:         32
        .size:           8
        .value_kind:     global_buffer
      - .offset:         40
        .size:           8
        .value_kind:     by_value
      - .actual_access:  read_only
        .address_space:  global
        .offset:         48
        .size:           8
        .value_kind:     global_buffer
      - .actual_access:  read_only
        .address_space:  global
        .offset:         56
        .size:           8
        .value_kind:     global_buffer
      - .actual_access:  read_only
        .address_space:  global
        .offset:         64
        .size:           8
        .value_kind:     global_buffer
      - .actual_access:  read_only
        .address_space:  global
        .offset:         72
        .size:           8
        .value_kind:     global_buffer
      - .actual_access:  read_only
        .address_space:  global
        .offset:         80
        .size:           8
        .value_kind:     global_buffer
      - .actual_access:  read_only
        .address_space:  global
        .offset:         88
        .size:           8
        .value_kind:     global_buffer
      - .offset:         96
        .size:           8
        .value_kind:     by_value
      - .actual_access:  read_only
        .address_space:  global
        .offset:         104
        .size:           8
        .value_kind:     global_buffer
      - .actual_access:  read_only
        .address_space:  global
        .offset:         112
        .size:           8
        .value_kind:     global_buffer
      - .actual_access:  read_only
        .address_space:  global
        .offset:         120
        .size:           8
        .value_kind:     global_buffer
      - .actual_access:  read_only
        .address_space:  global
        .offset:         128
        .size:           8
        .value_kind:     global_buffer
      - .actual_access:  write_only
        .address_space:  global
        .offset:         136
        .size:           8
        .value_kind:     global_buffer
      - .actual_access:  write_only
        .address_space:  global
        .offset:         144
        .size:           8
        .value_kind:     global_buffer
      - .address_space:  global
        .offset:         152
        .size:           8
        .value_kind:     global_buffer
      - .offset:         160
        .size:           4
        .value_kind:     by_value
      - .offset:         164
        .size:           4
        .value_kind:     by_value
      - .offset:         168
        .size:           4
        .value_kind:     by_value
      - .offset:         172
        .size:           4
        .value_kind:     by_value
      - .offset:         176
        .size:           1
        .value_kind:     by_value
      - .offset:         177
        .size:           1
        .value_kind:     by_value
      - .offset:         178
        .size:           1
        .value_kind:     by_value
    .group_segment_fixed_size: 5192
    .kernarg_segment_align: 8
    .kernarg_segment_size: 180
    .language:       OpenCL C
    .language_version:
      - 2
      - 0
    .max_flat_workgroup_size: 256
    .name:           _ZN9rocsparseL38bsrgemm_block_per_row_atomic_multipassILj256ELj16ELj8EllfEEv20rocsparse_direction_T3_S2_PKS2_S4_NS_24const_host_device_scalarIT4_EEPKT2_S4_PKS6_SA_S4_SC_S7_SA_S4_SC_SA_PS2_PS6_PS8_21rocsparse_index_base_SG_SG_SG_bbb
    .private_segment_fixed_size: 0
    .sgpr_count:     66
    .sgpr_spill_count: 0
    .symbol:         _ZN9rocsparseL38bsrgemm_block_per_row_atomic_multipassILj256ELj16ELj8EllfEEv20rocsparse_direction_T3_S2_PKS2_S4_NS_24const_host_device_scalarIT4_EEPKT2_S4_PKS6_SA_S4_SC_S7_SA_S4_SC_SA_PS2_PS6_PS8_21rocsparse_index_base_SG_SG_SG_bbb.kd
    .uniform_work_group_size: 1
    .uses_dynamic_stack: false
    .vgpr_count:     60
    .vgpr_spill_count: 0
    .wavefront_size: 32
    .workgroup_processor_mode: 1
  - .args:
      - .offset:         0
        .size:           4
        .value_kind:     by_value
      - .offset:         8
        .size:           8
        .value_kind:     by_value
      - .offset:         16
        .size:           8
        .value_kind:     by_value
      - .actual_access:  read_only
        .address_space:  global
        .offset:         24
        .size:           8
        .value_kind:     global_buffer
      - .actual_access:  read_only
        .address_space:  global
        .offset:         32
        .size:           8
        .value_kind:     global_buffer
      - .offset:         40
        .size:           8
        .value_kind:     by_value
      - .actual_access:  read_only
        .address_space:  global
        .offset:         48
        .size:           8
        .value_kind:     global_buffer
      - .actual_access:  read_only
        .address_space:  global
        .offset:         56
        .size:           8
        .value_kind:     global_buffer
      - .actual_access:  read_only
        .address_space:  global
        .offset:         64
        .size:           8
        .value_kind:     global_buffer
      - .actual_access:  read_only
        .address_space:  global
        .offset:         72
        .size:           8
        .value_kind:     global_buffer
      - .actual_access:  read_only
        .address_space:  global
        .offset:         80
        .size:           8
        .value_kind:     global_buffer
      - .actual_access:  read_only
        .address_space:  global
        .offset:         88
        .size:           8
        .value_kind:     global_buffer
      - .offset:         96
        .size:           8
        .value_kind:     by_value
      - .actual_access:  read_only
        .address_space:  global
        .offset:         104
        .size:           8
        .value_kind:     global_buffer
      - .actual_access:  read_only
        .address_space:  global
        .offset:         112
        .size:           8
        .value_kind:     global_buffer
      - .actual_access:  read_only
        .address_space:  global
        .offset:         120
        .size:           8
        .value_kind:     global_buffer
      - .actual_access:  read_only
        .address_space:  global
        .offset:         128
        .size:           8
        .value_kind:     global_buffer
      - .actual_access:  write_only
        .address_space:  global
        .offset:         136
        .size:           8
        .value_kind:     global_buffer
      - .actual_access:  write_only
        .address_space:  global
        .offset:         144
        .size:           8
        .value_kind:     global_buffer
      - .address_space:  global
        .offset:         152
        .size:           8
        .value_kind:     global_buffer
      - .offset:         160
        .size:           4
        .value_kind:     by_value
      - .offset:         164
        .size:           4
        .value_kind:     by_value
      - .offset:         168
        .size:           4
        .value_kind:     by_value
      - .offset:         172
        .size:           4
        .value_kind:     by_value
      - .offset:         176
        .size:           1
        .value_kind:     by_value
      - .offset:         177
        .size:           1
        .value_kind:     by_value
      - .offset:         178
        .size:           1
        .value_kind:     by_value
    .group_segment_fixed_size: 9352
    .kernarg_segment_align: 8
    .kernarg_segment_size: 180
    .language:       OpenCL C
    .language_version:
      - 2
      - 0
    .max_flat_workgroup_size: 256
    .name:           _ZN9rocsparseL38bsrgemm_block_per_row_atomic_multipassILj256ELj32ELj8EllfEEv20rocsparse_direction_T3_S2_PKS2_S4_NS_24const_host_device_scalarIT4_EEPKT2_S4_PKS6_SA_S4_SC_S7_SA_S4_SC_SA_PS2_PS6_PS8_21rocsparse_index_base_SG_SG_SG_bbb
    .private_segment_fixed_size: 0
    .sgpr_count:     70
    .sgpr_spill_count: 0
    .symbol:         _ZN9rocsparseL38bsrgemm_block_per_row_atomic_multipassILj256ELj32ELj8EllfEEv20rocsparse_direction_T3_S2_PKS2_S4_NS_24const_host_device_scalarIT4_EEPKT2_S4_PKS6_SA_S4_SC_S7_SA_S4_SC_SA_PS2_PS6_PS8_21rocsparse_index_base_SG_SG_SG_bbb.kd
    .uniform_work_group_size: 1
    .uses_dynamic_stack: false
    .vgpr_count:     60
    .vgpr_spill_count: 0
    .wavefront_size: 32
    .workgroup_processor_mode: 1
  - .args:
      - .offset:         0
        .size:           4
        .value_kind:     by_value
      - .offset:         8
        .size:           8
        .value_kind:     by_value
      - .offset:         16
        .size:           8
        .value_kind:     by_value
      - .actual_access:  read_only
        .address_space:  global
        .offset:         24
        .size:           8
        .value_kind:     global_buffer
      - .actual_access:  read_only
        .address_space:  global
        .offset:         32
        .size:           8
        .value_kind:     global_buffer
      - .offset:         40
        .size:           8
        .value_kind:     by_value
      - .actual_access:  read_only
        .address_space:  global
        .offset:         48
        .size:           8
        .value_kind:     global_buffer
      - .actual_access:  read_only
        .address_space:  global
        .offset:         56
        .size:           8
        .value_kind:     global_buffer
      - .actual_access:  read_only
        .address_space:  global
        .offset:         64
        .size:           8
        .value_kind:     global_buffer
      - .actual_access:  read_only
        .address_space:  global
        .offset:         72
        .size:           8
        .value_kind:     global_buffer
      - .actual_access:  read_only
        .address_space:  global
        .offset:         80
        .size:           8
        .value_kind:     global_buffer
      - .actual_access:  read_only
        .address_space:  global
        .offset:         88
        .size:           8
        .value_kind:     global_buffer
      - .offset:         96
        .size:           8
        .value_kind:     by_value
      - .actual_access:  read_only
        .address_space:  global
        .offset:         104
        .size:           8
        .value_kind:     global_buffer
      - .actual_access:  read_only
        .address_space:  global
        .offset:         112
        .size:           8
        .value_kind:     global_buffer
      - .actual_access:  read_only
        .address_space:  global
        .offset:         120
        .size:           8
        .value_kind:     global_buffer
      - .actual_access:  read_only
        .address_space:  global
        .offset:         128
        .size:           8
        .value_kind:     global_buffer
      - .actual_access:  write_only
        .address_space:  global
        .offset:         136
        .size:           8
        .value_kind:     global_buffer
      - .actual_access:  write_only
        .address_space:  global
        .offset:         144
        .size:           8
        .value_kind:     global_buffer
      - .address_space:  global
        .offset:         152
        .size:           8
        .value_kind:     global_buffer
      - .offset:         160
        .size:           4
        .value_kind:     by_value
      - .offset:         164
        .size:           4
        .value_kind:     by_value
      - .offset:         168
        .size:           4
        .value_kind:     by_value
      - .offset:         172
        .size:           4
        .value_kind:     by_value
      - .offset:         176
        .size:           1
        .value_kind:     by_value
      - .offset:         177
        .size:           1
        .value_kind:     by_value
      - .offset:         178
        .size:           1
        .value_kind:     by_value
    .group_segment_fixed_size: 8200
    .kernarg_segment_align: 8
    .kernarg_segment_size: 180
    .language:       OpenCL C
    .language_version:
      - 2
      - 0
    .max_flat_workgroup_size: 256
    .name:           _ZN9rocsparseL31bsrgemm_block_per_row_multipassILj256ELj8ELj16EllfEEv20rocsparse_direction_T3_S2_PKS2_S4_NS_24const_host_device_scalarIT4_EEPKT2_S4_PKS6_SA_S4_SC_S7_SA_S4_SC_SA_PS2_PS6_PS8_21rocsparse_index_base_SG_SG_SG_bbb
    .private_segment_fixed_size: 0
    .sgpr_count:     77
    .sgpr_spill_count: 0
    .symbol:         _ZN9rocsparseL31bsrgemm_block_per_row_multipassILj256ELj8ELj16EllfEEv20rocsparse_direction_T3_S2_PKS2_S4_NS_24const_host_device_scalarIT4_EEPKT2_S4_PKS6_SA_S4_SC_S7_SA_S4_SC_SA_PS2_PS6_PS8_21rocsparse_index_base_SG_SG_SG_bbb.kd
    .uniform_work_group_size: 1
    .uses_dynamic_stack: false
    .vgpr_count:     41
    .vgpr_spill_count: 0
    .wavefront_size: 32
    .workgroup_processor_mode: 1
  - .args:
      - .offset:         0
        .size:           4
        .value_kind:     by_value
      - .offset:         8
        .size:           8
        .value_kind:     by_value
      - .offset:         16
        .size:           8
        .value_kind:     by_value
      - .actual_access:  read_only
        .address_space:  global
        .offset:         24
        .size:           8
        .value_kind:     global_buffer
      - .actual_access:  read_only
        .address_space:  global
        .offset:         32
        .size:           8
        .value_kind:     global_buffer
      - .offset:         40
        .size:           8
        .value_kind:     by_value
      - .actual_access:  read_only
        .address_space:  global
        .offset:         48
        .size:           8
        .value_kind:     global_buffer
      - .actual_access:  read_only
        .address_space:  global
        .offset:         56
        .size:           8
        .value_kind:     global_buffer
      - .actual_access:  read_only
        .address_space:  global
        .offset:         64
        .size:           8
        .value_kind:     global_buffer
      - .actual_access:  read_only
        .address_space:  global
        .offset:         72
        .size:           8
        .value_kind:     global_buffer
      - .actual_access:  read_only
        .address_space:  global
        .offset:         80
        .size:           8
        .value_kind:     global_buffer
      - .actual_access:  read_only
        .address_space:  global
        .offset:         88
        .size:           8
        .value_kind:     global_buffer
      - .offset:         96
        .size:           8
        .value_kind:     by_value
      - .actual_access:  read_only
        .address_space:  global
        .offset:         104
        .size:           8
        .value_kind:     global_buffer
      - .actual_access:  read_only
        .address_space:  global
        .offset:         112
        .size:           8
        .value_kind:     global_buffer
      - .actual_access:  read_only
        .address_space:  global
        .offset:         120
        .size:           8
        .value_kind:     global_buffer
      - .actual_access:  read_only
        .address_space:  global
        .offset:         128
        .size:           8
        .value_kind:     global_buffer
      - .actual_access:  write_only
        .address_space:  global
        .offset:         136
        .size:           8
        .value_kind:     global_buffer
      - .actual_access:  write_only
        .address_space:  global
        .offset:         144
        .size:           8
        .value_kind:     global_buffer
      - .address_space:  global
        .offset:         152
        .size:           8
        .value_kind:     global_buffer
      - .offset:         160
        .size:           4
        .value_kind:     by_value
      - .offset:         164
        .size:           4
        .value_kind:     by_value
      - .offset:         168
        .size:           4
        .value_kind:     by_value
      - .offset:         172
        .size:           4
        .value_kind:     by_value
      - .offset:         176
        .size:           1
        .value_kind:     by_value
      - .offset:         177
        .size:           1
        .value_kind:     by_value
      - .offset:         178
        .size:           1
        .value_kind:     by_value
    .group_segment_fixed_size: 8196
    .kernarg_segment_align: 8
    .kernarg_segment_size: 180
    .language:       OpenCL C
    .language_version:
      - 2
      - 0
    .max_flat_workgroup_size: 256
    .name:           _ZN9rocsparseL31bsrgemm_block_per_row_multipassILj256ELj2ELj32EllfEEv20rocsparse_direction_T3_S2_PKS2_S4_NS_24const_host_device_scalarIT4_EEPKT2_S4_PKS6_SA_S4_SC_S7_SA_S4_SC_SA_PS2_PS6_PS8_21rocsparse_index_base_SG_SG_SG_bbb
    .private_segment_fixed_size: 0
    .sgpr_count:     83
    .sgpr_spill_count: 0
    .symbol:         _ZN9rocsparseL31bsrgemm_block_per_row_multipassILj256ELj2ELj32EllfEEv20rocsparse_direction_T3_S2_PKS2_S4_NS_24const_host_device_scalarIT4_EEPKT2_S4_PKS6_SA_S4_SC_S7_SA_S4_SC_SA_PS2_PS6_PS8_21rocsparse_index_base_SG_SG_SG_bbb.kd
    .uniform_work_group_size: 1
    .uses_dynamic_stack: false
    .vgpr_count:     73
    .vgpr_spill_count: 0
    .wavefront_size: 32
    .workgroup_processor_mode: 1
  - .args:
      - .offset:         0
        .size:           8
        .value_kind:     by_value
      - .actual_access:  read_only
        .address_space:  global
        .offset:         8
        .size:           8
        .value_kind:     global_buffer
      - .actual_access:  write_only
        .address_space:  global
        .offset:         16
        .size:           8
        .value_kind:     global_buffer
      - .actual_access:  write_only
        .address_space:  global
        .offset:         24
        .size:           8
        .value_kind:     global_buffer
      - .offset:         32
        .size:           4
        .value_kind:     hidden_block_count_x
      - .offset:         36
        .size:           4
        .value_kind:     hidden_block_count_y
      - .offset:         40
        .size:           4
        .value_kind:     hidden_block_count_z
      - .offset:         44
        .size:           2
        .value_kind:     hidden_group_size_x
      - .offset:         46
        .size:           2
        .value_kind:     hidden_group_size_y
      - .offset:         48
        .size:           2
        .value_kind:     hidden_group_size_z
      - .offset:         50
        .size:           2
        .value_kind:     hidden_remainder_x
      - .offset:         52
        .size:           2
        .value_kind:     hidden_remainder_y
      - .offset:         54
        .size:           2
        .value_kind:     hidden_remainder_z
      - .offset:         72
        .size:           8
        .value_kind:     hidden_global_offset_x
      - .offset:         80
        .size:           8
        .value_kind:     hidden_global_offset_y
      - .offset:         88
        .size:           8
        .value_kind:     hidden_global_offset_z
      - .offset:         96
        .size:           2
        .value_kind:     hidden_grid_dims
    .group_segment_fixed_size: 16384
    .kernarg_segment_align: 8
    .kernarg_segment_size: 288
    .language:       OpenCL C
    .language_version:
      - 2
      - 0
    .max_flat_workgroup_size: 256
    .name:           _ZN9rocsparseL26bsrgemm_group_reduce_part2ILj256ELj8ELj2EdllEEvT4_PKT3_PS1_Pi
    .private_segment_fixed_size: 0
    .sgpr_count:     21
    .sgpr_spill_count: 0
    .symbol:         _ZN9rocsparseL26bsrgemm_group_reduce_part2ILj256ELj8ELj2EdllEEvT4_PKT3_PS1_Pi.kd
    .uniform_work_group_size: 1
    .uses_dynamic_stack: false
    .vgpr_count:     36
    .vgpr_spill_count: 0
    .wavefront_size: 32
    .workgroup_processor_mode: 1
  - .args:
      - .offset:         0
        .size:           8
        .value_kind:     by_value
      - .actual_access:  read_only
        .address_space:  global
        .offset:         8
        .size:           8
        .value_kind:     global_buffer
      - .actual_access:  write_only
        .address_space:  global
        .offset:         16
        .size:           8
        .value_kind:     global_buffer
      - .actual_access:  write_only
        .address_space:  global
        .offset:         24
        .size:           8
        .value_kind:     global_buffer
      - .offset:         32
        .size:           4
        .value_kind:     hidden_block_count_x
      - .offset:         36
        .size:           4
        .value_kind:     hidden_block_count_y
      - .offset:         40
        .size:           4
        .value_kind:     hidden_block_count_z
      - .offset:         44
        .size:           2
        .value_kind:     hidden_group_size_x
      - .offset:         46
        .size:           2
        .value_kind:     hidden_group_size_y
      - .offset:         48
        .size:           2
        .value_kind:     hidden_group_size_z
      - .offset:         50
        .size:           2
        .value_kind:     hidden_remainder_x
      - .offset:         52
        .size:           2
        .value_kind:     hidden_remainder_y
      - .offset:         54
        .size:           2
        .value_kind:     hidden_remainder_z
      - .offset:         72
        .size:           8
        .value_kind:     hidden_global_offset_x
      - .offset:         80
        .size:           8
        .value_kind:     hidden_global_offset_y
      - .offset:         88
        .size:           8
        .value_kind:     hidden_global_offset_z
      - .offset:         96
        .size:           2
        .value_kind:     hidden_grid_dims
    .group_segment_fixed_size: 16384
    .kernarg_segment_align: 8
    .kernarg_segment_size: 288
    .language:       OpenCL C
    .language_version:
      - 2
      - 0
    .max_flat_workgroup_size: 256
    .name:           _ZN9rocsparseL26bsrgemm_group_reduce_part2ILj256ELj8ELj8EdllEEvT4_PKT3_PS1_Pi
    .private_segment_fixed_size: 0
    .sgpr_count:     21
    .sgpr_spill_count: 0
    .symbol:         _ZN9rocsparseL26bsrgemm_group_reduce_part2ILj256ELj8ELj8EdllEEvT4_PKT3_PS1_Pi.kd
    .uniform_work_group_size: 1
    .uses_dynamic_stack: false
    .vgpr_count:     36
    .vgpr_spill_count: 0
    .wavefront_size: 32
    .workgroup_processor_mode: 1
  - .args:
      - .offset:         0
        .size:           4
        .value_kind:     by_value
      - .offset:         8
        .size:           8
        .value_kind:     by_value
      - .offset:         16
        .size:           8
        .value_kind:     by_value
      - .actual_access:  read_only
        .address_space:  global
        .offset:         24
        .size:           8
        .value_kind:     global_buffer
      - .actual_access:  read_only
        .address_space:  global
        .offset:         32
        .size:           8
        .value_kind:     global_buffer
      - .offset:         40
        .size:           8
        .value_kind:     by_value
      - .actual_access:  read_only
        .address_space:  global
        .offset:         48
        .size:           8
        .value_kind:     global_buffer
      - .actual_access:  read_only
        .address_space:  global
        .offset:         56
        .size:           8
        .value_kind:     global_buffer
      - .actual_access:  read_only
        .address_space:  global
        .offset:         64
        .size:           8
        .value_kind:     global_buffer
      - .actual_access:  read_only
        .address_space:  global
        .offset:         72
        .size:           8
        .value_kind:     global_buffer
      - .actual_access:  read_only
        .address_space:  global
        .offset:         80
        .size:           8
        .value_kind:     global_buffer
      - .actual_access:  read_only
        .address_space:  global
        .offset:         88
        .size:           8
        .value_kind:     global_buffer
      - .offset:         96
        .size:           8
        .value_kind:     by_value
      - .actual_access:  read_only
        .address_space:  global
        .offset:         104
        .size:           8
        .value_kind:     global_buffer
      - .actual_access:  read_only
        .address_space:  global
        .offset:         112
        .size:           8
        .value_kind:     global_buffer
      - .actual_access:  read_only
        .address_space:  global
        .offset:         120
        .size:           8
        .value_kind:     global_buffer
      - .actual_access:  read_only
        .address_space:  global
        .offset:         128
        .size:           8
        .value_kind:     global_buffer
      - .actual_access:  write_only
        .address_space:  global
        .offset:         136
        .size:           8
        .value_kind:     global_buffer
      - .actual_access:  write_only
        .address_space:  global
        .offset:         144
        .size:           8
        .value_kind:     global_buffer
      - .offset:         152
        .size:           4
        .value_kind:     by_value
      - .offset:         156
        .size:           4
        .value_kind:     by_value
      - .offset:         160
        .size:           4
        .value_kind:     by_value
      - .offset:         164
        .size:           4
        .value_kind:     by_value
      - .offset:         168
        .size:           1
        .value_kind:     by_value
      - .offset:         169
        .size:           1
        .value_kind:     by_value
      - .offset:         170
        .size:           1
        .value_kind:     by_value
    .group_segment_fixed_size: 5120
    .kernarg_segment_align: 8
    .kernarg_segment_size: 172
    .language:       OpenCL C
    .language_version:
      - 2
      - 0
    .max_flat_workgroup_size: 256
    .name:           _ZN9rocsparseL27bsrgemm_fill_wf_per_row_2x2ILj256ELj16ELj8ELj137ElldEEv20rocsparse_direction_T4_S2_PKS2_S4_NS_24const_host_device_scalarIT5_EEPKT3_S4_PKS6_SA_S4_SC_S7_SA_S4_SC_SA_PS2_PS6_21rocsparse_index_base_SF_SF_SF_bbb
    .private_segment_fixed_size: 0
    .sgpr_count:     50
    .sgpr_spill_count: 0
    .symbol:         _ZN9rocsparseL27bsrgemm_fill_wf_per_row_2x2ILj256ELj16ELj8ELj137ElldEEv20rocsparse_direction_T4_S2_PKS2_S4_NS_24const_host_device_scalarIT5_EEPKT3_S4_PKS6_SA_S4_SC_S7_SA_S4_SC_SA_PS2_PS6_21rocsparse_index_base_SF_SF_SF_bbb.kd
    .uniform_work_group_size: 1
    .uses_dynamic_stack: false
    .vgpr_count:     44
    .vgpr_spill_count: 0
    .wavefront_size: 32
    .workgroup_processor_mode: 1
  - .args:
      - .offset:         0
        .size:           4
        .value_kind:     by_value
      - .offset:         8
        .size:           8
        .value_kind:     by_value
      - .offset:         16
        .size:           8
        .value_kind:     by_value
      - .actual_access:  read_only
        .address_space:  global
        .offset:         24
        .size:           8
        .value_kind:     global_buffer
      - .actual_access:  read_only
        .address_space:  global
        .offset:         32
        .size:           8
        .value_kind:     global_buffer
      - .offset:         40
        .size:           8
        .value_kind:     by_value
      - .actual_access:  read_only
        .address_space:  global
        .offset:         48
        .size:           8
        .value_kind:     global_buffer
      - .actual_access:  read_only
        .address_space:  global
        .offset:         56
        .size:           8
        .value_kind:     global_buffer
      - .actual_access:  read_only
        .address_space:  global
        .offset:         64
        .size:           8
        .value_kind:     global_buffer
      - .actual_access:  read_only
        .address_space:  global
        .offset:         72
        .size:           8
        .value_kind:     global_buffer
      - .actual_access:  read_only
        .address_space:  global
        .offset:         80
        .size:           8
        .value_kind:     global_buffer
      - .actual_access:  read_only
        .address_space:  global
        .offset:         88
        .size:           8
        .value_kind:     global_buffer
      - .offset:         96
        .size:           8
        .value_kind:     by_value
      - .actual_access:  read_only
        .address_space:  global
        .offset:         104
        .size:           8
        .value_kind:     global_buffer
      - .actual_access:  read_only
        .address_space:  global
        .offset:         112
        .size:           8
        .value_kind:     global_buffer
      - .actual_access:  read_only
        .address_space:  global
        .offset:         120
        .size:           8
        .value_kind:     global_buffer
      - .actual_access:  read_only
        .address_space:  global
        .offset:         128
        .size:           8
        .value_kind:     global_buffer
      - .actual_access:  write_only
        .address_space:  global
        .offset:         136
        .size:           8
        .value_kind:     global_buffer
      - .actual_access:  write_only
        .address_space:  global
        .offset:         144
        .size:           8
        .value_kind:     global_buffer
      - .offset:         152
        .size:           4
        .value_kind:     by_value
      - .offset:         156
        .size:           4
        .value_kind:     by_value
      - .offset:         160
        .size:           4
        .value_kind:     by_value
      - .offset:         164
        .size:           4
        .value_kind:     by_value
      - .offset:         168
        .size:           1
        .value_kind:     by_value
      - .offset:         169
        .size:           1
        .value_kind:     by_value
      - .offset:         170
        .size:           1
        .value_kind:     by_value
    .group_segment_fixed_size: 10240
    .kernarg_segment_align: 8
    .kernarg_segment_size: 172
    .language:       OpenCL C
    .language_version:
      - 2
      - 0
    .max_flat_workgroup_size: 256
    .name:           _ZN9rocsparseL27bsrgemm_fill_wf_per_row_2x2ILj256ELj16ELj16ELj137ElldEEv20rocsparse_direction_T4_S2_PKS2_S4_NS_24const_host_device_scalarIT5_EEPKT3_S4_PKS6_SA_S4_SC_S7_SA_S4_SC_SA_PS2_PS6_21rocsparse_index_base_SF_SF_SF_bbb
    .private_segment_fixed_size: 0
    .sgpr_count:     50
    .sgpr_spill_count: 0
    .symbol:         _ZN9rocsparseL27bsrgemm_fill_wf_per_row_2x2ILj256ELj16ELj16ELj137ElldEEv20rocsparse_direction_T4_S2_PKS2_S4_NS_24const_host_device_scalarIT5_EEPKT3_S4_PKS6_SA_S4_SC_S7_SA_S4_SC_SA_PS2_PS6_21rocsparse_index_base_SF_SF_SF_bbb.kd
    .uniform_work_group_size: 1
    .uses_dynamic_stack: false
    .vgpr_count:     45
    .vgpr_spill_count: 0
    .wavefront_size: 32
    .workgroup_processor_mode: 1
  - .args:
      - .offset:         0
        .size:           4
        .value_kind:     by_value
      - .offset:         8
        .size:           8
        .value_kind:     by_value
      - .offset:         16
        .size:           8
        .value_kind:     by_value
      - .actual_access:  read_only
        .address_space:  global
        .offset:         24
        .size:           8
        .value_kind:     global_buffer
      - .actual_access:  read_only
        .address_space:  global
        .offset:         32
        .size:           8
        .value_kind:     global_buffer
      - .offset:         40
        .size:           8
        .value_kind:     by_value
      - .actual_access:  read_only
        .address_space:  global
        .offset:         48
        .size:           8
        .value_kind:     global_buffer
      - .actual_access:  read_only
        .address_space:  global
        .offset:         56
        .size:           8
        .value_kind:     global_buffer
      - .actual_access:  read_only
        .address_space:  global
        .offset:         64
        .size:           8
        .value_kind:     global_buffer
      - .actual_access:  read_only
        .address_space:  global
        .offset:         72
        .size:           8
        .value_kind:     global_buffer
      - .actual_access:  read_only
        .address_space:  global
        .offset:         80
        .size:           8
        .value_kind:     global_buffer
      - .actual_access:  read_only
        .address_space:  global
        .offset:         88
        .size:           8
        .value_kind:     global_buffer
      - .offset:         96
        .size:           8
        .value_kind:     by_value
      - .actual_access:  read_only
        .address_space:  global
        .offset:         104
        .size:           8
        .value_kind:     global_buffer
      - .actual_access:  read_only
        .address_space:  global
        .offset:         112
        .size:           8
        .value_kind:     global_buffer
      - .actual_access:  read_only
        .address_space:  global
        .offset:         120
        .size:           8
        .value_kind:     global_buffer
      - .actual_access:  read_only
        .address_space:  global
        .offset:         128
        .size:           8
        .value_kind:     global_buffer
      - .actual_access:  write_only
        .address_space:  global
        .offset:         136
        .size:           8
        .value_kind:     global_buffer
      - .actual_access:  write_only
        .address_space:  global
        .offset:         144
        .size:           8
        .value_kind:     global_buffer
      - .offset:         152
        .size:           4
        .value_kind:     by_value
      - .offset:         156
        .size:           4
        .value_kind:     by_value
      - .offset:         160
        .size:           4
        .value_kind:     by_value
      - .offset:         164
        .size:           4
        .value_kind:     by_value
      - .offset:         168
        .size:           1
        .value_kind:     by_value
      - .offset:         169
        .size:           1
        .value_kind:     by_value
      - .offset:         170
        .size:           1
        .value_kind:     by_value
    .group_segment_fixed_size: 20480
    .kernarg_segment_align: 8
    .kernarg_segment_size: 172
    .language:       OpenCL C
    .language_version:
      - 2
      - 0
    .max_flat_workgroup_size: 256
    .name:           _ZN9rocsparseL27bsrgemm_fill_wf_per_row_2x2ILj256ELj16ELj32ELj137ElldEEv20rocsparse_direction_T4_S2_PKS2_S4_NS_24const_host_device_scalarIT5_EEPKT3_S4_PKS6_SA_S4_SC_S7_SA_S4_SC_SA_PS2_PS6_21rocsparse_index_base_SF_SF_SF_bbb
    .private_segment_fixed_size: 0
    .sgpr_count:     50
    .sgpr_spill_count: 0
    .symbol:         _ZN9rocsparseL27bsrgemm_fill_wf_per_row_2x2ILj256ELj16ELj32ELj137ElldEEv20rocsparse_direction_T4_S2_PKS2_S4_NS_24const_host_device_scalarIT5_EEPKT3_S4_PKS6_SA_S4_SC_S7_SA_S4_SC_SA_PS2_PS6_21rocsparse_index_base_SF_SF_SF_bbb.kd
    .uniform_work_group_size: 1
    .uses_dynamic_stack: false
    .vgpr_count:     46
    .vgpr_spill_count: 0
    .wavefront_size: 32
    .workgroup_processor_mode: 1
  - .args:
      - .offset:         0
        .size:           4
        .value_kind:     by_value
      - .offset:         8
        .size:           8
        .value_kind:     by_value
      - .offset:         16
        .size:           8
        .value_kind:     by_value
      - .actual_access:  read_only
        .address_space:  global
        .offset:         24
        .size:           8
        .value_kind:     global_buffer
      - .actual_access:  read_only
        .address_space:  global
        .offset:         32
        .size:           8
        .value_kind:     global_buffer
      - .offset:         40
        .size:           8
        .value_kind:     by_value
      - .actual_access:  read_only
        .address_space:  global
        .offset:         48
        .size:           8
        .value_kind:     global_buffer
      - .actual_access:  read_only
        .address_space:  global
        .offset:         56
        .size:           8
        .value_kind:     global_buffer
      - .actual_access:  read_only
        .address_space:  global
        .offset:         64
        .size:           8
        .value_kind:     global_buffer
      - .actual_access:  read_only
        .address_space:  global
        .offset:         72
        .size:           8
        .value_kind:     global_buffer
      - .actual_access:  read_only
        .address_space:  global
        .offset:         80
        .size:           8
        .value_kind:     global_buffer
      - .actual_access:  read_only
        .address_space:  global
        .offset:         88
        .size:           8
        .value_kind:     global_buffer
      - .offset:         96
        .size:           8
        .value_kind:     by_value
      - .actual_access:  read_only
        .address_space:  global
        .offset:         104
        .size:           8
        .value_kind:     global_buffer
      - .actual_access:  read_only
        .address_space:  global
        .offset:         112
        .size:           8
        .value_kind:     global_buffer
      - .actual_access:  read_only
        .address_space:  global
        .offset:         120
        .size:           8
        .value_kind:     global_buffer
      - .actual_access:  read_only
        .address_space:  global
        .offset:         128
        .size:           8
        .value_kind:     global_buffer
      - .actual_access:  write_only
        .address_space:  global
        .offset:         136
        .size:           8
        .value_kind:     global_buffer
      - .actual_access:  write_only
        .address_space:  global
        .offset:         144
        .size:           8
        .value_kind:     global_buffer
      - .offset:         152
        .size:           4
        .value_kind:     by_value
      - .offset:         156
        .size:           4
        .value_kind:     by_value
      - .offset:         160
        .size:           4
        .value_kind:     by_value
      - .offset:         164
        .size:           4
        .value_kind:     by_value
      - .offset:         168
        .size:           1
        .value_kind:     by_value
      - .offset:         169
        .size:           1
        .value_kind:     by_value
      - .offset:         170
        .size:           1
        .value_kind:     by_value
    .group_segment_fixed_size: 0
    .kernarg_segment_align: 8
    .kernarg_segment_size: 172
    .language:       OpenCL C
    .language_version:
      - 2
      - 0
    .max_flat_workgroup_size: 256
    .name:           _ZN9rocsparseL30bsrgemm_fill_block_per_row_2x2ILj256ELj16ELj64ELj137ElldEEv20rocsparse_direction_T4_S2_PKS2_S4_NS_24const_host_device_scalarIT5_EEPKT3_S4_PKS6_SA_S4_SC_S7_SA_S4_SC_SA_PS2_PS6_21rocsparse_index_base_SF_SF_SF_bbb
    .private_segment_fixed_size: 0
    .sgpr_count:     40
    .sgpr_spill_count: 0
    .symbol:         _ZN9rocsparseL30bsrgemm_fill_block_per_row_2x2ILj256ELj16ELj64ELj137ElldEEv20rocsparse_direction_T4_S2_PKS2_S4_NS_24const_host_device_scalarIT5_EEPKT3_S4_PKS6_SA_S4_SC_S7_SA_S4_SC_SA_PS2_PS6_21rocsparse_index_base_SF_SF_SF_bbb.kd
    .uniform_work_group_size: 1
    .uses_dynamic_stack: false
    .vgpr_count:     52
    .vgpr_spill_count: 0
    .wavefront_size: 32
    .workgroup_processor_mode: 1
  - .args:
      - .offset:         0
        .size:           4
        .value_kind:     by_value
      - .offset:         8
        .size:           8
        .value_kind:     by_value
      - .offset:         16
        .size:           8
        .value_kind:     by_value
      - .actual_access:  read_only
        .address_space:  global
        .offset:         24
        .size:           8
        .value_kind:     global_buffer
      - .actual_access:  read_only
        .address_space:  global
        .offset:         32
        .size:           8
        .value_kind:     global_buffer
      - .offset:         40
        .size:           8
        .value_kind:     by_value
      - .actual_access:  read_only
        .address_space:  global
        .offset:         48
        .size:           8
        .value_kind:     global_buffer
      - .actual_access:  read_only
        .address_space:  global
        .offset:         56
        .size:           8
        .value_kind:     global_buffer
      - .actual_access:  read_only
        .address_space:  global
        .offset:         64
        .size:           8
        .value_kind:     global_buffer
      - .actual_access:  read_only
        .address_space:  global
        .offset:         72
        .size:           8
        .value_kind:     global_buffer
      - .actual_access:  read_only
        .address_space:  global
        .offset:         80
        .size:           8
        .value_kind:     global_buffer
      - .actual_access:  read_only
        .address_space:  global
        .offset:         88
        .size:           8
        .value_kind:     global_buffer
      - .offset:         96
        .size:           8
        .value_kind:     by_value
      - .actual_access:  read_only
        .address_space:  global
        .offset:         104
        .size:           8
        .value_kind:     global_buffer
      - .actual_access:  read_only
        .address_space:  global
        .offset:         112
        .size:           8
        .value_kind:     global_buffer
      - .actual_access:  read_only
        .address_space:  global
        .offset:         120
        .size:           8
        .value_kind:     global_buffer
      - .actual_access:  read_only
        .address_space:  global
        .offset:         128
        .size:           8
        .value_kind:     global_buffer
      - .actual_access:  write_only
        .address_space:  global
        .offset:         136
        .size:           8
        .value_kind:     global_buffer
      - .actual_access:  write_only
        .address_space:  global
        .offset:         144
        .size:           8
        .value_kind:     global_buffer
      - .offset:         152
        .size:           4
        .value_kind:     by_value
      - .offset:         156
        .size:           4
        .value_kind:     by_value
      - .offset:         160
        .size:           4
        .value_kind:     by_value
      - .offset:         164
        .size:           4
        .value_kind:     by_value
      - .offset:         168
        .size:           1
        .value_kind:     by_value
      - .offset:         169
        .size:           1
        .value_kind:     by_value
      - .offset:         170
        .size:           1
        .value_kind:     by_value
    .group_segment_fixed_size: 0
    .kernarg_segment_align: 8
    .kernarg_segment_size: 172
    .language:       OpenCL C
    .language_version:
      - 2
      - 0
    .max_flat_workgroup_size: 256
    .name:           _ZN9rocsparseL30bsrgemm_fill_block_per_row_2x2ILj256ELj16ELj128ELj137ElldEEv20rocsparse_direction_T4_S2_PKS2_S4_NS_24const_host_device_scalarIT5_EEPKT3_S4_PKS6_SA_S4_SC_S7_SA_S4_SC_SA_PS2_PS6_21rocsparse_index_base_SF_SF_SF_bbb
    .private_segment_fixed_size: 0
    .sgpr_count:     50
    .sgpr_spill_count: 0
    .symbol:         _ZN9rocsparseL30bsrgemm_fill_block_per_row_2x2ILj256ELj16ELj128ELj137ElldEEv20rocsparse_direction_T4_S2_PKS2_S4_NS_24const_host_device_scalarIT5_EEPKT3_S4_PKS6_SA_S4_SC_S7_SA_S4_SC_SA_PS2_PS6_21rocsparse_index_base_SF_SF_SF_bbb.kd
    .uniform_work_group_size: 1
    .uses_dynamic_stack: false
    .vgpr_count:     41
    .vgpr_spill_count: 0
    .wavefront_size: 32
    .workgroup_processor_mode: 1
  - .args:
      - .offset:         0
        .size:           4
        .value_kind:     by_value
      - .offset:         8
        .size:           8
        .value_kind:     by_value
      - .offset:         16
        .size:           8
        .value_kind:     by_value
      - .actual_access:  read_only
        .address_space:  global
        .offset:         24
        .size:           8
        .value_kind:     global_buffer
      - .actual_access:  read_only
        .address_space:  global
        .offset:         32
        .size:           8
        .value_kind:     global_buffer
      - .offset:         40
        .size:           8
        .value_kind:     by_value
      - .actual_access:  read_only
        .address_space:  global
        .offset:         48
        .size:           8
        .value_kind:     global_buffer
      - .actual_access:  read_only
        .address_space:  global
        .offset:         56
        .size:           8
        .value_kind:     global_buffer
      - .actual_access:  read_only
        .address_space:  global
        .offset:         64
        .size:           8
        .value_kind:     global_buffer
      - .actual_access:  read_only
        .address_space:  global
        .offset:         72
        .size:           8
        .value_kind:     global_buffer
      - .actual_access:  read_only
        .address_space:  global
        .offset:         80
        .size:           8
        .value_kind:     global_buffer
      - .actual_access:  read_only
        .address_space:  global
        .offset:         88
        .size:           8
        .value_kind:     global_buffer
      - .offset:         96
        .size:           8
        .value_kind:     by_value
      - .actual_access:  read_only
        .address_space:  global
        .offset:         104
        .size:           8
        .value_kind:     global_buffer
      - .actual_access:  read_only
        .address_space:  global
        .offset:         112
        .size:           8
        .value_kind:     global_buffer
      - .actual_access:  read_only
        .address_space:  global
        .offset:         120
        .size:           8
        .value_kind:     global_buffer
      - .actual_access:  read_only
        .address_space:  global
        .offset:         128
        .size:           8
        .value_kind:     global_buffer
      - .actual_access:  write_only
        .address_space:  global
        .offset:         136
        .size:           8
        .value_kind:     global_buffer
      - .actual_access:  write_only
        .address_space:  global
        .offset:         144
        .size:           8
        .value_kind:     global_buffer
      - .offset:         152
        .size:           4
        .value_kind:     by_value
      - .offset:         156
        .size:           4
        .value_kind:     by_value
      - .offset:         160
        .size:           4
        .value_kind:     by_value
      - .offset:         164
        .size:           4
        .value_kind:     by_value
      - .offset:         168
        .size:           1
        .value_kind:     by_value
      - .offset:         169
        .size:           1
        .value_kind:     by_value
      - .offset:         170
        .size:           1
        .value_kind:     by_value
    .group_segment_fixed_size: 0
    .kernarg_segment_align: 8
    .kernarg_segment_size: 172
    .language:       OpenCL C
    .language_version:
      - 2
      - 0
    .max_flat_workgroup_size: 256
    .name:           _ZN9rocsparseL30bsrgemm_fill_block_per_row_2x2ILj256ELj16ELj256ELj137ElldEEv20rocsparse_direction_T4_S2_PKS2_S4_NS_24const_host_device_scalarIT5_EEPKT3_S4_PKS6_SA_S4_SC_S7_SA_S4_SC_SA_PS2_PS6_21rocsparse_index_base_SF_SF_SF_bbb
    .private_segment_fixed_size: 0
    .sgpr_count:     50
    .sgpr_spill_count: 0
    .symbol:         _ZN9rocsparseL30bsrgemm_fill_block_per_row_2x2ILj256ELj16ELj256ELj137ElldEEv20rocsparse_direction_T4_S2_PKS2_S4_NS_24const_host_device_scalarIT5_EEPKT3_S4_PKS6_SA_S4_SC_S7_SA_S4_SC_SA_PS2_PS6_21rocsparse_index_base_SF_SF_SF_bbb.kd
    .uniform_work_group_size: 1
    .uses_dynamic_stack: false
    .vgpr_count:     41
    .vgpr_spill_count: 0
    .wavefront_size: 32
    .workgroup_processor_mode: 1
  - .args:
      - .offset:         0
        .size:           4
        .value_kind:     by_value
      - .offset:         8
        .size:           8
        .value_kind:     by_value
      - .offset:         16
        .size:           8
        .value_kind:     by_value
      - .actual_access:  read_only
        .address_space:  global
        .offset:         24
        .size:           8
        .value_kind:     global_buffer
      - .actual_access:  read_only
        .address_space:  global
        .offset:         32
        .size:           8
        .value_kind:     global_buffer
      - .offset:         40
        .size:           8
        .value_kind:     by_value
      - .actual_access:  read_only
        .address_space:  global
        .offset:         48
        .size:           8
        .value_kind:     global_buffer
      - .actual_access:  read_only
        .address_space:  global
        .offset:         56
        .size:           8
        .value_kind:     global_buffer
      - .actual_access:  read_only
        .address_space:  global
        .offset:         64
        .size:           8
        .value_kind:     global_buffer
      - .actual_access:  read_only
        .address_space:  global
        .offset:         72
        .size:           8
        .value_kind:     global_buffer
      - .actual_access:  read_only
        .address_space:  global
        .offset:         80
        .size:           8
        .value_kind:     global_buffer
      - .actual_access:  read_only
        .address_space:  global
        .offset:         88
        .size:           8
        .value_kind:     global_buffer
      - .offset:         96
        .size:           8
        .value_kind:     by_value
      - .actual_access:  read_only
        .address_space:  global
        .offset:         104
        .size:           8
        .value_kind:     global_buffer
      - .actual_access:  read_only
        .address_space:  global
        .offset:         112
        .size:           8
        .value_kind:     global_buffer
      - .actual_access:  read_only
        .address_space:  global
        .offset:         120
        .size:           8
        .value_kind:     global_buffer
      - .actual_access:  read_only
        .address_space:  global
        .offset:         128
        .size:           8
        .value_kind:     global_buffer
      - .actual_access:  write_only
        .address_space:  global
        .offset:         136
        .size:           8
        .value_kind:     global_buffer
      - .actual_access:  write_only
        .address_space:  global
        .offset:         144
        .size:           8
        .value_kind:     global_buffer
      - .offset:         152
        .size:           4
        .value_kind:     by_value
      - .offset:         156
        .size:           4
        .value_kind:     by_value
      - .offset:         160
        .size:           4
        .value_kind:     by_value
      - .offset:         164
        .size:           4
        .value_kind:     by_value
      - .offset:         168
        .size:           1
        .value_kind:     by_value
      - .offset:         169
        .size:           1
        .value_kind:     by_value
      - .offset:         170
        .size:           1
        .value_kind:     by_value
    .group_segment_fixed_size: 0
    .kernarg_segment_align: 8
    .kernarg_segment_size: 172
    .language:       OpenCL C
    .language_version:
      - 2
      - 0
    .max_flat_workgroup_size: 256
    .name:           _ZN9rocsparseL30bsrgemm_fill_block_per_row_2x2ILj256ELj16ELj512ELj137ElldEEv20rocsparse_direction_T4_S2_PKS2_S4_NS_24const_host_device_scalarIT5_EEPKT3_S4_PKS6_SA_S4_SC_S7_SA_S4_SC_SA_PS2_PS6_21rocsparse_index_base_SF_SF_SF_bbb
    .private_segment_fixed_size: 0
    .sgpr_count:     50
    .sgpr_spill_count: 0
    .symbol:         _ZN9rocsparseL30bsrgemm_fill_block_per_row_2x2ILj256ELj16ELj512ELj137ElldEEv20rocsparse_direction_T4_S2_PKS2_S4_NS_24const_host_device_scalarIT5_EEPKT3_S4_PKS6_SA_S4_SC_S7_SA_S4_SC_SA_PS2_PS6_21rocsparse_index_base_SF_SF_SF_bbb.kd
    .uniform_work_group_size: 1
    .uses_dynamic_stack: false
    .vgpr_count:     40
    .vgpr_spill_count: 0
    .wavefront_size: 32
    .workgroup_processor_mode: 1
  - .args:
      - .offset:         0
        .size:           4
        .value_kind:     by_value
      - .offset:         8
        .size:           8
        .value_kind:     by_value
      - .offset:         16
        .size:           8
        .value_kind:     by_value
      - .actual_access:  read_only
        .address_space:  global
        .offset:         24
        .size:           8
        .value_kind:     global_buffer
      - .actual_access:  read_only
        .address_space:  global
        .offset:         32
        .size:           8
        .value_kind:     global_buffer
      - .offset:         40
        .size:           8
        .value_kind:     by_value
      - .actual_access:  read_only
        .address_space:  global
        .offset:         48
        .size:           8
        .value_kind:     global_buffer
      - .actual_access:  read_only
        .address_space:  global
        .offset:         56
        .size:           8
        .value_kind:     global_buffer
      - .actual_access:  read_only
        .address_space:  global
        .offset:         64
        .size:           8
        .value_kind:     global_buffer
      - .actual_access:  read_only
        .address_space:  global
        .offset:         72
        .size:           8
        .value_kind:     global_buffer
      - .actual_access:  read_only
        .address_space:  global
        .offset:         80
        .size:           8
        .value_kind:     global_buffer
      - .actual_access:  read_only
        .address_space:  global
        .offset:         88
        .size:           8
        .value_kind:     global_buffer
      - .offset:         96
        .size:           8
        .value_kind:     by_value
      - .actual_access:  read_only
        .address_space:  global
        .offset:         104
        .size:           8
        .value_kind:     global_buffer
      - .actual_access:  read_only
        .address_space:  global
        .offset:         112
        .size:           8
        .value_kind:     global_buffer
      - .actual_access:  read_only
        .address_space:  global
        .offset:         120
        .size:           8
        .value_kind:     global_buffer
      - .actual_access:  read_only
        .address_space:  global
        .offset:         128
        .size:           8
        .value_kind:     global_buffer
      - .actual_access:  write_only
        .address_space:  global
        .offset:         136
        .size:           8
        .value_kind:     global_buffer
      - .actual_access:  write_only
        .address_space:  global
        .offset:         144
        .size:           8
        .value_kind:     global_buffer
      - .address_space:  global
        .offset:         152
        .size:           8
        .value_kind:     global_buffer
      - .offset:         160
        .size:           4
        .value_kind:     by_value
      - .offset:         164
        .size:           4
        .value_kind:     by_value
      - .offset:         168
        .size:           4
        .value_kind:     by_value
      - .offset:         172
        .size:           4
        .value_kind:     by_value
      - .offset:         176
        .size:           1
        .value_kind:     by_value
      - .offset:         177
        .size:           1
        .value_kind:     by_value
      - .offset:         178
        .size:           1
        .value_kind:     by_value
    .group_segment_fixed_size: 11272
    .kernarg_segment_align: 8
    .kernarg_segment_size: 180
    .language:       OpenCL C
    .language_version:
      - 2
      - 0
    .max_flat_workgroup_size: 256
    .name:           _ZN9rocsparseL38bsrgemm_block_per_row_atomic_multipassILj256ELj256ELj2ElldEEv20rocsparse_direction_T3_S2_PKS2_S4_NS_24const_host_device_scalarIT4_EEPKT2_S4_PKS6_SA_S4_SC_S7_SA_S4_SC_SA_PS2_PS6_PS8_21rocsparse_index_base_SG_SG_SG_bbb
    .private_segment_fixed_size: 0
    .sgpr_count:     70
    .sgpr_spill_count: 0
    .symbol:         _ZN9rocsparseL38bsrgemm_block_per_row_atomic_multipassILj256ELj256ELj2ElldEEv20rocsparse_direction_T3_S2_PKS2_S4_NS_24const_host_device_scalarIT4_EEPKT2_S4_PKS6_SA_S4_SC_S7_SA_S4_SC_SA_PS2_PS6_PS8_21rocsparse_index_base_SG_SG_SG_bbb.kd
    .uniform_work_group_size: 1
    .uses_dynamic_stack: false
    .vgpr_count:     69
    .vgpr_spill_count: 0
    .wavefront_size: 32
    .workgroup_processor_mode: 1
  - .args:
      - .offset:         0
        .size:           4
        .value_kind:     by_value
      - .offset:         8
        .size:           8
        .value_kind:     by_value
      - .offset:         16
        .size:           8
        .value_kind:     by_value
      - .offset:         24
        .size:           8
        .value_kind:     by_value
      - .actual_access:  read_only
        .address_space:  global
        .offset:         32
        .size:           8
        .value_kind:     global_buffer
      - .actual_access:  read_only
        .address_space:  global
        .offset:         40
        .size:           8
        .value_kind:     global_buffer
      - .offset:         48
        .size:           8
        .value_kind:     by_value
      - .actual_access:  read_only
        .address_space:  global
        .offset:         56
        .size:           8
        .value_kind:     global_buffer
      - .actual_access:  read_only
        .address_space:  global
        .offset:         64
        .size:           8
        .value_kind:     global_buffer
      - .actual_access:  read_only
        .address_space:  global
        .offset:         72
        .size:           8
        .value_kind:     global_buffer
      - .actual_access:  read_only
        .address_space:  global
        .offset:         80
        .size:           8
        .value_kind:     global_buffer
      - .actual_access:  read_only
        .address_space:  global
        .offset:         88
        .size:           8
        .value_kind:     global_buffer
      - .actual_access:  read_only
        .address_space:  global
        .offset:         96
        .size:           8
        .value_kind:     global_buffer
      - .offset:         104
        .size:           8
        .value_kind:     by_value
      - .actual_access:  read_only
        .address_space:  global
        .offset:         112
        .size:           8
        .value_kind:     global_buffer
      - .actual_access:  read_only
        .address_space:  global
        .offset:         120
        .size:           8
        .value_kind:     global_buffer
      - .actual_access:  read_only
        .address_space:  global
        .offset:         128
        .size:           8
        .value_kind:     global_buffer
      - .actual_access:  read_only
        .address_space:  global
        .offset:         136
        .size:           8
        .value_kind:     global_buffer
      - .actual_access:  write_only
        .address_space:  global
        .offset:         144
        .size:           8
        .value_kind:     global_buffer
      - .actual_access:  write_only
        .address_space:  global
        .offset:         152
        .size:           8
        .value_kind:     global_buffer
      - .offset:         160
        .size:           4
        .value_kind:     by_value
      - .offset:         164
        .size:           4
        .value_kind:     by_value
      - .offset:         168
        .size:           4
        .value_kind:     by_value
      - .offset:         172
        .size:           4
        .value_kind:     by_value
      - .offset:         176
        .size:           1
        .value_kind:     by_value
      - .offset:         177
        .size:           1
        .value_kind:     by_value
      - .offset:         178
        .size:           1
        .value_kind:     by_value
    .group_segment_fixed_size: 4352
    .kernarg_segment_align: 8
    .kernarg_segment_size: 180
    .language:       OpenCL C
    .language_version:
      - 2
      - 0
    .max_flat_workgroup_size: 256
    .name:           _ZN9rocsparseL23bsrgemm_fill_wf_per_rowILj256ELj64ELj8ELj137ELj4ElldEEv20rocsparse_direction_T5_S2_S2_PKS2_S4_NS_24const_host_device_scalarIT6_EEPKT4_S4_PKS6_SA_S4_SC_S7_SA_S4_SC_SA_PS2_PS6_21rocsparse_index_base_SF_SF_SF_bbb
    .private_segment_fixed_size: 0
    .sgpr_count:     55
    .sgpr_spill_count: 0
    .symbol:         _ZN9rocsparseL23bsrgemm_fill_wf_per_rowILj256ELj64ELj8ELj137ELj4ElldEEv20rocsparse_direction_T5_S2_S2_PKS2_S4_NS_24const_host_device_scalarIT6_EEPKT4_S4_PKS6_SA_S4_SC_S7_SA_S4_SC_SA_PS2_PS6_21rocsparse_index_base_SF_SF_SF_bbb.kd
    .uniform_work_group_size: 1
    .uses_dynamic_stack: false
    .vgpr_count:     46
    .vgpr_spill_count: 0
    .wavefront_size: 32
    .workgroup_processor_mode: 1
  - .args:
      - .offset:         0
        .size:           4
        .value_kind:     by_value
      - .offset:         8
        .size:           8
        .value_kind:     by_value
      - .offset:         16
        .size:           8
        .value_kind:     by_value
      - .offset:         24
        .size:           8
        .value_kind:     by_value
      - .actual_access:  read_only
        .address_space:  global
        .offset:         32
        .size:           8
        .value_kind:     global_buffer
      - .actual_access:  read_only
        .address_space:  global
        .offset:         40
        .size:           8
        .value_kind:     global_buffer
      - .offset:         48
        .size:           8
        .value_kind:     by_value
      - .actual_access:  read_only
        .address_space:  global
        .offset:         56
        .size:           8
        .value_kind:     global_buffer
      - .actual_access:  read_only
        .address_space:  global
        .offset:         64
        .size:           8
        .value_kind:     global_buffer
      - .actual_access:  read_only
        .address_space:  global
        .offset:         72
        .size:           8
        .value_kind:     global_buffer
      - .actual_access:  read_only
        .address_space:  global
        .offset:         80
        .size:           8
        .value_kind:     global_buffer
      - .actual_access:  read_only
        .address_space:  global
        .offset:         88
        .size:           8
        .value_kind:     global_buffer
      - .actual_access:  read_only
        .address_space:  global
        .offset:         96
        .size:           8
        .value_kind:     global_buffer
      - .offset:         104
        .size:           8
        .value_kind:     by_value
      - .actual_access:  read_only
        .address_space:  global
        .offset:         112
        .size:           8
        .value_kind:     global_buffer
      - .actual_access:  read_only
        .address_space:  global
        .offset:         120
        .size:           8
        .value_kind:     global_buffer
      - .actual_access:  read_only
        .address_space:  global
        .offset:         128
        .size:           8
        .value_kind:     global_buffer
      - .actual_access:  read_only
        .address_space:  global
        .offset:         136
        .size:           8
        .value_kind:     global_buffer
      - .actual_access:  write_only
        .address_space:  global
        .offset:         144
        .size:           8
        .value_kind:     global_buffer
      - .actual_access:  write_only
        .address_space:  global
        .offset:         152
        .size:           8
        .value_kind:     global_buffer
      - .offset:         160
        .size:           4
        .value_kind:     by_value
      - .offset:         164
        .size:           4
        .value_kind:     by_value
      - .offset:         168
        .size:           4
        .value_kind:     by_value
      - .offset:         172
        .size:           4
        .value_kind:     by_value
      - .offset:         176
        .size:           1
        .value_kind:     by_value
      - .offset:         177
        .size:           1
        .value_kind:     by_value
      - .offset:         178
        .size:           1
        .value_kind:     by_value
    .group_segment_fixed_size: 8704
    .kernarg_segment_align: 8
    .kernarg_segment_size: 180
    .language:       OpenCL C
    .language_version:
      - 2
      - 0
    .max_flat_workgroup_size: 256
    .name:           _ZN9rocsparseL23bsrgemm_fill_wf_per_rowILj256ELj64ELj16ELj137ELj4ElldEEv20rocsparse_direction_T5_S2_S2_PKS2_S4_NS_24const_host_device_scalarIT6_EEPKT4_S4_PKS6_SA_S4_SC_S7_SA_S4_SC_SA_PS2_PS6_21rocsparse_index_base_SF_SF_SF_bbb
    .private_segment_fixed_size: 0
    .sgpr_count:     55
    .sgpr_spill_count: 0
    .symbol:         _ZN9rocsparseL23bsrgemm_fill_wf_per_rowILj256ELj64ELj16ELj137ELj4ElldEEv20rocsparse_direction_T5_S2_S2_PKS2_S4_NS_24const_host_device_scalarIT6_EEPKT4_S4_PKS6_SA_S4_SC_S7_SA_S4_SC_SA_PS2_PS6_21rocsparse_index_base_SF_SF_SF_bbb.kd
    .uniform_work_group_size: 1
    .uses_dynamic_stack: false
    .vgpr_count:     47
    .vgpr_spill_count: 0
    .wavefront_size: 32
    .workgroup_processor_mode: 1
  - .args:
      - .offset:         0
        .size:           4
        .value_kind:     by_value
      - .offset:         8
        .size:           8
        .value_kind:     by_value
      - .offset:         16
        .size:           8
        .value_kind:     by_value
      - .actual_access:  read_only
        .address_space:  global
        .offset:         24
        .size:           8
        .value_kind:     global_buffer
      - .actual_access:  read_only
        .address_space:  global
        .offset:         32
        .size:           8
        .value_kind:     global_buffer
      - .offset:         40
        .size:           8
        .value_kind:     by_value
      - .actual_access:  read_only
        .address_space:  global
        .offset:         48
        .size:           8
        .value_kind:     global_buffer
      - .actual_access:  read_only
        .address_space:  global
        .offset:         56
        .size:           8
        .value_kind:     global_buffer
      - .actual_access:  read_only
        .address_space:  global
        .offset:         64
        .size:           8
        .value_kind:     global_buffer
      - .actual_access:  read_only
        .address_space:  global
        .offset:         72
        .size:           8
        .value_kind:     global_buffer
      - .actual_access:  read_only
        .address_space:  global
        .offset:         80
        .size:           8
        .value_kind:     global_buffer
      - .actual_access:  read_only
        .address_space:  global
        .offset:         88
        .size:           8
        .value_kind:     global_buffer
      - .offset:         96
        .size:           8
        .value_kind:     by_value
      - .actual_access:  read_only
        .address_space:  global
        .offset:         104
        .size:           8
        .value_kind:     global_buffer
      - .actual_access:  read_only
        .address_space:  global
        .offset:         112
        .size:           8
        .value_kind:     global_buffer
      - .actual_access:  read_only
        .address_space:  global
        .offset:         120
        .size:           8
        .value_kind:     global_buffer
      - .actual_access:  read_only
        .address_space:  global
        .offset:         128
        .size:           8
        .value_kind:     global_buffer
      - .actual_access:  write_only
        .address_space:  global
        .offset:         136
        .size:           8
        .value_kind:     global_buffer
      - .actual_access:  write_only
        .address_space:  global
        .offset:         144
        .size:           8
        .value_kind:     global_buffer
      - .address_space:  global
        .offset:         152
        .size:           8
        .value_kind:     global_buffer
      - .offset:         160
        .size:           4
        .value_kind:     by_value
      - .offset:         164
        .size:           4
        .value_kind:     by_value
      - .offset:         168
        .size:           4
        .value_kind:     by_value
      - .offset:         172
        .size:           4
        .value_kind:     by_value
      - .offset:         176
        .size:           1
        .value_kind:     by_value
      - .offset:         177
        .size:           1
        .value_kind:     by_value
      - .offset:         178
        .size:           1
        .value_kind:     by_value
    .group_segment_fixed_size: 6280
    .kernarg_segment_align: 8
    .kernarg_segment_size: 180
    .language:       OpenCL C
    .language_version:
      - 2
      - 0
    .max_flat_workgroup_size: 256
    .name:           _ZN9rocsparseL38bsrgemm_block_per_row_atomic_multipassILj256ELj32ELj4ElldEEv20rocsparse_direction_T3_S2_PKS2_S4_NS_24const_host_device_scalarIT4_EEPKT2_S4_PKS6_SA_S4_SC_S7_SA_S4_SC_SA_PS2_PS6_PS8_21rocsparse_index_base_SG_SG_SG_bbb
    .private_segment_fixed_size: 0
    .sgpr_count:     66
    .sgpr_spill_count: 0
    .symbol:         _ZN9rocsparseL38bsrgemm_block_per_row_atomic_multipassILj256ELj32ELj4ElldEEv20rocsparse_direction_T3_S2_PKS2_S4_NS_24const_host_device_scalarIT4_EEPKT2_S4_PKS6_SA_S4_SC_S7_SA_S4_SC_SA_PS2_PS6_PS8_21rocsparse_index_base_SG_SG_SG_bbb.kd
    .uniform_work_group_size: 1
    .uses_dynamic_stack: false
    .vgpr_count:     65
    .vgpr_spill_count: 0
    .wavefront_size: 32
    .workgroup_processor_mode: 1
  - .args:
      - .offset:         0
        .size:           4
        .value_kind:     by_value
      - .offset:         8
        .size:           8
        .value_kind:     by_value
      - .offset:         16
        .size:           8
        .value_kind:     by_value
      - .actual_access:  read_only
        .address_space:  global
        .offset:         24
        .size:           8
        .value_kind:     global_buffer
      - .actual_access:  read_only
        .address_space:  global
        .offset:         32
        .size:           8
        .value_kind:     global_buffer
      - .offset:         40
        .size:           8
        .value_kind:     by_value
      - .actual_access:  read_only
        .address_space:  global
        .offset:         48
        .size:           8
        .value_kind:     global_buffer
      - .actual_access:  read_only
        .address_space:  global
        .offset:         56
        .size:           8
        .value_kind:     global_buffer
      - .actual_access:  read_only
        .address_space:  global
        .offset:         64
        .size:           8
        .value_kind:     global_buffer
      - .actual_access:  read_only
        .address_space:  global
        .offset:         72
        .size:           8
        .value_kind:     global_buffer
      - .actual_access:  read_only
        .address_space:  global
        .offset:         80
        .size:           8
        .value_kind:     global_buffer
      - .actual_access:  read_only
        .address_space:  global
        .offset:         88
        .size:           8
        .value_kind:     global_buffer
      - .offset:         96
        .size:           8
        .value_kind:     by_value
      - .actual_access:  read_only
        .address_space:  global
        .offset:         104
        .size:           8
        .value_kind:     global_buffer
      - .actual_access:  read_only
        .address_space:  global
        .offset:         112
        .size:           8
        .value_kind:     global_buffer
      - .actual_access:  read_only
        .address_space:  global
        .offset:         120
        .size:           8
        .value_kind:     global_buffer
      - .actual_access:  read_only
        .address_space:  global
        .offset:         128
        .size:           8
        .value_kind:     global_buffer
      - .actual_access:  write_only
        .address_space:  global
        .offset:         136
        .size:           8
        .value_kind:     global_buffer
      - .actual_access:  write_only
        .address_space:  global
        .offset:         144
        .size:           8
        .value_kind:     global_buffer
      - .address_space:  global
        .offset:         152
        .size:           8
        .value_kind:     global_buffer
      - .offset:         160
        .size:           4
        .value_kind:     by_value
      - .offset:         164
        .size:           4
        .value_kind:     by_value
      - .offset:         168
        .size:           4
        .value_kind:     by_value
      - .offset:         172
        .size:           4
        .value_kind:     by_value
      - .offset:         176
        .size:           1
        .value_kind:     by_value
      - .offset:         177
        .size:           1
        .value_kind:     by_value
      - .offset:         178
        .size:           1
        .value_kind:     by_value
    .group_segment_fixed_size: 10504
    .kernarg_segment_align: 8
    .kernarg_segment_size: 180
    .language:       OpenCL C
    .language_version:
      - 2
      - 0
    .max_flat_workgroup_size: 256
    .name:           _ZN9rocsparseL38bsrgemm_block_per_row_atomic_multipassILj256ELj64ELj4ElldEEv20rocsparse_direction_T3_S2_PKS2_S4_NS_24const_host_device_scalarIT4_EEPKT2_S4_PKS6_SA_S4_SC_S7_SA_S4_SC_SA_PS2_PS6_PS8_21rocsparse_index_base_SG_SG_SG_bbb
    .private_segment_fixed_size: 0
    .sgpr_count:     66
    .sgpr_spill_count: 0
    .symbol:         _ZN9rocsparseL38bsrgemm_block_per_row_atomic_multipassILj256ELj64ELj4ElldEEv20rocsparse_direction_T3_S2_PKS2_S4_NS_24const_host_device_scalarIT4_EEPKT2_S4_PKS6_SA_S4_SC_S7_SA_S4_SC_SA_PS2_PS6_PS8_21rocsparse_index_base_SG_SG_SG_bbb.kd
    .uniform_work_group_size: 1
    .uses_dynamic_stack: false
    .vgpr_count:     67
    .vgpr_spill_count: 0
    .wavefront_size: 32
    .workgroup_processor_mode: 1
  - .args:
      - .offset:         0
        .size:           4
        .value_kind:     by_value
      - .offset:         8
        .size:           8
        .value_kind:     by_value
      - .offset:         16
        .size:           8
        .value_kind:     by_value
      - .actual_access:  read_only
        .address_space:  global
        .offset:         24
        .size:           8
        .value_kind:     global_buffer
      - .actual_access:  read_only
        .address_space:  global
        .offset:         32
        .size:           8
        .value_kind:     global_buffer
      - .offset:         40
        .size:           8
        .value_kind:     by_value
      - .actual_access:  read_only
        .address_space:  global
        .offset:         48
        .size:           8
        .value_kind:     global_buffer
      - .actual_access:  read_only
        .address_space:  global
        .offset:         56
        .size:           8
        .value_kind:     global_buffer
      - .actual_access:  read_only
        .address_space:  global
        .offset:         64
        .size:           8
        .value_kind:     global_buffer
      - .actual_access:  read_only
        .address_space:  global
        .offset:         72
        .size:           8
        .value_kind:     global_buffer
      - .actual_access:  read_only
        .address_space:  global
        .offset:         80
        .size:           8
        .value_kind:     global_buffer
      - .actual_access:  read_only
        .address_space:  global
        .offset:         88
        .size:           8
        .value_kind:     global_buffer
      - .offset:         96
        .size:           8
        .value_kind:     by_value
      - .actual_access:  read_only
        .address_space:  global
        .offset:         104
        .size:           8
        .value_kind:     global_buffer
      - .actual_access:  read_only
        .address_space:  global
        .offset:         112
        .size:           8
        .value_kind:     global_buffer
      - .actual_access:  read_only
        .address_space:  global
        .offset:         120
        .size:           8
        .value_kind:     global_buffer
      - .actual_access:  read_only
        .address_space:  global
        .offset:         128
        .size:           8
        .value_kind:     global_buffer
      - .actual_access:  write_only
        .address_space:  global
        .offset:         136
        .size:           8
        .value_kind:     global_buffer
      - .actual_access:  write_only
        .address_space:  global
        .offset:         144
        .size:           8
        .value_kind:     global_buffer
      - .address_space:  global
        .offset:         152
        .size:           8
        .value_kind:     global_buffer
      - .offset:         160
        .size:           4
        .value_kind:     by_value
      - .offset:         164
        .size:           4
        .value_kind:     by_value
      - .offset:         168
        .size:           4
        .value_kind:     by_value
      - .offset:         172
        .size:           4
        .value_kind:     by_value
      - .offset:         176
        .size:           1
        .value_kind:     by_value
      - .offset:         177
        .size:           1
        .value_kind:     by_value
      - .offset:         178
        .size:           1
        .value_kind:     by_value
    .group_segment_fixed_size: 18952
    .kernarg_segment_align: 8
    .kernarg_segment_size: 180
    .language:       OpenCL C
    .language_version:
      - 2
      - 0
    .max_flat_workgroup_size: 256
    .name:           _ZN9rocsparseL38bsrgemm_block_per_row_atomic_multipassILj256ELj128ELj4ElldEEv20rocsparse_direction_T3_S2_PKS2_S4_NS_24const_host_device_scalarIT4_EEPKT2_S4_PKS6_SA_S4_SC_S7_SA_S4_SC_SA_PS2_PS6_PS8_21rocsparse_index_base_SG_SG_SG_bbb
    .private_segment_fixed_size: 0
    .sgpr_count:     70
    .sgpr_spill_count: 0
    .symbol:         _ZN9rocsparseL38bsrgemm_block_per_row_atomic_multipassILj256ELj128ELj4ElldEEv20rocsparse_direction_T3_S2_PKS2_S4_NS_24const_host_device_scalarIT4_EEPKT2_S4_PKS6_SA_S4_SC_S7_SA_S4_SC_SA_PS2_PS6_PS8_21rocsparse_index_base_SG_SG_SG_bbb.kd
    .uniform_work_group_size: 1
    .uses_dynamic_stack: false
    .vgpr_count:     68
    .vgpr_spill_count: 0
    .wavefront_size: 32
    .workgroup_processor_mode: 1
  - .args:
      - .offset:         0
        .size:           4
        .value_kind:     by_value
      - .offset:         8
        .size:           8
        .value_kind:     by_value
      - .offset:         16
        .size:           8
        .value_kind:     by_value
      - .offset:         24
        .size:           8
        .value_kind:     by_value
      - .actual_access:  read_only
        .address_space:  global
        .offset:         32
        .size:           8
        .value_kind:     global_buffer
      - .actual_access:  read_only
        .address_space:  global
        .offset:         40
        .size:           8
        .value_kind:     global_buffer
      - .offset:         48
        .size:           8
        .value_kind:     by_value
      - .actual_access:  read_only
        .address_space:  global
        .offset:         56
        .size:           8
        .value_kind:     global_buffer
      - .actual_access:  read_only
        .address_space:  global
        .offset:         64
        .size:           8
        .value_kind:     global_buffer
      - .actual_access:  read_only
        .address_space:  global
        .offset:         72
        .size:           8
        .value_kind:     global_buffer
      - .actual_access:  read_only
        .address_space:  global
        .offset:         80
        .size:           8
        .value_kind:     global_buffer
      - .actual_access:  read_only
        .address_space:  global
        .offset:         88
        .size:           8
        .value_kind:     global_buffer
      - .actual_access:  read_only
        .address_space:  global
        .offset:         96
        .size:           8
        .value_kind:     global_buffer
      - .offset:         104
        .size:           8
        .value_kind:     by_value
      - .actual_access:  read_only
        .address_space:  global
        .offset:         112
        .size:           8
        .value_kind:     global_buffer
      - .actual_access:  read_only
        .address_space:  global
        .offset:         120
        .size:           8
        .value_kind:     global_buffer
      - .actual_access:  read_only
        .address_space:  global
        .offset:         128
        .size:           8
        .value_kind:     global_buffer
      - .actual_access:  read_only
        .address_space:  global
        .offset:         136
        .size:           8
        .value_kind:     global_buffer
      - .actual_access:  write_only
        .address_space:  global
        .offset:         144
        .size:           8
        .value_kind:     global_buffer
      - .actual_access:  write_only
        .address_space:  global
        .offset:         152
        .size:           8
        .value_kind:     global_buffer
      - .offset:         160
        .size:           4
        .value_kind:     by_value
      - .offset:         164
        .size:           4
        .value_kind:     by_value
      - .offset:         168
        .size:           4
        .value_kind:     by_value
      - .offset:         172
        .size:           4
        .value_kind:     by_value
      - .offset:         176
        .size:           1
        .value_kind:     by_value
      - .offset:         177
        .size:           1
        .value_kind:     by_value
      - .offset:         178
        .size:           1
        .value_kind:     by_value
    .group_segment_fixed_size: 16640
    .kernarg_segment_align: 8
    .kernarg_segment_size: 180
    .language:       OpenCL C
    .language_version:
      - 2
      - 0
    .max_flat_workgroup_size: 256
    .name:           _ZN9rocsparseL23bsrgemm_fill_wf_per_rowILj256ELj64ELj8ELj137ELj8ElldEEv20rocsparse_direction_T5_S2_S2_PKS2_S4_NS_24const_host_device_scalarIT6_EEPKT4_S4_PKS6_SA_S4_SC_S7_SA_S4_SC_SA_PS2_PS6_21rocsparse_index_base_SF_SF_SF_bbb
    .private_segment_fixed_size: 0
    .sgpr_count:     53
    .sgpr_spill_count: 0
    .symbol:         _ZN9rocsparseL23bsrgemm_fill_wf_per_rowILj256ELj64ELj8ELj137ELj8ElldEEv20rocsparse_direction_T5_S2_S2_PKS2_S4_NS_24const_host_device_scalarIT6_EEPKT4_S4_PKS6_SA_S4_SC_S7_SA_S4_SC_SA_PS2_PS6_21rocsparse_index_base_SF_SF_SF_bbb.kd
    .uniform_work_group_size: 1
    .uses_dynamic_stack: false
    .vgpr_count:     47
    .vgpr_spill_count: 0
    .wavefront_size: 32
    .workgroup_processor_mode: 1
  - .args:
      - .offset:         0
        .size:           4
        .value_kind:     by_value
      - .offset:         8
        .size:           8
        .value_kind:     by_value
      - .offset:         16
        .size:           8
        .value_kind:     by_value
      - .actual_access:  read_only
        .address_space:  global
        .offset:         24
        .size:           8
        .value_kind:     global_buffer
      - .actual_access:  read_only
        .address_space:  global
        .offset:         32
        .size:           8
        .value_kind:     global_buffer
      - .offset:         40
        .size:           8
        .value_kind:     by_value
      - .actual_access:  read_only
        .address_space:  global
        .offset:         48
        .size:           8
        .value_kind:     global_buffer
      - .actual_access:  read_only
        .address_space:  global
        .offset:         56
        .size:           8
        .value_kind:     global_buffer
      - .actual_access:  read_only
        .address_space:  global
        .offset:         64
        .size:           8
        .value_kind:     global_buffer
      - .actual_access:  read_only
        .address_space:  global
        .offset:         72
        .size:           8
        .value_kind:     global_buffer
      - .actual_access:  read_only
        .address_space:  global
        .offset:         80
        .size:           8
        .value_kind:     global_buffer
      - .actual_access:  read_only
        .address_space:  global
        .offset:         88
        .size:           8
        .value_kind:     global_buffer
      - .offset:         96
        .size:           8
        .value_kind:     by_value
      - .actual_access:  read_only
        .address_space:  global
        .offset:         104
        .size:           8
        .value_kind:     global_buffer
      - .actual_access:  read_only
        .address_space:  global
        .offset:         112
        .size:           8
        .value_kind:     global_buffer
      - .actual_access:  read_only
        .address_space:  global
        .offset:         120
        .size:           8
        .value_kind:     global_buffer
      - .actual_access:  read_only
        .address_space:  global
        .offset:         128
        .size:           8
        .value_kind:     global_buffer
      - .actual_access:  write_only
        .address_space:  global
        .offset:         136
        .size:           8
        .value_kind:     global_buffer
      - .actual_access:  write_only
        .address_space:  global
        .offset:         144
        .size:           8
        .value_kind:     global_buffer
      - .address_space:  global
        .offset:         152
        .size:           8
        .value_kind:     global_buffer
      - .offset:         160
        .size:           4
        .value_kind:     by_value
      - .offset:         164
        .size:           4
        .value_kind:     by_value
      - .offset:         168
        .size:           4
        .value_kind:     by_value
      - .offset:         172
        .size:           4
        .value_kind:     by_value
      - .offset:         176
        .size:           1
        .value_kind:     by_value
      - .offset:         177
        .size:           1
        .value_kind:     by_value
      - .offset:         178
        .size:           1
        .value_kind:     by_value
    .group_segment_fixed_size: 10312
    .kernarg_segment_align: 8
    .kernarg_segment_size: 180
    .language:       OpenCL C
    .language_version:
      - 2
      - 0
    .max_flat_workgroup_size: 256
    .name:           _ZN9rocsparseL38bsrgemm_block_per_row_atomic_multipassILj256ELj16ELj8ElldEEv20rocsparse_direction_T3_S2_PKS2_S4_NS_24const_host_device_scalarIT4_EEPKT2_S4_PKS6_SA_S4_SC_S7_SA_S4_SC_SA_PS2_PS6_PS8_21rocsparse_index_base_SG_SG_SG_bbb
    .private_segment_fixed_size: 0
    .sgpr_count:     66
    .sgpr_spill_count: 0
    .symbol:         _ZN9rocsparseL38bsrgemm_block_per_row_atomic_multipassILj256ELj16ELj8ElldEEv20rocsparse_direction_T3_S2_PKS2_S4_NS_24const_host_device_scalarIT4_EEPKT2_S4_PKS6_SA_S4_SC_S7_SA_S4_SC_SA_PS2_PS6_PS8_21rocsparse_index_base_SG_SG_SG_bbb.kd
    .uniform_work_group_size: 1
    .uses_dynamic_stack: false
    .vgpr_count:     65
    .vgpr_spill_count: 0
    .wavefront_size: 32
    .workgroup_processor_mode: 1
  - .args:
      - .offset:         0
        .size:           4
        .value_kind:     by_value
      - .offset:         8
        .size:           8
        .value_kind:     by_value
      - .offset:         16
        .size:           8
        .value_kind:     by_value
      - .actual_access:  read_only
        .address_space:  global
        .offset:         24
        .size:           8
        .value_kind:     global_buffer
      - .actual_access:  read_only
        .address_space:  global
        .offset:         32
        .size:           8
        .value_kind:     global_buffer
      - .offset:         40
        .size:           8
        .value_kind:     by_value
      - .actual_access:  read_only
        .address_space:  global
        .offset:         48
        .size:           8
        .value_kind:     global_buffer
      - .actual_access:  read_only
        .address_space:  global
        .offset:         56
        .size:           8
        .value_kind:     global_buffer
      - .actual_access:  read_only
        .address_space:  global
        .offset:         64
        .size:           8
        .value_kind:     global_buffer
      - .actual_access:  read_only
        .address_space:  global
        .offset:         72
        .size:           8
        .value_kind:     global_buffer
      - .actual_access:  read_only
        .address_space:  global
        .offset:         80
        .size:           8
        .value_kind:     global_buffer
      - .actual_access:  read_only
        .address_space:  global
        .offset:         88
        .size:           8
        .value_kind:     global_buffer
      - .offset:         96
        .size:           8
        .value_kind:     by_value
      - .actual_access:  read_only
        .address_space:  global
        .offset:         104
        .size:           8
        .value_kind:     global_buffer
      - .actual_access:  read_only
        .address_space:  global
        .offset:         112
        .size:           8
        .value_kind:     global_buffer
      - .actual_access:  read_only
        .address_space:  global
        .offset:         120
        .size:           8
        .value_kind:     global_buffer
      - .actual_access:  read_only
        .address_space:  global
        .offset:         128
        .size:           8
        .value_kind:     global_buffer
      - .actual_access:  write_only
        .address_space:  global
        .offset:         136
        .size:           8
        .value_kind:     global_buffer
      - .actual_access:  write_only
        .address_space:  global
        .offset:         144
        .size:           8
        .value_kind:     global_buffer
      - .address_space:  global
        .offset:         152
        .size:           8
        .value_kind:     global_buffer
      - .offset:         160
        .size:           4
        .value_kind:     by_value
      - .offset:         164
        .size:           4
        .value_kind:     by_value
      - .offset:         168
        .size:           4
        .value_kind:     by_value
      - .offset:         172
        .size:           4
        .value_kind:     by_value
      - .offset:         176
        .size:           1
        .value_kind:     by_value
      - .offset:         177
        .size:           1
        .value_kind:     by_value
      - .offset:         178
        .size:           1
        .value_kind:     by_value
    .group_segment_fixed_size: 18568
    .kernarg_segment_align: 8
    .kernarg_segment_size: 180
    .language:       OpenCL C
    .language_version:
      - 2
      - 0
    .max_flat_workgroup_size: 256
    .name:           _ZN9rocsparseL38bsrgemm_block_per_row_atomic_multipassILj256ELj32ELj8ElldEEv20rocsparse_direction_T3_S2_PKS2_S4_NS_24const_host_device_scalarIT4_EEPKT2_S4_PKS6_SA_S4_SC_S7_SA_S4_SC_SA_PS2_PS6_PS8_21rocsparse_index_base_SG_SG_SG_bbb
    .private_segment_fixed_size: 0
    .sgpr_count:     70
    .sgpr_spill_count: 0
    .symbol:         _ZN9rocsparseL38bsrgemm_block_per_row_atomic_multipassILj256ELj32ELj8ElldEEv20rocsparse_direction_T3_S2_PKS2_S4_NS_24const_host_device_scalarIT4_EEPKT2_S4_PKS6_SA_S4_SC_S7_SA_S4_SC_SA_PS2_PS6_PS8_21rocsparse_index_base_SG_SG_SG_bbb.kd
    .uniform_work_group_size: 1
    .uses_dynamic_stack: false
    .vgpr_count:     66
    .vgpr_spill_count: 0
    .wavefront_size: 32
    .workgroup_processor_mode: 1
  - .args:
      - .offset:         0
        .size:           4
        .value_kind:     by_value
      - .offset:         8
        .size:           8
        .value_kind:     by_value
      - .offset:         16
        .size:           8
        .value_kind:     by_value
      - .actual_access:  read_only
        .address_space:  global
        .offset:         24
        .size:           8
        .value_kind:     global_buffer
      - .actual_access:  read_only
        .address_space:  global
        .offset:         32
        .size:           8
        .value_kind:     global_buffer
      - .offset:         40
        .size:           8
        .value_kind:     by_value
      - .actual_access:  read_only
        .address_space:  global
        .offset:         48
        .size:           8
        .value_kind:     global_buffer
      - .actual_access:  read_only
        .address_space:  global
        .offset:         56
        .size:           8
        .value_kind:     global_buffer
      - .actual_access:  read_only
        .address_space:  global
        .offset:         64
        .size:           8
        .value_kind:     global_buffer
      - .actual_access:  read_only
        .address_space:  global
        .offset:         72
        .size:           8
        .value_kind:     global_buffer
      - .actual_access:  read_only
        .address_space:  global
        .offset:         80
        .size:           8
        .value_kind:     global_buffer
      - .actual_access:  read_only
        .address_space:  global
        .offset:         88
        .size:           8
        .value_kind:     global_buffer
      - .offset:         96
        .size:           8
        .value_kind:     by_value
      - .actual_access:  read_only
        .address_space:  global
        .offset:         104
        .size:           8
        .value_kind:     global_buffer
      - .actual_access:  read_only
        .address_space:  global
        .offset:         112
        .size:           8
        .value_kind:     global_buffer
      - .actual_access:  read_only
        .address_space:  global
        .offset:         120
        .size:           8
        .value_kind:     global_buffer
      - .actual_access:  read_only
        .address_space:  global
        .offset:         128
        .size:           8
        .value_kind:     global_buffer
      - .actual_access:  write_only
        .address_space:  global
        .offset:         136
        .size:           8
        .value_kind:     global_buffer
      - .actual_access:  write_only
        .address_space:  global
        .offset:         144
        .size:           8
        .value_kind:     global_buffer
      - .address_space:  global
        .offset:         152
        .size:           8
        .value_kind:     global_buffer
      - .offset:         160
        .size:           4
        .value_kind:     by_value
      - .offset:         164
        .size:           4
        .value_kind:     by_value
      - .offset:         168
        .size:           4
        .value_kind:     by_value
      - .offset:         172
        .size:           4
        .value_kind:     by_value
      - .offset:         176
        .size:           1
        .value_kind:     by_value
      - .offset:         177
        .size:           1
        .value_kind:     by_value
      - .offset:         178
        .size:           1
        .value_kind:     by_value
    .group_segment_fixed_size: 16392
    .kernarg_segment_align: 8
    .kernarg_segment_size: 180
    .language:       OpenCL C
    .language_version:
      - 2
      - 0
    .max_flat_workgroup_size: 256
    .name:           _ZN9rocsparseL31bsrgemm_block_per_row_multipassILj256ELj8ELj16ElldEEv20rocsparse_direction_T3_S2_PKS2_S4_NS_24const_host_device_scalarIT4_EEPKT2_S4_PKS6_SA_S4_SC_S7_SA_S4_SC_SA_PS2_PS6_PS8_21rocsparse_index_base_SG_SG_SG_bbb
    .private_segment_fixed_size: 0
    .sgpr_count:     77
    .sgpr_spill_count: 0
    .symbol:         _ZN9rocsparseL31bsrgemm_block_per_row_multipassILj256ELj8ELj16ElldEEv20rocsparse_direction_T3_S2_PKS2_S4_NS_24const_host_device_scalarIT4_EEPKT2_S4_PKS6_SA_S4_SC_S7_SA_S4_SC_SA_PS2_PS6_PS8_21rocsparse_index_base_SG_SG_SG_bbb.kd
    .uniform_work_group_size: 1
    .uses_dynamic_stack: false
    .vgpr_count:     50
    .vgpr_spill_count: 0
    .wavefront_size: 32
    .workgroup_processor_mode: 1
  - .args:
      - .offset:         0
        .size:           4
        .value_kind:     by_value
      - .offset:         8
        .size:           8
        .value_kind:     by_value
      - .offset:         16
        .size:           8
        .value_kind:     by_value
      - .actual_access:  read_only
        .address_space:  global
        .offset:         24
        .size:           8
        .value_kind:     global_buffer
      - .actual_access:  read_only
        .address_space:  global
        .offset:         32
        .size:           8
        .value_kind:     global_buffer
      - .offset:         40
        .size:           8
        .value_kind:     by_value
      - .actual_access:  read_only
        .address_space:  global
        .offset:         48
        .size:           8
        .value_kind:     global_buffer
      - .actual_access:  read_only
        .address_space:  global
        .offset:         56
        .size:           8
        .value_kind:     global_buffer
      - .actual_access:  read_only
        .address_space:  global
        .offset:         64
        .size:           8
        .value_kind:     global_buffer
      - .actual_access:  read_only
        .address_space:  global
        .offset:         72
        .size:           8
        .value_kind:     global_buffer
      - .actual_access:  read_only
        .address_space:  global
        .offset:         80
        .size:           8
        .value_kind:     global_buffer
      - .actual_access:  read_only
        .address_space:  global
        .offset:         88
        .size:           8
        .value_kind:     global_buffer
      - .offset:         96
        .size:           8
        .value_kind:     by_value
      - .actual_access:  read_only
        .address_space:  global
        .offset:         104
        .size:           8
        .value_kind:     global_buffer
      - .actual_access:  read_only
        .address_space:  global
        .offset:         112
        .size:           8
        .value_kind:     global_buffer
      - .actual_access:  read_only
        .address_space:  global
        .offset:         120
        .size:           8
        .value_kind:     global_buffer
      - .actual_access:  read_only
        .address_space:  global
        .offset:         128
        .size:           8
        .value_kind:     global_buffer
      - .actual_access:  write_only
        .address_space:  global
        .offset:         136
        .size:           8
        .value_kind:     global_buffer
      - .actual_access:  write_only
        .address_space:  global
        .offset:         144
        .size:           8
        .value_kind:     global_buffer
      - .address_space:  global
        .offset:         152
        .size:           8
        .value_kind:     global_buffer
      - .offset:         160
        .size:           4
        .value_kind:     by_value
      - .offset:         164
        .size:           4
        .value_kind:     by_value
      - .offset:         168
        .size:           4
        .value_kind:     by_value
      - .offset:         172
        .size:           4
        .value_kind:     by_value
      - .offset:         176
        .size:           1
        .value_kind:     by_value
      - .offset:         177
        .size:           1
        .value_kind:     by_value
      - .offset:         178
        .size:           1
        .value_kind:     by_value
    .group_segment_fixed_size: 16392
    .kernarg_segment_align: 8
    .kernarg_segment_size: 180
    .language:       OpenCL C
    .language_version:
      - 2
      - 0
    .max_flat_workgroup_size: 256
    .name:           _ZN9rocsparseL31bsrgemm_block_per_row_multipassILj256ELj2ELj32ElldEEv20rocsparse_direction_T3_S2_PKS2_S4_NS_24const_host_device_scalarIT4_EEPKT2_S4_PKS6_SA_S4_SC_S7_SA_S4_SC_SA_PS2_PS6_PS8_21rocsparse_index_base_SG_SG_SG_bbb
    .private_segment_fixed_size: 0
    .sgpr_count:     85
    .sgpr_spill_count: 0
    .symbol:         _ZN9rocsparseL31bsrgemm_block_per_row_multipassILj256ELj2ELj32ElldEEv20rocsparse_direction_T3_S2_PKS2_S4_NS_24const_host_device_scalarIT4_EEPKT2_S4_PKS6_SA_S4_SC_S7_SA_S4_SC_SA_PS2_PS6_PS8_21rocsparse_index_base_SG_SG_SG_bbb.kd
    .uniform_work_group_size: 1
    .uses_dynamic_stack: false
    .vgpr_count:     78
    .vgpr_spill_count: 0
    .wavefront_size: 32
    .workgroup_processor_mode: 1
  - .args:
      - .offset:         0
        .size:           8
        .value_kind:     by_value
      - .actual_access:  read_only
        .address_space:  global
        .offset:         8
        .size:           8
        .value_kind:     global_buffer
      - .actual_access:  write_only
        .address_space:  global
        .offset:         16
        .size:           8
        .value_kind:     global_buffer
      - .actual_access:  write_only
        .address_space:  global
        .offset:         24
        .size:           8
        .value_kind:     global_buffer
      - .offset:         32
        .size:           4
        .value_kind:     hidden_block_count_x
      - .offset:         36
        .size:           4
        .value_kind:     hidden_block_count_y
      - .offset:         40
        .size:           4
        .value_kind:     hidden_block_count_z
      - .offset:         44
        .size:           2
        .value_kind:     hidden_group_size_x
      - .offset:         46
        .size:           2
        .value_kind:     hidden_group_size_y
      - .offset:         48
        .size:           2
        .value_kind:     hidden_group_size_z
      - .offset:         50
        .size:           2
        .value_kind:     hidden_remainder_x
      - .offset:         52
        .size:           2
        .value_kind:     hidden_remainder_y
      - .offset:         54
        .size:           2
        .value_kind:     hidden_remainder_z
      - .offset:         72
        .size:           8
        .value_kind:     hidden_global_offset_x
      - .offset:         80
        .size:           8
        .value_kind:     hidden_global_offset_y
      - .offset:         88
        .size:           8
        .value_kind:     hidden_global_offset_z
      - .offset:         96
        .size:           2
        .value_kind:     hidden_grid_dims
    .group_segment_fixed_size: 16384
    .kernarg_segment_align: 8
    .kernarg_segment_size: 288
    .language:       OpenCL C
    .language_version:
      - 2
      - 0
    .max_flat_workgroup_size: 256
    .name:           _ZN9rocsparseL26bsrgemm_group_reduce_part2ILj256ELj8ELj2E21rocsparse_complex_numIfEllEEvT4_PKT3_PS3_Pi
    .private_segment_fixed_size: 0
    .sgpr_count:     21
    .sgpr_spill_count: 0
    .symbol:         _ZN9rocsparseL26bsrgemm_group_reduce_part2ILj256ELj8ELj2E21rocsparse_complex_numIfEllEEvT4_PKT3_PS3_Pi.kd
    .uniform_work_group_size: 1
    .uses_dynamic_stack: false
    .vgpr_count:     36
    .vgpr_spill_count: 0
    .wavefront_size: 32
    .workgroup_processor_mode: 1
  - .args:
      - .offset:         0
        .size:           8
        .value_kind:     by_value
      - .actual_access:  read_only
        .address_space:  global
        .offset:         8
        .size:           8
        .value_kind:     global_buffer
      - .actual_access:  write_only
        .address_space:  global
        .offset:         16
        .size:           8
        .value_kind:     global_buffer
      - .actual_access:  write_only
        .address_space:  global
        .offset:         24
        .size:           8
        .value_kind:     global_buffer
      - .offset:         32
        .size:           4
        .value_kind:     hidden_block_count_x
      - .offset:         36
        .size:           4
        .value_kind:     hidden_block_count_y
      - .offset:         40
        .size:           4
        .value_kind:     hidden_block_count_z
      - .offset:         44
        .size:           2
        .value_kind:     hidden_group_size_x
      - .offset:         46
        .size:           2
        .value_kind:     hidden_group_size_y
      - .offset:         48
        .size:           2
        .value_kind:     hidden_group_size_z
      - .offset:         50
        .size:           2
        .value_kind:     hidden_remainder_x
      - .offset:         52
        .size:           2
        .value_kind:     hidden_remainder_y
      - .offset:         54
        .size:           2
        .value_kind:     hidden_remainder_z
      - .offset:         72
        .size:           8
        .value_kind:     hidden_global_offset_x
      - .offset:         80
        .size:           8
        .value_kind:     hidden_global_offset_y
      - .offset:         88
        .size:           8
        .value_kind:     hidden_global_offset_z
      - .offset:         96
        .size:           2
        .value_kind:     hidden_grid_dims
    .group_segment_fixed_size: 16384
    .kernarg_segment_align: 8
    .kernarg_segment_size: 288
    .language:       OpenCL C
    .language_version:
      - 2
      - 0
    .max_flat_workgroup_size: 256
    .name:           _ZN9rocsparseL26bsrgemm_group_reduce_part2ILj256ELj8ELj8E21rocsparse_complex_numIfEllEEvT4_PKT3_PS3_Pi
    .private_segment_fixed_size: 0
    .sgpr_count:     21
    .sgpr_spill_count: 0
    .symbol:         _ZN9rocsparseL26bsrgemm_group_reduce_part2ILj256ELj8ELj8E21rocsparse_complex_numIfEllEEvT4_PKT3_PS3_Pi.kd
    .uniform_work_group_size: 1
    .uses_dynamic_stack: false
    .vgpr_count:     36
    .vgpr_spill_count: 0
    .wavefront_size: 32
    .workgroup_processor_mode: 1
  - .args:
      - .offset:         0
        .size:           4
        .value_kind:     by_value
      - .offset:         8
        .size:           8
        .value_kind:     by_value
      - .offset:         16
        .size:           8
        .value_kind:     by_value
      - .actual_access:  read_only
        .address_space:  global
        .offset:         24
        .size:           8
        .value_kind:     global_buffer
      - .actual_access:  read_only
        .address_space:  global
        .offset:         32
        .size:           8
        .value_kind:     global_buffer
      - .offset:         40
        .size:           8
        .value_kind:     by_value
      - .actual_access:  read_only
        .address_space:  global
        .offset:         48
        .size:           8
        .value_kind:     global_buffer
      - .actual_access:  read_only
        .address_space:  global
        .offset:         56
        .size:           8
        .value_kind:     global_buffer
      - .actual_access:  read_only
        .address_space:  global
        .offset:         64
        .size:           8
        .value_kind:     global_buffer
      - .actual_access:  read_only
        .address_space:  global
        .offset:         72
        .size:           8
        .value_kind:     global_buffer
      - .actual_access:  read_only
        .address_space:  global
        .offset:         80
        .size:           8
        .value_kind:     global_buffer
      - .actual_access:  read_only
        .address_space:  global
        .offset:         88
        .size:           8
        .value_kind:     global_buffer
      - .offset:         96
        .size:           8
        .value_kind:     by_value
      - .actual_access:  read_only
        .address_space:  global
        .offset:         104
        .size:           8
        .value_kind:     global_buffer
      - .actual_access:  read_only
        .address_space:  global
        .offset:         112
        .size:           8
        .value_kind:     global_buffer
      - .actual_access:  read_only
        .address_space:  global
        .offset:         120
        .size:           8
        .value_kind:     global_buffer
      - .actual_access:  read_only
        .address_space:  global
        .offset:         128
        .size:           8
        .value_kind:     global_buffer
      - .actual_access:  write_only
        .address_space:  global
        .offset:         136
        .size:           8
        .value_kind:     global_buffer
      - .actual_access:  write_only
        .address_space:  global
        .offset:         144
        .size:           8
        .value_kind:     global_buffer
      - .offset:         152
        .size:           4
        .value_kind:     by_value
      - .offset:         156
        .size:           4
        .value_kind:     by_value
      - .offset:         160
        .size:           4
        .value_kind:     by_value
      - .offset:         164
        .size:           4
        .value_kind:     by_value
      - .offset:         168
        .size:           1
        .value_kind:     by_value
      - .offset:         169
        .size:           1
        .value_kind:     by_value
      - .offset:         170
        .size:           1
        .value_kind:     by_value
    .group_segment_fixed_size: 5120
    .kernarg_segment_align: 8
    .kernarg_segment_size: 172
    .language:       OpenCL C
    .language_version:
      - 2
      - 0
    .max_flat_workgroup_size: 256
    .name:           _ZN9rocsparseL27bsrgemm_fill_wf_per_row_2x2ILj256ELj16ELj8ELj137Ell21rocsparse_complex_numIfEEEv20rocsparse_direction_T4_S4_PKS4_S6_NS_24const_host_device_scalarIT5_EEPKT3_S6_PKS8_SC_S6_SE_S9_SC_S6_SE_SC_PS4_PS8_21rocsparse_index_base_SH_SH_SH_bbb
    .private_segment_fixed_size: 0
    .sgpr_count:     51
    .sgpr_spill_count: 0
    .symbol:         _ZN9rocsparseL27bsrgemm_fill_wf_per_row_2x2ILj256ELj16ELj8ELj137Ell21rocsparse_complex_numIfEEEv20rocsparse_direction_T4_S4_PKS4_S6_NS_24const_host_device_scalarIT5_EEPKT3_S6_PKS8_SC_S6_SE_S9_SC_S6_SE_SC_PS4_PS8_21rocsparse_index_base_SH_SH_SH_bbb.kd
    .uniform_work_group_size: 1
    .uses_dynamic_stack: false
    .vgpr_count:     38
    .vgpr_spill_count: 0
    .wavefront_size: 32
    .workgroup_processor_mode: 1
  - .args:
      - .offset:         0
        .size:           4
        .value_kind:     by_value
      - .offset:         8
        .size:           8
        .value_kind:     by_value
      - .offset:         16
        .size:           8
        .value_kind:     by_value
      - .actual_access:  read_only
        .address_space:  global
        .offset:         24
        .size:           8
        .value_kind:     global_buffer
      - .actual_access:  read_only
        .address_space:  global
        .offset:         32
        .size:           8
        .value_kind:     global_buffer
      - .offset:         40
        .size:           8
        .value_kind:     by_value
      - .actual_access:  read_only
        .address_space:  global
        .offset:         48
        .size:           8
        .value_kind:     global_buffer
      - .actual_access:  read_only
        .address_space:  global
        .offset:         56
        .size:           8
        .value_kind:     global_buffer
      - .actual_access:  read_only
        .address_space:  global
        .offset:         64
        .size:           8
        .value_kind:     global_buffer
      - .actual_access:  read_only
        .address_space:  global
        .offset:         72
        .size:           8
        .value_kind:     global_buffer
      - .actual_access:  read_only
        .address_space:  global
        .offset:         80
        .size:           8
        .value_kind:     global_buffer
      - .actual_access:  read_only
        .address_space:  global
        .offset:         88
        .size:           8
        .value_kind:     global_buffer
      - .offset:         96
        .size:           8
        .value_kind:     by_value
      - .actual_access:  read_only
        .address_space:  global
        .offset:         104
        .size:           8
        .value_kind:     global_buffer
      - .actual_access:  read_only
        .address_space:  global
        .offset:         112
        .size:           8
        .value_kind:     global_buffer
      - .actual_access:  read_only
        .address_space:  global
        .offset:         120
        .size:           8
        .value_kind:     global_buffer
      - .actual_access:  read_only
        .address_space:  global
        .offset:         128
        .size:           8
        .value_kind:     global_buffer
      - .actual_access:  write_only
        .address_space:  global
        .offset:         136
        .size:           8
        .value_kind:     global_buffer
      - .actual_access:  write_only
        .address_space:  global
        .offset:         144
        .size:           8
        .value_kind:     global_buffer
      - .offset:         152
        .size:           4
        .value_kind:     by_value
      - .offset:         156
        .size:           4
        .value_kind:     by_value
      - .offset:         160
        .size:           4
        .value_kind:     by_value
      - .offset:         164
        .size:           4
        .value_kind:     by_value
      - .offset:         168
        .size:           1
        .value_kind:     by_value
      - .offset:         169
        .size:           1
        .value_kind:     by_value
      - .offset:         170
        .size:           1
        .value_kind:     by_value
    .group_segment_fixed_size: 10240
    .kernarg_segment_align: 8
    .kernarg_segment_size: 172
    .language:       OpenCL C
    .language_version:
      - 2
      - 0
    .max_flat_workgroup_size: 256
    .name:           _ZN9rocsparseL27bsrgemm_fill_wf_per_row_2x2ILj256ELj16ELj16ELj137Ell21rocsparse_complex_numIfEEEv20rocsparse_direction_T4_S4_PKS4_S6_NS_24const_host_device_scalarIT5_EEPKT3_S6_PKS8_SC_S6_SE_S9_SC_S6_SE_SC_PS4_PS8_21rocsparse_index_base_SH_SH_SH_bbb
    .private_segment_fixed_size: 0
    .sgpr_count:     50
    .sgpr_spill_count: 0
    .symbol:         _ZN9rocsparseL27bsrgemm_fill_wf_per_row_2x2ILj256ELj16ELj16ELj137Ell21rocsparse_complex_numIfEEEv20rocsparse_direction_T4_S4_PKS4_S6_NS_24const_host_device_scalarIT5_EEPKT3_S6_PKS8_SC_S6_SE_S9_SC_S6_SE_SC_PS4_PS8_21rocsparse_index_base_SH_SH_SH_bbb.kd
    .uniform_work_group_size: 1
    .uses_dynamic_stack: false
    .vgpr_count:     43
    .vgpr_spill_count: 0
    .wavefront_size: 32
    .workgroup_processor_mode: 1
  - .args:
      - .offset:         0
        .size:           4
        .value_kind:     by_value
      - .offset:         8
        .size:           8
        .value_kind:     by_value
      - .offset:         16
        .size:           8
        .value_kind:     by_value
      - .actual_access:  read_only
        .address_space:  global
        .offset:         24
        .size:           8
        .value_kind:     global_buffer
      - .actual_access:  read_only
        .address_space:  global
        .offset:         32
        .size:           8
        .value_kind:     global_buffer
      - .offset:         40
        .size:           8
        .value_kind:     by_value
      - .actual_access:  read_only
        .address_space:  global
        .offset:         48
        .size:           8
        .value_kind:     global_buffer
      - .actual_access:  read_only
        .address_space:  global
        .offset:         56
        .size:           8
        .value_kind:     global_buffer
      - .actual_access:  read_only
        .address_space:  global
        .offset:         64
        .size:           8
        .value_kind:     global_buffer
      - .actual_access:  read_only
        .address_space:  global
        .offset:         72
        .size:           8
        .value_kind:     global_buffer
      - .actual_access:  read_only
        .address_space:  global
        .offset:         80
        .size:           8
        .value_kind:     global_buffer
      - .actual_access:  read_only
        .address_space:  global
        .offset:         88
        .size:           8
        .value_kind:     global_buffer
      - .offset:         96
        .size:           8
        .value_kind:     by_value
      - .actual_access:  read_only
        .address_space:  global
        .offset:         104
        .size:           8
        .value_kind:     global_buffer
      - .actual_access:  read_only
        .address_space:  global
        .offset:         112
        .size:           8
        .value_kind:     global_buffer
      - .actual_access:  read_only
        .address_space:  global
        .offset:         120
        .size:           8
        .value_kind:     global_buffer
      - .actual_access:  read_only
        .address_space:  global
        .offset:         128
        .size:           8
        .value_kind:     global_buffer
      - .actual_access:  write_only
        .address_space:  global
        .offset:         136
        .size:           8
        .value_kind:     global_buffer
      - .actual_access:  write_only
        .address_space:  global
        .offset:         144
        .size:           8
        .value_kind:     global_buffer
      - .offset:         152
        .size:           4
        .value_kind:     by_value
      - .offset:         156
        .size:           4
        .value_kind:     by_value
      - .offset:         160
        .size:           4
        .value_kind:     by_value
      - .offset:         164
        .size:           4
        .value_kind:     by_value
      - .offset:         168
        .size:           1
        .value_kind:     by_value
      - .offset:         169
        .size:           1
        .value_kind:     by_value
      - .offset:         170
        .size:           1
        .value_kind:     by_value
    .group_segment_fixed_size: 20480
    .kernarg_segment_align: 8
    .kernarg_segment_size: 172
    .language:       OpenCL C
    .language_version:
      - 2
      - 0
    .max_flat_workgroup_size: 256
    .name:           _ZN9rocsparseL27bsrgemm_fill_wf_per_row_2x2ILj256ELj16ELj32ELj137Ell21rocsparse_complex_numIfEEEv20rocsparse_direction_T4_S4_PKS4_S6_NS_24const_host_device_scalarIT5_EEPKT3_S6_PKS8_SC_S6_SE_S9_SC_S6_SE_SC_PS4_PS8_21rocsparse_index_base_SH_SH_SH_bbb
    .private_segment_fixed_size: 0
    .sgpr_count:     50
    .sgpr_spill_count: 0
    .symbol:         _ZN9rocsparseL27bsrgemm_fill_wf_per_row_2x2ILj256ELj16ELj32ELj137Ell21rocsparse_complex_numIfEEEv20rocsparse_direction_T4_S4_PKS4_S6_NS_24const_host_device_scalarIT5_EEPKT3_S6_PKS8_SC_S6_SE_S9_SC_S6_SE_SC_PS4_PS8_21rocsparse_index_base_SH_SH_SH_bbb.kd
    .uniform_work_group_size: 1
    .uses_dynamic_stack: false
    .vgpr_count:     43
    .vgpr_spill_count: 0
    .wavefront_size: 32
    .workgroup_processor_mode: 1
  - .args:
      - .offset:         0
        .size:           4
        .value_kind:     by_value
      - .offset:         8
        .size:           8
        .value_kind:     by_value
      - .offset:         16
        .size:           8
        .value_kind:     by_value
      - .actual_access:  read_only
        .address_space:  global
        .offset:         24
        .size:           8
        .value_kind:     global_buffer
      - .actual_access:  read_only
        .address_space:  global
        .offset:         32
        .size:           8
        .value_kind:     global_buffer
      - .offset:         40
        .size:           8
        .value_kind:     by_value
      - .actual_access:  read_only
        .address_space:  global
        .offset:         48
        .size:           8
        .value_kind:     global_buffer
      - .actual_access:  read_only
        .address_space:  global
        .offset:         56
        .size:           8
        .value_kind:     global_buffer
      - .actual_access:  read_only
        .address_space:  global
        .offset:         64
        .size:           8
        .value_kind:     global_buffer
      - .actual_access:  read_only
        .address_space:  global
        .offset:         72
        .size:           8
        .value_kind:     global_buffer
      - .actual_access:  read_only
        .address_space:  global
        .offset:         80
        .size:           8
        .value_kind:     global_buffer
      - .actual_access:  read_only
        .address_space:  global
        .offset:         88
        .size:           8
        .value_kind:     global_buffer
      - .offset:         96
        .size:           8
        .value_kind:     by_value
      - .actual_access:  read_only
        .address_space:  global
        .offset:         104
        .size:           8
        .value_kind:     global_buffer
      - .actual_access:  read_only
        .address_space:  global
        .offset:         112
        .size:           8
        .value_kind:     global_buffer
      - .actual_access:  read_only
        .address_space:  global
        .offset:         120
        .size:           8
        .value_kind:     global_buffer
      - .actual_access:  read_only
        .address_space:  global
        .offset:         128
        .size:           8
        .value_kind:     global_buffer
      - .actual_access:  write_only
        .address_space:  global
        .offset:         136
        .size:           8
        .value_kind:     global_buffer
      - .actual_access:  write_only
        .address_space:  global
        .offset:         144
        .size:           8
        .value_kind:     global_buffer
      - .offset:         152
        .size:           4
        .value_kind:     by_value
      - .offset:         156
        .size:           4
        .value_kind:     by_value
      - .offset:         160
        .size:           4
        .value_kind:     by_value
      - .offset:         164
        .size:           4
        .value_kind:     by_value
      - .offset:         168
        .size:           1
        .value_kind:     by_value
      - .offset:         169
        .size:           1
        .value_kind:     by_value
      - .offset:         170
        .size:           1
        .value_kind:     by_value
    .group_segment_fixed_size: 0
    .kernarg_segment_align: 8
    .kernarg_segment_size: 172
    .language:       OpenCL C
    .language_version:
      - 2
      - 0
    .max_flat_workgroup_size: 256
    .name:           _ZN9rocsparseL30bsrgemm_fill_block_per_row_2x2ILj256ELj16ELj64ELj137Ell21rocsparse_complex_numIfEEEv20rocsparse_direction_T4_S4_PKS4_S6_NS_24const_host_device_scalarIT5_EEPKT3_S6_PKS8_SC_S6_SE_S9_SC_S6_SE_SC_PS4_PS8_21rocsparse_index_base_SH_SH_SH_bbb
    .private_segment_fixed_size: 0
    .sgpr_count:     54
    .sgpr_spill_count: 0
    .symbol:         _ZN9rocsparseL30bsrgemm_fill_block_per_row_2x2ILj256ELj16ELj64ELj137Ell21rocsparse_complex_numIfEEEv20rocsparse_direction_T4_S4_PKS4_S6_NS_24const_host_device_scalarIT5_EEPKT3_S6_PKS8_SC_S6_SE_S9_SC_S6_SE_SC_PS4_PS8_21rocsparse_index_base_SH_SH_SH_bbb.kd
    .uniform_work_group_size: 1
    .uses_dynamic_stack: false
    .vgpr_count:     36
    .vgpr_spill_count: 0
    .wavefront_size: 32
    .workgroup_processor_mode: 1
  - .args:
      - .offset:         0
        .size:           4
        .value_kind:     by_value
      - .offset:         8
        .size:           8
        .value_kind:     by_value
      - .offset:         16
        .size:           8
        .value_kind:     by_value
      - .actual_access:  read_only
        .address_space:  global
        .offset:         24
        .size:           8
        .value_kind:     global_buffer
      - .actual_access:  read_only
        .address_space:  global
        .offset:         32
        .size:           8
        .value_kind:     global_buffer
      - .offset:         40
        .size:           8
        .value_kind:     by_value
      - .actual_access:  read_only
        .address_space:  global
        .offset:         48
        .size:           8
        .value_kind:     global_buffer
      - .actual_access:  read_only
        .address_space:  global
        .offset:         56
        .size:           8
        .value_kind:     global_buffer
      - .actual_access:  read_only
        .address_space:  global
        .offset:         64
        .size:           8
        .value_kind:     global_buffer
      - .actual_access:  read_only
        .address_space:  global
        .offset:         72
        .size:           8
        .value_kind:     global_buffer
      - .actual_access:  read_only
        .address_space:  global
        .offset:         80
        .size:           8
        .value_kind:     global_buffer
      - .actual_access:  read_only
        .address_space:  global
        .offset:         88
        .size:           8
        .value_kind:     global_buffer
      - .offset:         96
        .size:           8
        .value_kind:     by_value
      - .actual_access:  read_only
        .address_space:  global
        .offset:         104
        .size:           8
        .value_kind:     global_buffer
      - .actual_access:  read_only
        .address_space:  global
        .offset:         112
        .size:           8
        .value_kind:     global_buffer
      - .actual_access:  read_only
        .address_space:  global
        .offset:         120
        .size:           8
        .value_kind:     global_buffer
      - .actual_access:  read_only
        .address_space:  global
        .offset:         128
        .size:           8
        .value_kind:     global_buffer
      - .actual_access:  write_only
        .address_space:  global
        .offset:         136
        .size:           8
        .value_kind:     global_buffer
      - .actual_access:  write_only
        .address_space:  global
        .offset:         144
        .size:           8
        .value_kind:     global_buffer
      - .offset:         152
        .size:           4
        .value_kind:     by_value
      - .offset:         156
        .size:           4
        .value_kind:     by_value
      - .offset:         160
        .size:           4
        .value_kind:     by_value
      - .offset:         164
        .size:           4
        .value_kind:     by_value
      - .offset:         168
        .size:           1
        .value_kind:     by_value
      - .offset:         169
        .size:           1
        .value_kind:     by_value
      - .offset:         170
        .size:           1
        .value_kind:     by_value
    .group_segment_fixed_size: 0
    .kernarg_segment_align: 8
    .kernarg_segment_size: 172
    .language:       OpenCL C
    .language_version:
      - 2
      - 0
    .max_flat_workgroup_size: 256
    .name:           _ZN9rocsparseL30bsrgemm_fill_block_per_row_2x2ILj256ELj16ELj128ELj137Ell21rocsparse_complex_numIfEEEv20rocsparse_direction_T4_S4_PKS4_S6_NS_24const_host_device_scalarIT5_EEPKT3_S6_PKS8_SC_S6_SE_S9_SC_S6_SE_SC_PS4_PS8_21rocsparse_index_base_SH_SH_SH_bbb
    .private_segment_fixed_size: 0
    .sgpr_count:     54
    .sgpr_spill_count: 0
    .symbol:         _ZN9rocsparseL30bsrgemm_fill_block_per_row_2x2ILj256ELj16ELj128ELj137Ell21rocsparse_complex_numIfEEEv20rocsparse_direction_T4_S4_PKS4_S6_NS_24const_host_device_scalarIT5_EEPKT3_S6_PKS8_SC_S6_SE_S9_SC_S6_SE_SC_PS4_PS8_21rocsparse_index_base_SH_SH_SH_bbb.kd
    .uniform_work_group_size: 1
    .uses_dynamic_stack: false
    .vgpr_count:     37
    .vgpr_spill_count: 0
    .wavefront_size: 32
    .workgroup_processor_mode: 1
  - .args:
      - .offset:         0
        .size:           4
        .value_kind:     by_value
      - .offset:         8
        .size:           8
        .value_kind:     by_value
      - .offset:         16
        .size:           8
        .value_kind:     by_value
      - .actual_access:  read_only
        .address_space:  global
        .offset:         24
        .size:           8
        .value_kind:     global_buffer
      - .actual_access:  read_only
        .address_space:  global
        .offset:         32
        .size:           8
        .value_kind:     global_buffer
      - .offset:         40
        .size:           8
        .value_kind:     by_value
      - .actual_access:  read_only
        .address_space:  global
        .offset:         48
        .size:           8
        .value_kind:     global_buffer
      - .actual_access:  read_only
        .address_space:  global
        .offset:         56
        .size:           8
        .value_kind:     global_buffer
      - .actual_access:  read_only
        .address_space:  global
        .offset:         64
        .size:           8
        .value_kind:     global_buffer
      - .actual_access:  read_only
        .address_space:  global
        .offset:         72
        .size:           8
        .value_kind:     global_buffer
      - .actual_access:  read_only
        .address_space:  global
        .offset:         80
        .size:           8
        .value_kind:     global_buffer
      - .actual_access:  read_only
        .address_space:  global
        .offset:         88
        .size:           8
        .value_kind:     global_buffer
      - .offset:         96
        .size:           8
        .value_kind:     by_value
      - .actual_access:  read_only
        .address_space:  global
        .offset:         104
        .size:           8
        .value_kind:     global_buffer
      - .actual_access:  read_only
        .address_space:  global
        .offset:         112
        .size:           8
        .value_kind:     global_buffer
      - .actual_access:  read_only
        .address_space:  global
        .offset:         120
        .size:           8
        .value_kind:     global_buffer
      - .actual_access:  read_only
        .address_space:  global
        .offset:         128
        .size:           8
        .value_kind:     global_buffer
      - .actual_access:  write_only
        .address_space:  global
        .offset:         136
        .size:           8
        .value_kind:     global_buffer
      - .actual_access:  write_only
        .address_space:  global
        .offset:         144
        .size:           8
        .value_kind:     global_buffer
      - .offset:         152
        .size:           4
        .value_kind:     by_value
      - .offset:         156
        .size:           4
        .value_kind:     by_value
      - .offset:         160
        .size:           4
        .value_kind:     by_value
      - .offset:         164
        .size:           4
        .value_kind:     by_value
      - .offset:         168
        .size:           1
        .value_kind:     by_value
      - .offset:         169
        .size:           1
        .value_kind:     by_value
      - .offset:         170
        .size:           1
        .value_kind:     by_value
    .group_segment_fixed_size: 0
    .kernarg_segment_align: 8
    .kernarg_segment_size: 172
    .language:       OpenCL C
    .language_version:
      - 2
      - 0
    .max_flat_workgroup_size: 256
    .name:           _ZN9rocsparseL30bsrgemm_fill_block_per_row_2x2ILj256ELj16ELj256ELj137Ell21rocsparse_complex_numIfEEEv20rocsparse_direction_T4_S4_PKS4_S6_NS_24const_host_device_scalarIT5_EEPKT3_S6_PKS8_SC_S6_SE_S9_SC_S6_SE_SC_PS4_PS8_21rocsparse_index_base_SH_SH_SH_bbb
    .private_segment_fixed_size: 0
    .sgpr_count:     54
    .sgpr_spill_count: 0
    .symbol:         _ZN9rocsparseL30bsrgemm_fill_block_per_row_2x2ILj256ELj16ELj256ELj137Ell21rocsparse_complex_numIfEEEv20rocsparse_direction_T4_S4_PKS4_S6_NS_24const_host_device_scalarIT5_EEPKT3_S6_PKS8_SC_S6_SE_S9_SC_S6_SE_SC_PS4_PS8_21rocsparse_index_base_SH_SH_SH_bbb.kd
    .uniform_work_group_size: 1
    .uses_dynamic_stack: false
    .vgpr_count:     37
    .vgpr_spill_count: 0
    .wavefront_size: 32
    .workgroup_processor_mode: 1
  - .args:
      - .offset:         0
        .size:           4
        .value_kind:     by_value
      - .offset:         8
        .size:           8
        .value_kind:     by_value
      - .offset:         16
        .size:           8
        .value_kind:     by_value
      - .actual_access:  read_only
        .address_space:  global
        .offset:         24
        .size:           8
        .value_kind:     global_buffer
      - .actual_access:  read_only
        .address_space:  global
        .offset:         32
        .size:           8
        .value_kind:     global_buffer
      - .offset:         40
        .size:           8
        .value_kind:     by_value
      - .actual_access:  read_only
        .address_space:  global
        .offset:         48
        .size:           8
        .value_kind:     global_buffer
      - .actual_access:  read_only
        .address_space:  global
        .offset:         56
        .size:           8
        .value_kind:     global_buffer
      - .actual_access:  read_only
        .address_space:  global
        .offset:         64
        .size:           8
        .value_kind:     global_buffer
      - .actual_access:  read_only
        .address_space:  global
        .offset:         72
        .size:           8
        .value_kind:     global_buffer
      - .actual_access:  read_only
        .address_space:  global
        .offset:         80
        .size:           8
        .value_kind:     global_buffer
      - .actual_access:  read_only
        .address_space:  global
        .offset:         88
        .size:           8
        .value_kind:     global_buffer
      - .offset:         96
        .size:           8
        .value_kind:     by_value
      - .actual_access:  read_only
        .address_space:  global
        .offset:         104
        .size:           8
        .value_kind:     global_buffer
      - .actual_access:  read_only
        .address_space:  global
        .offset:         112
        .size:           8
        .value_kind:     global_buffer
      - .actual_access:  read_only
        .address_space:  global
        .offset:         120
        .size:           8
        .value_kind:     global_buffer
      - .actual_access:  read_only
        .address_space:  global
        .offset:         128
        .size:           8
        .value_kind:     global_buffer
      - .actual_access:  write_only
        .address_space:  global
        .offset:         136
        .size:           8
        .value_kind:     global_buffer
      - .actual_access:  write_only
        .address_space:  global
        .offset:         144
        .size:           8
        .value_kind:     global_buffer
      - .offset:         152
        .size:           4
        .value_kind:     by_value
      - .offset:         156
        .size:           4
        .value_kind:     by_value
      - .offset:         160
        .size:           4
        .value_kind:     by_value
      - .offset:         164
        .size:           4
        .value_kind:     by_value
      - .offset:         168
        .size:           1
        .value_kind:     by_value
      - .offset:         169
        .size:           1
        .value_kind:     by_value
      - .offset:         170
        .size:           1
        .value_kind:     by_value
    .group_segment_fixed_size: 0
    .kernarg_segment_align: 8
    .kernarg_segment_size: 172
    .language:       OpenCL C
    .language_version:
      - 2
      - 0
    .max_flat_workgroup_size: 256
    .name:           _ZN9rocsparseL30bsrgemm_fill_block_per_row_2x2ILj256ELj16ELj512ELj137Ell21rocsparse_complex_numIfEEEv20rocsparse_direction_T4_S4_PKS4_S6_NS_24const_host_device_scalarIT5_EEPKT3_S6_PKS8_SC_S6_SE_S9_SC_S6_SE_SC_PS4_PS8_21rocsparse_index_base_SH_SH_SH_bbb
    .private_segment_fixed_size: 0
    .sgpr_count:     54
    .sgpr_spill_count: 0
    .symbol:         _ZN9rocsparseL30bsrgemm_fill_block_per_row_2x2ILj256ELj16ELj512ELj137Ell21rocsparse_complex_numIfEEEv20rocsparse_direction_T4_S4_PKS4_S6_NS_24const_host_device_scalarIT5_EEPKT3_S6_PKS8_SC_S6_SE_S9_SC_S6_SE_SC_PS4_PS8_21rocsparse_index_base_SH_SH_SH_bbb.kd
    .uniform_work_group_size: 1
    .uses_dynamic_stack: false
    .vgpr_count:     37
    .vgpr_spill_count: 0
    .wavefront_size: 32
    .workgroup_processor_mode: 1
  - .args:
      - .offset:         0
        .size:           4
        .value_kind:     by_value
      - .offset:         8
        .size:           8
        .value_kind:     by_value
      - .offset:         16
        .size:           8
        .value_kind:     by_value
      - .actual_access:  read_only
        .address_space:  global
        .offset:         24
        .size:           8
        .value_kind:     global_buffer
      - .actual_access:  read_only
        .address_space:  global
        .offset:         32
        .size:           8
        .value_kind:     global_buffer
      - .offset:         40
        .size:           8
        .value_kind:     by_value
      - .actual_access:  read_only
        .address_space:  global
        .offset:         48
        .size:           8
        .value_kind:     global_buffer
      - .actual_access:  read_only
        .address_space:  global
        .offset:         56
        .size:           8
        .value_kind:     global_buffer
      - .actual_access:  read_only
        .address_space:  global
        .offset:         64
        .size:           8
        .value_kind:     global_buffer
      - .actual_access:  read_only
        .address_space:  global
        .offset:         72
        .size:           8
        .value_kind:     global_buffer
      - .actual_access:  read_only
        .address_space:  global
        .offset:         80
        .size:           8
        .value_kind:     global_buffer
      - .actual_access:  read_only
        .address_space:  global
        .offset:         88
        .size:           8
        .value_kind:     global_buffer
      - .offset:         96
        .size:           8
        .value_kind:     by_value
      - .actual_access:  read_only
        .address_space:  global
        .offset:         104
        .size:           8
        .value_kind:     global_buffer
      - .actual_access:  read_only
        .address_space:  global
        .offset:         112
        .size:           8
        .value_kind:     global_buffer
      - .actual_access:  read_only
        .address_space:  global
        .offset:         120
        .size:           8
        .value_kind:     global_buffer
      - .actual_access:  read_only
        .address_space:  global
        .offset:         128
        .size:           8
        .value_kind:     global_buffer
      - .actual_access:  write_only
        .address_space:  global
        .offset:         136
        .size:           8
        .value_kind:     global_buffer
      - .actual_access:  write_only
        .address_space:  global
        .offset:         144
        .size:           8
        .value_kind:     global_buffer
      - .address_space:  global
        .offset:         152
        .size:           8
        .value_kind:     global_buffer
      - .offset:         160
        .size:           4
        .value_kind:     by_value
      - .offset:         164
        .size:           4
        .value_kind:     by_value
      - .offset:         168
        .size:           4
        .value_kind:     by_value
      - .offset:         172
        .size:           4
        .value_kind:     by_value
      - .offset:         176
        .size:           1
        .value_kind:     by_value
      - .offset:         177
        .size:           1
        .value_kind:     by_value
      - .offset:         178
        .size:           1
        .value_kind:     by_value
    .group_segment_fixed_size: 11272
    .kernarg_segment_align: 8
    .kernarg_segment_size: 180
    .language:       OpenCL C
    .language_version:
      - 2
      - 0
    .max_flat_workgroup_size: 256
    .name:           _ZN9rocsparseL38bsrgemm_block_per_row_atomic_multipassILj256ELj256ELj2Ell21rocsparse_complex_numIfEEEv20rocsparse_direction_T3_S4_PKS4_S6_NS_24const_host_device_scalarIT4_EEPKT2_S6_PKS8_SC_S6_SE_S9_SC_S6_SE_SC_PS4_PS8_PSA_21rocsparse_index_base_SI_SI_SI_bbb
    .private_segment_fixed_size: 0
    .sgpr_count:     74
    .sgpr_spill_count: 0
    .symbol:         _ZN9rocsparseL38bsrgemm_block_per_row_atomic_multipassILj256ELj256ELj2Ell21rocsparse_complex_numIfEEEv20rocsparse_direction_T3_S4_PKS4_S6_NS_24const_host_device_scalarIT4_EEPKT2_S6_PKS8_SC_S6_SE_S9_SC_S6_SE_SC_PS4_PS8_PSA_21rocsparse_index_base_SI_SI_SI_bbb.kd
    .uniform_work_group_size: 1
    .uses_dynamic_stack: false
    .vgpr_count:     67
    .vgpr_spill_count: 0
    .wavefront_size: 32
    .workgroup_processor_mode: 1
  - .args:
      - .offset:         0
        .size:           4
        .value_kind:     by_value
      - .offset:         8
        .size:           8
        .value_kind:     by_value
      - .offset:         16
        .size:           8
        .value_kind:     by_value
      - .offset:         24
        .size:           8
        .value_kind:     by_value
      - .actual_access:  read_only
        .address_space:  global
        .offset:         32
        .size:           8
        .value_kind:     global_buffer
      - .actual_access:  read_only
        .address_space:  global
        .offset:         40
        .size:           8
        .value_kind:     global_buffer
      - .offset:         48
        .size:           8
        .value_kind:     by_value
      - .actual_access:  read_only
        .address_space:  global
        .offset:         56
        .size:           8
        .value_kind:     global_buffer
      - .actual_access:  read_only
        .address_space:  global
        .offset:         64
        .size:           8
        .value_kind:     global_buffer
      - .actual_access:  read_only
        .address_space:  global
        .offset:         72
        .size:           8
        .value_kind:     global_buffer
      - .actual_access:  read_only
        .address_space:  global
        .offset:         80
        .size:           8
        .value_kind:     global_buffer
      - .actual_access:  read_only
        .address_space:  global
        .offset:         88
        .size:           8
        .value_kind:     global_buffer
      - .actual_access:  read_only
        .address_space:  global
        .offset:         96
        .size:           8
        .value_kind:     global_buffer
      - .offset:         104
        .size:           8
        .value_kind:     by_value
      - .actual_access:  read_only
        .address_space:  global
        .offset:         112
        .size:           8
        .value_kind:     global_buffer
      - .actual_access:  read_only
        .address_space:  global
        .offset:         120
        .size:           8
        .value_kind:     global_buffer
      - .actual_access:  read_only
        .address_space:  global
        .offset:         128
        .size:           8
        .value_kind:     global_buffer
      - .actual_access:  read_only
        .address_space:  global
        .offset:         136
        .size:           8
        .value_kind:     global_buffer
      - .actual_access:  write_only
        .address_space:  global
        .offset:         144
        .size:           8
        .value_kind:     global_buffer
      - .actual_access:  write_only
        .address_space:  global
        .offset:         152
        .size:           8
        .value_kind:     global_buffer
      - .offset:         160
        .size:           4
        .value_kind:     by_value
      - .offset:         164
        .size:           4
        .value_kind:     by_value
      - .offset:         168
        .size:           4
        .value_kind:     by_value
      - .offset:         172
        .size:           4
        .value_kind:     by_value
      - .offset:         176
        .size:           1
        .value_kind:     by_value
      - .offset:         177
        .size:           1
        .value_kind:     by_value
      - .offset:         178
        .size:           1
        .value_kind:     by_value
    .group_segment_fixed_size: 4352
    .kernarg_segment_align: 8
    .kernarg_segment_size: 180
    .language:       OpenCL C
    .language_version:
      - 2
      - 0
    .max_flat_workgroup_size: 256
    .name:           _ZN9rocsparseL23bsrgemm_fill_wf_per_rowILj256ELj64ELj8ELj137ELj4Ell21rocsparse_complex_numIfEEEv20rocsparse_direction_T5_S4_S4_PKS4_S6_NS_24const_host_device_scalarIT6_EEPKT4_S6_PKS8_SC_S6_SE_S9_SC_S6_SE_SC_PS4_PS8_21rocsparse_index_base_SH_SH_SH_bbb
    .private_segment_fixed_size: 0
    .sgpr_count:     59
    .sgpr_spill_count: 0
    .symbol:         _ZN9rocsparseL23bsrgemm_fill_wf_per_rowILj256ELj64ELj8ELj137ELj4Ell21rocsparse_complex_numIfEEEv20rocsparse_direction_T5_S4_S4_PKS4_S6_NS_24const_host_device_scalarIT6_EEPKT4_S6_PKS8_SC_S6_SE_S9_SC_S6_SE_SC_PS4_PS8_21rocsparse_index_base_SH_SH_SH_bbb.kd
    .uniform_work_group_size: 1
    .uses_dynamic_stack: false
    .vgpr_count:     41
    .vgpr_spill_count: 0
    .wavefront_size: 32
    .workgroup_processor_mode: 1
  - .args:
      - .offset:         0
        .size:           4
        .value_kind:     by_value
      - .offset:         8
        .size:           8
        .value_kind:     by_value
      - .offset:         16
        .size:           8
        .value_kind:     by_value
      - .offset:         24
        .size:           8
        .value_kind:     by_value
      - .actual_access:  read_only
        .address_space:  global
        .offset:         32
        .size:           8
        .value_kind:     global_buffer
      - .actual_access:  read_only
        .address_space:  global
        .offset:         40
        .size:           8
        .value_kind:     global_buffer
      - .offset:         48
        .size:           8
        .value_kind:     by_value
      - .actual_access:  read_only
        .address_space:  global
        .offset:         56
        .size:           8
        .value_kind:     global_buffer
      - .actual_access:  read_only
        .address_space:  global
        .offset:         64
        .size:           8
        .value_kind:     global_buffer
      - .actual_access:  read_only
        .address_space:  global
        .offset:         72
        .size:           8
        .value_kind:     global_buffer
      - .actual_access:  read_only
        .address_space:  global
        .offset:         80
        .size:           8
        .value_kind:     global_buffer
      - .actual_access:  read_only
        .address_space:  global
        .offset:         88
        .size:           8
        .value_kind:     global_buffer
      - .actual_access:  read_only
        .address_space:  global
        .offset:         96
        .size:           8
        .value_kind:     global_buffer
      - .offset:         104
        .size:           8
        .value_kind:     by_value
      - .actual_access:  read_only
        .address_space:  global
        .offset:         112
        .size:           8
        .value_kind:     global_buffer
      - .actual_access:  read_only
        .address_space:  global
        .offset:         120
        .size:           8
        .value_kind:     global_buffer
      - .actual_access:  read_only
        .address_space:  global
        .offset:         128
        .size:           8
        .value_kind:     global_buffer
      - .actual_access:  read_only
        .address_space:  global
        .offset:         136
        .size:           8
        .value_kind:     global_buffer
      - .actual_access:  write_only
        .address_space:  global
        .offset:         144
        .size:           8
        .value_kind:     global_buffer
      - .actual_access:  write_only
        .address_space:  global
        .offset:         152
        .size:           8
        .value_kind:     global_buffer
      - .offset:         160
        .size:           4
        .value_kind:     by_value
      - .offset:         164
        .size:           4
        .value_kind:     by_value
      - .offset:         168
        .size:           4
        .value_kind:     by_value
      - .offset:         172
        .size:           4
        .value_kind:     by_value
      - .offset:         176
        .size:           1
        .value_kind:     by_value
      - .offset:         177
        .size:           1
        .value_kind:     by_value
      - .offset:         178
        .size:           1
        .value_kind:     by_value
    .group_segment_fixed_size: 8704
    .kernarg_segment_align: 8
    .kernarg_segment_size: 180
    .language:       OpenCL C
    .language_version:
      - 2
      - 0
    .max_flat_workgroup_size: 256
    .name:           _ZN9rocsparseL23bsrgemm_fill_wf_per_rowILj256ELj64ELj16ELj137ELj4Ell21rocsparse_complex_numIfEEEv20rocsparse_direction_T5_S4_S4_PKS4_S6_NS_24const_host_device_scalarIT6_EEPKT4_S6_PKS8_SC_S6_SE_S9_SC_S6_SE_SC_PS4_PS8_21rocsparse_index_base_SH_SH_SH_bbb
    .private_segment_fixed_size: 0
    .sgpr_count:     59
    .sgpr_spill_count: 0
    .symbol:         _ZN9rocsparseL23bsrgemm_fill_wf_per_rowILj256ELj64ELj16ELj137ELj4Ell21rocsparse_complex_numIfEEEv20rocsparse_direction_T5_S4_S4_PKS4_S6_NS_24const_host_device_scalarIT6_EEPKT4_S6_PKS8_SC_S6_SE_S9_SC_S6_SE_SC_PS4_PS8_21rocsparse_index_base_SH_SH_SH_bbb.kd
    .uniform_work_group_size: 1
    .uses_dynamic_stack: false
    .vgpr_count:     45
    .vgpr_spill_count: 0
    .wavefront_size: 32
    .workgroup_processor_mode: 1
  - .args:
      - .offset:         0
        .size:           4
        .value_kind:     by_value
      - .offset:         8
        .size:           8
        .value_kind:     by_value
      - .offset:         16
        .size:           8
        .value_kind:     by_value
      - .actual_access:  read_only
        .address_space:  global
        .offset:         24
        .size:           8
        .value_kind:     global_buffer
      - .actual_access:  read_only
        .address_space:  global
        .offset:         32
        .size:           8
        .value_kind:     global_buffer
      - .offset:         40
        .size:           8
        .value_kind:     by_value
      - .actual_access:  read_only
        .address_space:  global
        .offset:         48
        .size:           8
        .value_kind:     global_buffer
      - .actual_access:  read_only
        .address_space:  global
        .offset:         56
        .size:           8
        .value_kind:     global_buffer
      - .actual_access:  read_only
        .address_space:  global
        .offset:         64
        .size:           8
        .value_kind:     global_buffer
      - .actual_access:  read_only
        .address_space:  global
        .offset:         72
        .size:           8
        .value_kind:     global_buffer
      - .actual_access:  read_only
        .address_space:  global
        .offset:         80
        .size:           8
        .value_kind:     global_buffer
      - .actual_access:  read_only
        .address_space:  global
        .offset:         88
        .size:           8
        .value_kind:     global_buffer
      - .offset:         96
        .size:           8
        .value_kind:     by_value
      - .actual_access:  read_only
        .address_space:  global
        .offset:         104
        .size:           8
        .value_kind:     global_buffer
      - .actual_access:  read_only
        .address_space:  global
        .offset:         112
        .size:           8
        .value_kind:     global_buffer
      - .actual_access:  read_only
        .address_space:  global
        .offset:         120
        .size:           8
        .value_kind:     global_buffer
      - .actual_access:  read_only
        .address_space:  global
        .offset:         128
        .size:           8
        .value_kind:     global_buffer
      - .actual_access:  write_only
        .address_space:  global
        .offset:         136
        .size:           8
        .value_kind:     global_buffer
      - .actual_access:  write_only
        .address_space:  global
        .offset:         144
        .size:           8
        .value_kind:     global_buffer
      - .address_space:  global
        .offset:         152
        .size:           8
        .value_kind:     global_buffer
      - .offset:         160
        .size:           4
        .value_kind:     by_value
      - .offset:         164
        .size:           4
        .value_kind:     by_value
      - .offset:         168
        .size:           4
        .value_kind:     by_value
      - .offset:         172
        .size:           4
        .value_kind:     by_value
      - .offset:         176
        .size:           1
        .value_kind:     by_value
      - .offset:         177
        .size:           1
        .value_kind:     by_value
      - .offset:         178
        .size:           1
        .value_kind:     by_value
    .group_segment_fixed_size: 6280
    .kernarg_segment_align: 8
    .kernarg_segment_size: 180
    .language:       OpenCL C
    .language_version:
      - 2
      - 0
    .max_flat_workgroup_size: 256
    .name:           _ZN9rocsparseL38bsrgemm_block_per_row_atomic_multipassILj256ELj32ELj4Ell21rocsparse_complex_numIfEEEv20rocsparse_direction_T3_S4_PKS4_S6_NS_24const_host_device_scalarIT4_EEPKT2_S6_PKS8_SC_S6_SE_S9_SC_S6_SE_SC_PS4_PS8_PSA_21rocsparse_index_base_SI_SI_SI_bbb
    .private_segment_fixed_size: 0
    .sgpr_count:     72
    .sgpr_spill_count: 0
    .symbol:         _ZN9rocsparseL38bsrgemm_block_per_row_atomic_multipassILj256ELj32ELj4Ell21rocsparse_complex_numIfEEEv20rocsparse_direction_T3_S4_PKS4_S6_NS_24const_host_device_scalarIT4_EEPKT2_S6_PKS8_SC_S6_SE_S9_SC_S6_SE_SC_PS4_PS8_PSA_21rocsparse_index_base_SI_SI_SI_bbb.kd
    .uniform_work_group_size: 1
    .uses_dynamic_stack: false
    .vgpr_count:     63
    .vgpr_spill_count: 0
    .wavefront_size: 32
    .workgroup_processor_mode: 1
  - .args:
      - .offset:         0
        .size:           4
        .value_kind:     by_value
      - .offset:         8
        .size:           8
        .value_kind:     by_value
      - .offset:         16
        .size:           8
        .value_kind:     by_value
      - .actual_access:  read_only
        .address_space:  global
        .offset:         24
        .size:           8
        .value_kind:     global_buffer
      - .actual_access:  read_only
        .address_space:  global
        .offset:         32
        .size:           8
        .value_kind:     global_buffer
      - .offset:         40
        .size:           8
        .value_kind:     by_value
      - .actual_access:  read_only
        .address_space:  global
        .offset:         48
        .size:           8
        .value_kind:     global_buffer
      - .actual_access:  read_only
        .address_space:  global
        .offset:         56
        .size:           8
        .value_kind:     global_buffer
      - .actual_access:  read_only
        .address_space:  global
        .offset:         64
        .size:           8
        .value_kind:     global_buffer
      - .actual_access:  read_only
        .address_space:  global
        .offset:         72
        .size:           8
        .value_kind:     global_buffer
      - .actual_access:  read_only
        .address_space:  global
        .offset:         80
        .size:           8
        .value_kind:     global_buffer
      - .actual_access:  read_only
        .address_space:  global
        .offset:         88
        .size:           8
        .value_kind:     global_buffer
      - .offset:         96
        .size:           8
        .value_kind:     by_value
      - .actual_access:  read_only
        .address_space:  global
        .offset:         104
        .size:           8
        .value_kind:     global_buffer
      - .actual_access:  read_only
        .address_space:  global
        .offset:         112
        .size:           8
        .value_kind:     global_buffer
      - .actual_access:  read_only
        .address_space:  global
        .offset:         120
        .size:           8
        .value_kind:     global_buffer
      - .actual_access:  read_only
        .address_space:  global
        .offset:         128
        .size:           8
        .value_kind:     global_buffer
      - .actual_access:  write_only
        .address_space:  global
        .offset:         136
        .size:           8
        .value_kind:     global_buffer
      - .actual_access:  write_only
        .address_space:  global
        .offset:         144
        .size:           8
        .value_kind:     global_buffer
      - .address_space:  global
        .offset:         152
        .size:           8
        .value_kind:     global_buffer
      - .offset:         160
        .size:           4
        .value_kind:     by_value
      - .offset:         164
        .size:           4
        .value_kind:     by_value
      - .offset:         168
        .size:           4
        .value_kind:     by_value
      - .offset:         172
        .size:           4
        .value_kind:     by_value
      - .offset:         176
        .size:           1
        .value_kind:     by_value
      - .offset:         177
        .size:           1
        .value_kind:     by_value
      - .offset:         178
        .size:           1
        .value_kind:     by_value
    .group_segment_fixed_size: 10504
    .kernarg_segment_align: 8
    .kernarg_segment_size: 180
    .language:       OpenCL C
    .language_version:
      - 2
      - 0
    .max_flat_workgroup_size: 256
    .name:           _ZN9rocsparseL38bsrgemm_block_per_row_atomic_multipassILj256ELj64ELj4Ell21rocsparse_complex_numIfEEEv20rocsparse_direction_T3_S4_PKS4_S6_NS_24const_host_device_scalarIT4_EEPKT2_S6_PKS8_SC_S6_SE_S9_SC_S6_SE_SC_PS4_PS8_PSA_21rocsparse_index_base_SI_SI_SI_bbb
    .private_segment_fixed_size: 0
    .sgpr_count:     72
    .sgpr_spill_count: 0
    .symbol:         _ZN9rocsparseL38bsrgemm_block_per_row_atomic_multipassILj256ELj64ELj4Ell21rocsparse_complex_numIfEEEv20rocsparse_direction_T3_S4_PKS4_S6_NS_24const_host_device_scalarIT4_EEPKT2_S6_PKS8_SC_S6_SE_S9_SC_S6_SE_SC_PS4_PS8_PSA_21rocsparse_index_base_SI_SI_SI_bbb.kd
    .uniform_work_group_size: 1
    .uses_dynamic_stack: false
    .vgpr_count:     65
    .vgpr_spill_count: 0
    .wavefront_size: 32
    .workgroup_processor_mode: 1
  - .args:
      - .offset:         0
        .size:           4
        .value_kind:     by_value
      - .offset:         8
        .size:           8
        .value_kind:     by_value
      - .offset:         16
        .size:           8
        .value_kind:     by_value
      - .actual_access:  read_only
        .address_space:  global
        .offset:         24
        .size:           8
        .value_kind:     global_buffer
      - .actual_access:  read_only
        .address_space:  global
        .offset:         32
        .size:           8
        .value_kind:     global_buffer
      - .offset:         40
        .size:           8
        .value_kind:     by_value
      - .actual_access:  read_only
        .address_space:  global
        .offset:         48
        .size:           8
        .value_kind:     global_buffer
      - .actual_access:  read_only
        .address_space:  global
        .offset:         56
        .size:           8
        .value_kind:     global_buffer
      - .actual_access:  read_only
        .address_space:  global
        .offset:         64
        .size:           8
        .value_kind:     global_buffer
      - .actual_access:  read_only
        .address_space:  global
        .offset:         72
        .size:           8
        .value_kind:     global_buffer
      - .actual_access:  read_only
        .address_space:  global
        .offset:         80
        .size:           8
        .value_kind:     global_buffer
      - .actual_access:  read_only
        .address_space:  global
        .offset:         88
        .size:           8
        .value_kind:     global_buffer
      - .offset:         96
        .size:           8
        .value_kind:     by_value
      - .actual_access:  read_only
        .address_space:  global
        .offset:         104
        .size:           8
        .value_kind:     global_buffer
      - .actual_access:  read_only
        .address_space:  global
        .offset:         112
        .size:           8
        .value_kind:     global_buffer
      - .actual_access:  read_only
        .address_space:  global
        .offset:         120
        .size:           8
        .value_kind:     global_buffer
      - .actual_access:  read_only
        .address_space:  global
        .offset:         128
        .size:           8
        .value_kind:     global_buffer
      - .actual_access:  write_only
        .address_space:  global
        .offset:         136
        .size:           8
        .value_kind:     global_buffer
      - .actual_access:  write_only
        .address_space:  global
        .offset:         144
        .size:           8
        .value_kind:     global_buffer
      - .address_space:  global
        .offset:         152
        .size:           8
        .value_kind:     global_buffer
      - .offset:         160
        .size:           4
        .value_kind:     by_value
      - .offset:         164
        .size:           4
        .value_kind:     by_value
      - .offset:         168
        .size:           4
        .value_kind:     by_value
      - .offset:         172
        .size:           4
        .value_kind:     by_value
      - .offset:         176
        .size:           1
        .value_kind:     by_value
      - .offset:         177
        .size:           1
        .value_kind:     by_value
      - .offset:         178
        .size:           1
        .value_kind:     by_value
    .group_segment_fixed_size: 18952
    .kernarg_segment_align: 8
    .kernarg_segment_size: 180
    .language:       OpenCL C
    .language_version:
      - 2
      - 0
    .max_flat_workgroup_size: 256
    .name:           _ZN9rocsparseL38bsrgemm_block_per_row_atomic_multipassILj256ELj128ELj4Ell21rocsparse_complex_numIfEEEv20rocsparse_direction_T3_S4_PKS4_S6_NS_24const_host_device_scalarIT4_EEPKT2_S6_PKS8_SC_S6_SE_S9_SC_S6_SE_SC_PS4_PS8_PSA_21rocsparse_index_base_SI_SI_SI_bbb
    .private_segment_fixed_size: 0
    .sgpr_count:     76
    .sgpr_spill_count: 0
    .symbol:         _ZN9rocsparseL38bsrgemm_block_per_row_atomic_multipassILj256ELj128ELj4Ell21rocsparse_complex_numIfEEEv20rocsparse_direction_T3_S4_PKS4_S6_NS_24const_host_device_scalarIT4_EEPKT2_S6_PKS8_SC_S6_SE_S9_SC_S6_SE_SC_PS4_PS8_PSA_21rocsparse_index_base_SI_SI_SI_bbb.kd
    .uniform_work_group_size: 1
    .uses_dynamic_stack: false
    .vgpr_count:     66
    .vgpr_spill_count: 0
    .wavefront_size: 32
    .workgroup_processor_mode: 1
  - .args:
      - .offset:         0
        .size:           4
        .value_kind:     by_value
      - .offset:         8
        .size:           8
        .value_kind:     by_value
      - .offset:         16
        .size:           8
        .value_kind:     by_value
      - .offset:         24
        .size:           8
        .value_kind:     by_value
      - .actual_access:  read_only
        .address_space:  global
        .offset:         32
        .size:           8
        .value_kind:     global_buffer
      - .actual_access:  read_only
        .address_space:  global
        .offset:         40
        .size:           8
        .value_kind:     global_buffer
      - .offset:         48
        .size:           8
        .value_kind:     by_value
      - .actual_access:  read_only
        .address_space:  global
        .offset:         56
        .size:           8
        .value_kind:     global_buffer
      - .actual_access:  read_only
        .address_space:  global
        .offset:         64
        .size:           8
        .value_kind:     global_buffer
      - .actual_access:  read_only
        .address_space:  global
        .offset:         72
        .size:           8
        .value_kind:     global_buffer
      - .actual_access:  read_only
        .address_space:  global
        .offset:         80
        .size:           8
        .value_kind:     global_buffer
      - .actual_access:  read_only
        .address_space:  global
        .offset:         88
        .size:           8
        .value_kind:     global_buffer
      - .actual_access:  read_only
        .address_space:  global
        .offset:         96
        .size:           8
        .value_kind:     global_buffer
      - .offset:         104
        .size:           8
        .value_kind:     by_value
      - .actual_access:  read_only
        .address_space:  global
        .offset:         112
        .size:           8
        .value_kind:     global_buffer
      - .actual_access:  read_only
        .address_space:  global
        .offset:         120
        .size:           8
        .value_kind:     global_buffer
      - .actual_access:  read_only
        .address_space:  global
        .offset:         128
        .size:           8
        .value_kind:     global_buffer
      - .actual_access:  read_only
        .address_space:  global
        .offset:         136
        .size:           8
        .value_kind:     global_buffer
      - .actual_access:  write_only
        .address_space:  global
        .offset:         144
        .size:           8
        .value_kind:     global_buffer
      - .actual_access:  write_only
        .address_space:  global
        .offset:         152
        .size:           8
        .value_kind:     global_buffer
      - .offset:         160
        .size:           4
        .value_kind:     by_value
      - .offset:         164
        .size:           4
        .value_kind:     by_value
      - .offset:         168
        .size:           4
        .value_kind:     by_value
      - .offset:         172
        .size:           4
        .value_kind:     by_value
      - .offset:         176
        .size:           1
        .value_kind:     by_value
      - .offset:         177
        .size:           1
        .value_kind:     by_value
      - .offset:         178
        .size:           1
        .value_kind:     by_value
    .group_segment_fixed_size: 16640
    .kernarg_segment_align: 8
    .kernarg_segment_size: 180
    .language:       OpenCL C
    .language_version:
      - 2
      - 0
    .max_flat_workgroup_size: 256
    .name:           _ZN9rocsparseL23bsrgemm_fill_wf_per_rowILj256ELj64ELj8ELj137ELj8Ell21rocsparse_complex_numIfEEEv20rocsparse_direction_T5_S4_S4_PKS4_S6_NS_24const_host_device_scalarIT6_EEPKT4_S6_PKS8_SC_S6_SE_S9_SC_S6_SE_SC_PS4_PS8_21rocsparse_index_base_SH_SH_SH_bbb
    .private_segment_fixed_size: 0
    .sgpr_count:     57
    .sgpr_spill_count: 0
    .symbol:         _ZN9rocsparseL23bsrgemm_fill_wf_per_rowILj256ELj64ELj8ELj137ELj8Ell21rocsparse_complex_numIfEEEv20rocsparse_direction_T5_S4_S4_PKS4_S6_NS_24const_host_device_scalarIT6_EEPKT4_S6_PKS8_SC_S6_SE_S9_SC_S6_SE_SC_PS4_PS8_21rocsparse_index_base_SH_SH_SH_bbb.kd
    .uniform_work_group_size: 1
    .uses_dynamic_stack: false
    .vgpr_count:     42
    .vgpr_spill_count: 0
    .wavefront_size: 32
    .workgroup_processor_mode: 1
  - .args:
      - .offset:         0
        .size:           4
        .value_kind:     by_value
      - .offset:         8
        .size:           8
        .value_kind:     by_value
      - .offset:         16
        .size:           8
        .value_kind:     by_value
      - .actual_access:  read_only
        .address_space:  global
        .offset:         24
        .size:           8
        .value_kind:     global_buffer
      - .actual_access:  read_only
        .address_space:  global
        .offset:         32
        .size:           8
        .value_kind:     global_buffer
      - .offset:         40
        .size:           8
        .value_kind:     by_value
      - .actual_access:  read_only
        .address_space:  global
        .offset:         48
        .size:           8
        .value_kind:     global_buffer
      - .actual_access:  read_only
        .address_space:  global
        .offset:         56
        .size:           8
        .value_kind:     global_buffer
      - .actual_access:  read_only
        .address_space:  global
        .offset:         64
        .size:           8
        .value_kind:     global_buffer
      - .actual_access:  read_only
        .address_space:  global
        .offset:         72
        .size:           8
        .value_kind:     global_buffer
      - .actual_access:  read_only
        .address_space:  global
        .offset:         80
        .size:           8
        .value_kind:     global_buffer
      - .actual_access:  read_only
        .address_space:  global
        .offset:         88
        .size:           8
        .value_kind:     global_buffer
      - .offset:         96
        .size:           8
        .value_kind:     by_value
      - .actual_access:  read_only
        .address_space:  global
        .offset:         104
        .size:           8
        .value_kind:     global_buffer
      - .actual_access:  read_only
        .address_space:  global
        .offset:         112
        .size:           8
        .value_kind:     global_buffer
      - .actual_access:  read_only
        .address_space:  global
        .offset:         120
        .size:           8
        .value_kind:     global_buffer
      - .actual_access:  read_only
        .address_space:  global
        .offset:         128
        .size:           8
        .value_kind:     global_buffer
      - .actual_access:  write_only
        .address_space:  global
        .offset:         136
        .size:           8
        .value_kind:     global_buffer
      - .actual_access:  write_only
        .address_space:  global
        .offset:         144
        .size:           8
        .value_kind:     global_buffer
      - .address_space:  global
        .offset:         152
        .size:           8
        .value_kind:     global_buffer
      - .offset:         160
        .size:           4
        .value_kind:     by_value
      - .offset:         164
        .size:           4
        .value_kind:     by_value
      - .offset:         168
        .size:           4
        .value_kind:     by_value
      - .offset:         172
        .size:           4
        .value_kind:     by_value
      - .offset:         176
        .size:           1
        .value_kind:     by_value
      - .offset:         177
        .size:           1
        .value_kind:     by_value
      - .offset:         178
        .size:           1
        .value_kind:     by_value
    .group_segment_fixed_size: 10312
    .kernarg_segment_align: 8
    .kernarg_segment_size: 180
    .language:       OpenCL C
    .language_version:
      - 2
      - 0
    .max_flat_workgroup_size: 256
    .name:           _ZN9rocsparseL38bsrgemm_block_per_row_atomic_multipassILj256ELj16ELj8Ell21rocsparse_complex_numIfEEEv20rocsparse_direction_T3_S4_PKS4_S6_NS_24const_host_device_scalarIT4_EEPKT2_S6_PKS8_SC_S6_SE_S9_SC_S6_SE_SC_PS4_PS8_PSA_21rocsparse_index_base_SI_SI_SI_bbb
    .private_segment_fixed_size: 0
    .sgpr_count:     70
    .sgpr_spill_count: 0
    .symbol:         _ZN9rocsparseL38bsrgemm_block_per_row_atomic_multipassILj256ELj16ELj8Ell21rocsparse_complex_numIfEEEv20rocsparse_direction_T3_S4_PKS4_S6_NS_24const_host_device_scalarIT4_EEPKT2_S6_PKS8_SC_S6_SE_S9_SC_S6_SE_SC_PS4_PS8_PSA_21rocsparse_index_base_SI_SI_SI_bbb.kd
    .uniform_work_group_size: 1
    .uses_dynamic_stack: false
    .vgpr_count:     63
    .vgpr_spill_count: 0
    .wavefront_size: 32
    .workgroup_processor_mode: 1
  - .args:
      - .offset:         0
        .size:           4
        .value_kind:     by_value
      - .offset:         8
        .size:           8
        .value_kind:     by_value
      - .offset:         16
        .size:           8
        .value_kind:     by_value
      - .actual_access:  read_only
        .address_space:  global
        .offset:         24
        .size:           8
        .value_kind:     global_buffer
      - .actual_access:  read_only
        .address_space:  global
        .offset:         32
        .size:           8
        .value_kind:     global_buffer
      - .offset:         40
        .size:           8
        .value_kind:     by_value
      - .actual_access:  read_only
        .address_space:  global
        .offset:         48
        .size:           8
        .value_kind:     global_buffer
      - .actual_access:  read_only
        .address_space:  global
        .offset:         56
        .size:           8
        .value_kind:     global_buffer
      - .actual_access:  read_only
        .address_space:  global
        .offset:         64
        .size:           8
        .value_kind:     global_buffer
      - .actual_access:  read_only
        .address_space:  global
        .offset:         72
        .size:           8
        .value_kind:     global_buffer
      - .actual_access:  read_only
        .address_space:  global
        .offset:         80
        .size:           8
        .value_kind:     global_buffer
      - .actual_access:  read_only
        .address_space:  global
        .offset:         88
        .size:           8
        .value_kind:     global_buffer
      - .offset:         96
        .size:           8
        .value_kind:     by_value
      - .actual_access:  read_only
        .address_space:  global
        .offset:         104
        .size:           8
        .value_kind:     global_buffer
      - .actual_access:  read_only
        .address_space:  global
        .offset:         112
        .size:           8
        .value_kind:     global_buffer
      - .actual_access:  read_only
        .address_space:  global
        .offset:         120
        .size:           8
        .value_kind:     global_buffer
      - .actual_access:  read_only
        .address_space:  global
        .offset:         128
        .size:           8
        .value_kind:     global_buffer
      - .actual_access:  write_only
        .address_space:  global
        .offset:         136
        .size:           8
        .value_kind:     global_buffer
      - .actual_access:  write_only
        .address_space:  global
        .offset:         144
        .size:           8
        .value_kind:     global_buffer
      - .address_space:  global
        .offset:         152
        .size:           8
        .value_kind:     global_buffer
      - .offset:         160
        .size:           4
        .value_kind:     by_value
      - .offset:         164
        .size:           4
        .value_kind:     by_value
      - .offset:         168
        .size:           4
        .value_kind:     by_value
      - .offset:         172
        .size:           4
        .value_kind:     by_value
      - .offset:         176
        .size:           1
        .value_kind:     by_value
      - .offset:         177
        .size:           1
        .value_kind:     by_value
      - .offset:         178
        .size:           1
        .value_kind:     by_value
    .group_segment_fixed_size: 18568
    .kernarg_segment_align: 8
    .kernarg_segment_size: 180
    .language:       OpenCL C
    .language_version:
      - 2
      - 0
    .max_flat_workgroup_size: 256
    .name:           _ZN9rocsparseL38bsrgemm_block_per_row_atomic_multipassILj256ELj32ELj8Ell21rocsparse_complex_numIfEEEv20rocsparse_direction_T3_S4_PKS4_S6_NS_24const_host_device_scalarIT4_EEPKT2_S6_PKS8_SC_S6_SE_S9_SC_S6_SE_SC_PS4_PS8_PSA_21rocsparse_index_base_SI_SI_SI_bbb
    .private_segment_fixed_size: 0
    .sgpr_count:     74
    .sgpr_spill_count: 0
    .symbol:         _ZN9rocsparseL38bsrgemm_block_per_row_atomic_multipassILj256ELj32ELj8Ell21rocsparse_complex_numIfEEEv20rocsparse_direction_T3_S4_PKS4_S6_NS_24const_host_device_scalarIT4_EEPKT2_S6_PKS8_SC_S6_SE_S9_SC_S6_SE_SC_PS4_PS8_PSA_21rocsparse_index_base_SI_SI_SI_bbb.kd
    .uniform_work_group_size: 1
    .uses_dynamic_stack: false
    .vgpr_count:     64
    .vgpr_spill_count: 0
    .wavefront_size: 32
    .workgroup_processor_mode: 1
  - .args:
      - .offset:         0
        .size:           4
        .value_kind:     by_value
      - .offset:         8
        .size:           8
        .value_kind:     by_value
      - .offset:         16
        .size:           8
        .value_kind:     by_value
      - .actual_access:  read_only
        .address_space:  global
        .offset:         24
        .size:           8
        .value_kind:     global_buffer
      - .actual_access:  read_only
        .address_space:  global
        .offset:         32
        .size:           8
        .value_kind:     global_buffer
      - .offset:         40
        .size:           8
        .value_kind:     by_value
      - .actual_access:  read_only
        .address_space:  global
        .offset:         48
        .size:           8
        .value_kind:     global_buffer
      - .actual_access:  read_only
        .address_space:  global
        .offset:         56
        .size:           8
        .value_kind:     global_buffer
      - .actual_access:  read_only
        .address_space:  global
        .offset:         64
        .size:           8
        .value_kind:     global_buffer
      - .actual_access:  read_only
        .address_space:  global
        .offset:         72
        .size:           8
        .value_kind:     global_buffer
      - .actual_access:  read_only
        .address_space:  global
        .offset:         80
        .size:           8
        .value_kind:     global_buffer
      - .actual_access:  read_only
        .address_space:  global
        .offset:         88
        .size:           8
        .value_kind:     global_buffer
      - .offset:         96
        .size:           8
        .value_kind:     by_value
      - .actual_access:  read_only
        .address_space:  global
        .offset:         104
        .size:           8
        .value_kind:     global_buffer
      - .actual_access:  read_only
        .address_space:  global
        .offset:         112
        .size:           8
        .value_kind:     global_buffer
      - .actual_access:  read_only
        .address_space:  global
        .offset:         120
        .size:           8
        .value_kind:     global_buffer
      - .actual_access:  read_only
        .address_space:  global
        .offset:         128
        .size:           8
        .value_kind:     global_buffer
      - .actual_access:  write_only
        .address_space:  global
        .offset:         136
        .size:           8
        .value_kind:     global_buffer
      - .actual_access:  write_only
        .address_space:  global
        .offset:         144
        .size:           8
        .value_kind:     global_buffer
      - .address_space:  global
        .offset:         152
        .size:           8
        .value_kind:     global_buffer
      - .offset:         160
        .size:           4
        .value_kind:     by_value
      - .offset:         164
        .size:           4
        .value_kind:     by_value
      - .offset:         168
        .size:           4
        .value_kind:     by_value
      - .offset:         172
        .size:           4
        .value_kind:     by_value
      - .offset:         176
        .size:           1
        .value_kind:     by_value
      - .offset:         177
        .size:           1
        .value_kind:     by_value
      - .offset:         178
        .size:           1
        .value_kind:     by_value
    .group_segment_fixed_size: 16392
    .kernarg_segment_align: 8
    .kernarg_segment_size: 180
    .language:       OpenCL C
    .language_version:
      - 2
      - 0
    .max_flat_workgroup_size: 256
    .name:           _ZN9rocsparseL31bsrgemm_block_per_row_multipassILj256ELj8ELj16Ell21rocsparse_complex_numIfEEEv20rocsparse_direction_T3_S4_PKS4_S6_NS_24const_host_device_scalarIT4_EEPKT2_S6_PKS8_SC_S6_SE_S9_SC_S6_SE_SC_PS4_PS8_PSA_21rocsparse_index_base_SI_SI_SI_bbb
    .private_segment_fixed_size: 0
    .sgpr_count:     81
    .sgpr_spill_count: 0
    .symbol:         _ZN9rocsparseL31bsrgemm_block_per_row_multipassILj256ELj8ELj16Ell21rocsparse_complex_numIfEEEv20rocsparse_direction_T3_S4_PKS4_S6_NS_24const_host_device_scalarIT4_EEPKT2_S6_PKS8_SC_S6_SE_S9_SC_S6_SE_SC_PS4_PS8_PSA_21rocsparse_index_base_SI_SI_SI_bbb.kd
    .uniform_work_group_size: 1
    .uses_dynamic_stack: false
    .vgpr_count:     45
    .vgpr_spill_count: 0
    .wavefront_size: 32
    .workgroup_processor_mode: 1
  - .args:
      - .offset:         0
        .size:           4
        .value_kind:     by_value
      - .offset:         8
        .size:           8
        .value_kind:     by_value
      - .offset:         16
        .size:           8
        .value_kind:     by_value
      - .actual_access:  read_only
        .address_space:  global
        .offset:         24
        .size:           8
        .value_kind:     global_buffer
      - .actual_access:  read_only
        .address_space:  global
        .offset:         32
        .size:           8
        .value_kind:     global_buffer
      - .offset:         40
        .size:           8
        .value_kind:     by_value
      - .actual_access:  read_only
        .address_space:  global
        .offset:         48
        .size:           8
        .value_kind:     global_buffer
      - .actual_access:  read_only
        .address_space:  global
        .offset:         56
        .size:           8
        .value_kind:     global_buffer
      - .actual_access:  read_only
        .address_space:  global
        .offset:         64
        .size:           8
        .value_kind:     global_buffer
      - .actual_access:  read_only
        .address_space:  global
        .offset:         72
        .size:           8
        .value_kind:     global_buffer
      - .actual_access:  read_only
        .address_space:  global
        .offset:         80
        .size:           8
        .value_kind:     global_buffer
      - .actual_access:  read_only
        .address_space:  global
        .offset:         88
        .size:           8
        .value_kind:     global_buffer
      - .offset:         96
        .size:           8
        .value_kind:     by_value
      - .actual_access:  read_only
        .address_space:  global
        .offset:         104
        .size:           8
        .value_kind:     global_buffer
      - .actual_access:  read_only
        .address_space:  global
        .offset:         112
        .size:           8
        .value_kind:     global_buffer
      - .actual_access:  read_only
        .address_space:  global
        .offset:         120
        .size:           8
        .value_kind:     global_buffer
      - .actual_access:  read_only
        .address_space:  global
        .offset:         128
        .size:           8
        .value_kind:     global_buffer
      - .actual_access:  write_only
        .address_space:  global
        .offset:         136
        .size:           8
        .value_kind:     global_buffer
      - .actual_access:  write_only
        .address_space:  global
        .offset:         144
        .size:           8
        .value_kind:     global_buffer
      - .address_space:  global
        .offset:         152
        .size:           8
        .value_kind:     global_buffer
      - .offset:         160
        .size:           4
        .value_kind:     by_value
      - .offset:         164
        .size:           4
        .value_kind:     by_value
      - .offset:         168
        .size:           4
        .value_kind:     by_value
      - .offset:         172
        .size:           4
        .value_kind:     by_value
      - .offset:         176
        .size:           1
        .value_kind:     by_value
      - .offset:         177
        .size:           1
        .value_kind:     by_value
      - .offset:         178
        .size:           1
        .value_kind:     by_value
    .group_segment_fixed_size: 16388
    .kernarg_segment_align: 8
    .kernarg_segment_size: 180
    .language:       OpenCL C
    .language_version:
      - 2
      - 0
    .max_flat_workgroup_size: 256
    .name:           _ZN9rocsparseL31bsrgemm_block_per_row_multipassILj256ELj2ELj32Ell21rocsparse_complex_numIfEEEv20rocsparse_direction_T3_S4_PKS4_S6_NS_24const_host_device_scalarIT4_EEPKT2_S6_PKS8_SC_S6_SE_S9_SC_S6_SE_SC_PS4_PS8_PSA_21rocsparse_index_base_SI_SI_SI_bbb
    .private_segment_fixed_size: 0
    .sgpr_count:     91
    .sgpr_spill_count: 0
    .symbol:         _ZN9rocsparseL31bsrgemm_block_per_row_multipassILj256ELj2ELj32Ell21rocsparse_complex_numIfEEEv20rocsparse_direction_T3_S4_PKS4_S6_NS_24const_host_device_scalarIT4_EEPKT2_S6_PKS8_SC_S6_SE_S9_SC_S6_SE_SC_PS4_PS8_PSA_21rocsparse_index_base_SI_SI_SI_bbb.kd
    .uniform_work_group_size: 1
    .uses_dynamic_stack: false
    .vgpr_count:     72
    .vgpr_spill_count: 0
    .wavefront_size: 32
    .workgroup_processor_mode: 1
  - .args:
      - .offset:         0
        .size:           8
        .value_kind:     by_value
      - .actual_access:  read_only
        .address_space:  global
        .offset:         8
        .size:           8
        .value_kind:     global_buffer
      - .actual_access:  write_only
        .address_space:  global
        .offset:         16
        .size:           8
        .value_kind:     global_buffer
      - .actual_access:  write_only
        .address_space:  global
        .offset:         24
        .size:           8
        .value_kind:     global_buffer
      - .offset:         32
        .size:           4
        .value_kind:     hidden_block_count_x
      - .offset:         36
        .size:           4
        .value_kind:     hidden_block_count_y
      - .offset:         40
        .size:           4
        .value_kind:     hidden_block_count_z
      - .offset:         44
        .size:           2
        .value_kind:     hidden_group_size_x
      - .offset:         46
        .size:           2
        .value_kind:     hidden_group_size_y
      - .offset:         48
        .size:           2
        .value_kind:     hidden_group_size_z
      - .offset:         50
        .size:           2
        .value_kind:     hidden_remainder_x
      - .offset:         52
        .size:           2
        .value_kind:     hidden_remainder_y
      - .offset:         54
        .size:           2
        .value_kind:     hidden_remainder_z
      - .offset:         72
        .size:           8
        .value_kind:     hidden_global_offset_x
      - .offset:         80
        .size:           8
        .value_kind:     hidden_global_offset_y
      - .offset:         88
        .size:           8
        .value_kind:     hidden_global_offset_z
      - .offset:         96
        .size:           2
        .value_kind:     hidden_grid_dims
    .group_segment_fixed_size: 16384
    .kernarg_segment_align: 8
    .kernarg_segment_size: 288
    .language:       OpenCL C
    .language_version:
      - 2
      - 0
    .max_flat_workgroup_size: 256
    .name:           _ZN9rocsparseL26bsrgemm_group_reduce_part2ILj256ELj8ELj2E21rocsparse_complex_numIdEllEEvT4_PKT3_PS3_Pi
    .private_segment_fixed_size: 0
    .sgpr_count:     20
    .sgpr_spill_count: 0
    .symbol:         _ZN9rocsparseL26bsrgemm_group_reduce_part2ILj256ELj8ELj2E21rocsparse_complex_numIdEllEEvT4_PKT3_PS3_Pi.kd
    .uniform_work_group_size: 1
    .uses_dynamic_stack: false
    .vgpr_count:     36
    .vgpr_spill_count: 0
    .wavefront_size: 32
    .workgroup_processor_mode: 1
  - .args:
      - .offset:         0
        .size:           8
        .value_kind:     by_value
      - .actual_access:  read_only
        .address_space:  global
        .offset:         8
        .size:           8
        .value_kind:     global_buffer
      - .actual_access:  write_only
        .address_space:  global
        .offset:         16
        .size:           8
        .value_kind:     global_buffer
      - .actual_access:  write_only
        .address_space:  global
        .offset:         24
        .size:           8
        .value_kind:     global_buffer
      - .offset:         32
        .size:           4
        .value_kind:     hidden_block_count_x
      - .offset:         36
        .size:           4
        .value_kind:     hidden_block_count_y
      - .offset:         40
        .size:           4
        .value_kind:     hidden_block_count_z
      - .offset:         44
        .size:           2
        .value_kind:     hidden_group_size_x
      - .offset:         46
        .size:           2
        .value_kind:     hidden_group_size_y
      - .offset:         48
        .size:           2
        .value_kind:     hidden_group_size_z
      - .offset:         50
        .size:           2
        .value_kind:     hidden_remainder_x
      - .offset:         52
        .size:           2
        .value_kind:     hidden_remainder_y
      - .offset:         54
        .size:           2
        .value_kind:     hidden_remainder_z
      - .offset:         72
        .size:           8
        .value_kind:     hidden_global_offset_x
      - .offset:         80
        .size:           8
        .value_kind:     hidden_global_offset_y
      - .offset:         88
        .size:           8
        .value_kind:     hidden_global_offset_z
      - .offset:         96
        .size:           2
        .value_kind:     hidden_grid_dims
    .group_segment_fixed_size: 16384
    .kernarg_segment_align: 8
    .kernarg_segment_size: 288
    .language:       OpenCL C
    .language_version:
      - 2
      - 0
    .max_flat_workgroup_size: 256
    .name:           _ZN9rocsparseL26bsrgemm_group_reduce_part2ILj256ELj8ELj8E21rocsparse_complex_numIdEllEEvT4_PKT3_PS3_Pi
    .private_segment_fixed_size: 0
    .sgpr_count:     21
    .sgpr_spill_count: 0
    .symbol:         _ZN9rocsparseL26bsrgemm_group_reduce_part2ILj256ELj8ELj8E21rocsparse_complex_numIdEllEEvT4_PKT3_PS3_Pi.kd
    .uniform_work_group_size: 1
    .uses_dynamic_stack: false
    .vgpr_count:     36
    .vgpr_spill_count: 0
    .wavefront_size: 32
    .workgroup_processor_mode: 1
  - .args:
      - .offset:         0
        .size:           4
        .value_kind:     by_value
      - .offset:         8
        .size:           8
        .value_kind:     by_value
      - .offset:         16
        .size:           8
        .value_kind:     by_value
      - .actual_access:  read_only
        .address_space:  global
        .offset:         24
        .size:           8
        .value_kind:     global_buffer
      - .actual_access:  read_only
        .address_space:  global
        .offset:         32
        .size:           8
        .value_kind:     global_buffer
      - .offset:         40
        .size:           16
        .value_kind:     by_value
      - .actual_access:  read_only
        .address_space:  global
        .offset:         56
        .size:           8
        .value_kind:     global_buffer
      - .actual_access:  read_only
        .address_space:  global
        .offset:         64
        .size:           8
        .value_kind:     global_buffer
      - .actual_access:  read_only
        .address_space:  global
        .offset:         72
        .size:           8
        .value_kind:     global_buffer
      - .actual_access:  read_only
        .address_space:  global
        .offset:         80
        .size:           8
        .value_kind:     global_buffer
      - .actual_access:  read_only
        .address_space:  global
        .offset:         88
        .size:           8
        .value_kind:     global_buffer
      - .actual_access:  read_only
        .address_space:  global
        .offset:         96
        .size:           8
        .value_kind:     global_buffer
      - .offset:         104
        .size:           16
        .value_kind:     by_value
      - .actual_access:  read_only
        .address_space:  global
        .offset:         120
        .size:           8
        .value_kind:     global_buffer
      - .actual_access:  read_only
        .address_space:  global
        .offset:         128
        .size:           8
        .value_kind:     global_buffer
      - .actual_access:  read_only
        .address_space:  global
        .offset:         136
        .size:           8
        .value_kind:     global_buffer
      - .actual_access:  read_only
        .address_space:  global
        .offset:         144
        .size:           8
        .value_kind:     global_buffer
      - .actual_access:  write_only
        .address_space:  global
        .offset:         152
        .size:           8
        .value_kind:     global_buffer
      - .actual_access:  write_only
        .address_space:  global
        .offset:         160
        .size:           8
        .value_kind:     global_buffer
      - .offset:         168
        .size:           4
        .value_kind:     by_value
      - .offset:         172
        .size:           4
        .value_kind:     by_value
      - .offset:         176
        .size:           4
        .value_kind:     by_value
      - .offset:         180
        .size:           4
        .value_kind:     by_value
      - .offset:         184
        .size:           1
        .value_kind:     by_value
      - .offset:         185
        .size:           1
        .value_kind:     by_value
      - .offset:         186
        .size:           1
        .value_kind:     by_value
    .group_segment_fixed_size: 13312
    .kernarg_segment_align: 8
    .kernarg_segment_size: 188
    .language:       OpenCL C
    .language_version:
      - 2
      - 0
    .max_flat_workgroup_size: 256
    .name:           _ZN9rocsparseL27bsrgemm_fill_wf_per_row_2x2ILj256ELj16ELj8ELj137Ell21rocsparse_complex_numIdEEEv20rocsparse_direction_T4_S4_PKS4_S6_NS_24const_host_device_scalarIT5_EEPKT3_S6_PKS8_SC_S6_SE_S9_SC_S6_SE_SC_PS4_PS8_21rocsparse_index_base_SH_SH_SH_bbb
    .private_segment_fixed_size: 0
    .sgpr_count:     50
    .sgpr_spill_count: 0
    .symbol:         _ZN9rocsparseL27bsrgemm_fill_wf_per_row_2x2ILj256ELj16ELj8ELj137Ell21rocsparse_complex_numIdEEEv20rocsparse_direction_T4_S4_PKS4_S6_NS_24const_host_device_scalarIT5_EEPKT3_S6_PKS8_SC_S6_SE_S9_SC_S6_SE_SC_PS4_PS8_21rocsparse_index_base_SH_SH_SH_bbb.kd
    .uniform_work_group_size: 1
    .uses_dynamic_stack: false
    .vgpr_count:     66
    .vgpr_spill_count: 0
    .wavefront_size: 32
    .workgroup_processor_mode: 1
  - .args:
      - .offset:         0
        .size:           4
        .value_kind:     by_value
      - .offset:         8
        .size:           8
        .value_kind:     by_value
      - .offset:         16
        .size:           8
        .value_kind:     by_value
      - .actual_access:  read_only
        .address_space:  global
        .offset:         24
        .size:           8
        .value_kind:     global_buffer
      - .actual_access:  read_only
        .address_space:  global
        .offset:         32
        .size:           8
        .value_kind:     global_buffer
      - .offset:         40
        .size:           16
        .value_kind:     by_value
      - .actual_access:  read_only
        .address_space:  global
        .offset:         56
        .size:           8
        .value_kind:     global_buffer
      - .actual_access:  read_only
        .address_space:  global
        .offset:         64
        .size:           8
        .value_kind:     global_buffer
      - .actual_access:  read_only
        .address_space:  global
        .offset:         72
        .size:           8
        .value_kind:     global_buffer
      - .actual_access:  read_only
        .address_space:  global
        .offset:         80
        .size:           8
        .value_kind:     global_buffer
      - .actual_access:  read_only
        .address_space:  global
        .offset:         88
        .size:           8
        .value_kind:     global_buffer
      - .actual_access:  read_only
        .address_space:  global
        .offset:         96
        .size:           8
        .value_kind:     global_buffer
      - .offset:         104
        .size:           16
        .value_kind:     by_value
      - .actual_access:  read_only
        .address_space:  global
        .offset:         120
        .size:           8
        .value_kind:     global_buffer
      - .actual_access:  read_only
        .address_space:  global
        .offset:         128
        .size:           8
        .value_kind:     global_buffer
      - .actual_access:  read_only
        .address_space:  global
        .offset:         136
        .size:           8
        .value_kind:     global_buffer
      - .actual_access:  read_only
        .address_space:  global
        .offset:         144
        .size:           8
        .value_kind:     global_buffer
      - .actual_access:  write_only
        .address_space:  global
        .offset:         152
        .size:           8
        .value_kind:     global_buffer
      - .actual_access:  write_only
        .address_space:  global
        .offset:         160
        .size:           8
        .value_kind:     global_buffer
      - .offset:         168
        .size:           4
        .value_kind:     by_value
      - .offset:         172
        .size:           4
        .value_kind:     by_value
      - .offset:         176
        .size:           4
        .value_kind:     by_value
      - .offset:         180
        .size:           4
        .value_kind:     by_value
      - .offset:         184
        .size:           1
        .value_kind:     by_value
      - .offset:         185
        .size:           1
        .value_kind:     by_value
      - .offset:         186
        .size:           1
        .value_kind:     by_value
    .group_segment_fixed_size: 18432
    .kernarg_segment_align: 8
    .kernarg_segment_size: 188
    .language:       OpenCL C
    .language_version:
      - 2
      - 0
    .max_flat_workgroup_size: 256
    .name:           _ZN9rocsparseL27bsrgemm_fill_wf_per_row_2x2ILj256ELj16ELj16ELj137Ell21rocsparse_complex_numIdEEEv20rocsparse_direction_T4_S4_PKS4_S6_NS_24const_host_device_scalarIT5_EEPKT3_S6_PKS8_SC_S6_SE_S9_SC_S6_SE_SC_PS4_PS8_21rocsparse_index_base_SH_SH_SH_bbb
    .private_segment_fixed_size: 24
    .sgpr_count:     50
    .sgpr_spill_count: 0
    .symbol:         _ZN9rocsparseL27bsrgemm_fill_wf_per_row_2x2ILj256ELj16ELj16ELj137Ell21rocsparse_complex_numIdEEEv20rocsparse_direction_T4_S4_PKS4_S6_NS_24const_host_device_scalarIT5_EEPKT3_S6_PKS8_SC_S6_SE_S9_SC_S6_SE_SC_PS4_PS8_21rocsparse_index_base_SH_SH_SH_bbb.kd
    .uniform_work_group_size: 1
    .uses_dynamic_stack: false
    .vgpr_count:     67
    .vgpr_spill_count: 0
    .wavefront_size: 32
    .workgroup_processor_mode: 1
  - .args:
      - .offset:         0
        .size:           4
        .value_kind:     by_value
      - .offset:         8
        .size:           8
        .value_kind:     by_value
      - .offset:         16
        .size:           8
        .value_kind:     by_value
      - .actual_access:  read_only
        .address_space:  global
        .offset:         24
        .size:           8
        .value_kind:     global_buffer
      - .actual_access:  read_only
        .address_space:  global
        .offset:         32
        .size:           8
        .value_kind:     global_buffer
      - .offset:         40
        .size:           16
        .value_kind:     by_value
      - .actual_access:  read_only
        .address_space:  global
        .offset:         56
        .size:           8
        .value_kind:     global_buffer
      - .actual_access:  read_only
        .address_space:  global
        .offset:         64
        .size:           8
        .value_kind:     global_buffer
      - .actual_access:  read_only
        .address_space:  global
        .offset:         72
        .size:           8
        .value_kind:     global_buffer
      - .actual_access:  read_only
        .address_space:  global
        .offset:         80
        .size:           8
        .value_kind:     global_buffer
      - .actual_access:  read_only
        .address_space:  global
        .offset:         88
        .size:           8
        .value_kind:     global_buffer
      - .actual_access:  read_only
        .address_space:  global
        .offset:         96
        .size:           8
        .value_kind:     global_buffer
      - .offset:         104
        .size:           16
        .value_kind:     by_value
      - .actual_access:  read_only
        .address_space:  global
        .offset:         120
        .size:           8
        .value_kind:     global_buffer
      - .actual_access:  read_only
        .address_space:  global
        .offset:         128
        .size:           8
        .value_kind:     global_buffer
      - .actual_access:  read_only
        .address_space:  global
        .offset:         136
        .size:           8
        .value_kind:     global_buffer
      - .actual_access:  read_only
        .address_space:  global
        .offset:         144
        .size:           8
        .value_kind:     global_buffer
      - .actual_access:  write_only
        .address_space:  global
        .offset:         152
        .size:           8
        .value_kind:     global_buffer
      - .actual_access:  write_only
        .address_space:  global
        .offset:         160
        .size:           8
        .value_kind:     global_buffer
      - .offset:         168
        .size:           4
        .value_kind:     by_value
      - .offset:         172
        .size:           4
        .value_kind:     by_value
      - .offset:         176
        .size:           4
        .value_kind:     by_value
      - .offset:         180
        .size:           4
        .value_kind:     by_value
      - .offset:         184
        .size:           1
        .value_kind:     by_value
      - .offset:         185
        .size:           1
        .value_kind:     by_value
      - .offset:         186
        .size:           1
        .value_kind:     by_value
    .group_segment_fixed_size: 40960
    .kernarg_segment_align: 8
    .kernarg_segment_size: 188
    .language:       OpenCL C
    .language_version:
      - 2
      - 0
    .max_flat_workgroup_size: 256
    .name:           _ZN9rocsparseL27bsrgemm_fill_wf_per_row_2x2ILj256ELj16ELj32ELj137Ell21rocsparse_complex_numIdEEEv20rocsparse_direction_T4_S4_PKS4_S6_NS_24const_host_device_scalarIT5_EEPKT3_S6_PKS8_SC_S6_SE_S9_SC_S6_SE_SC_PS4_PS8_21rocsparse_index_base_SH_SH_SH_bbb
    .private_segment_fixed_size: 0
    .sgpr_count:     50
    .sgpr_spill_count: 0
    .symbol:         _ZN9rocsparseL27bsrgemm_fill_wf_per_row_2x2ILj256ELj16ELj32ELj137Ell21rocsparse_complex_numIdEEEv20rocsparse_direction_T4_S4_PKS4_S6_NS_24const_host_device_scalarIT5_EEPKT3_S6_PKS8_SC_S6_SE_S9_SC_S6_SE_SC_PS4_PS8_21rocsparse_index_base_SH_SH_SH_bbb.kd
    .uniform_work_group_size: 1
    .uses_dynamic_stack: false
    .vgpr_count:     68
    .vgpr_spill_count: 0
    .wavefront_size: 32
    .workgroup_processor_mode: 1
  - .args:
      - .offset:         0
        .size:           4
        .value_kind:     by_value
      - .offset:         8
        .size:           8
        .value_kind:     by_value
      - .offset:         16
        .size:           8
        .value_kind:     by_value
      - .actual_access:  read_only
        .address_space:  global
        .offset:         24
        .size:           8
        .value_kind:     global_buffer
      - .actual_access:  read_only
        .address_space:  global
        .offset:         32
        .size:           8
        .value_kind:     global_buffer
      - .offset:         40
        .size:           16
        .value_kind:     by_value
      - .actual_access:  read_only
        .address_space:  global
        .offset:         56
        .size:           8
        .value_kind:     global_buffer
      - .actual_access:  read_only
        .address_space:  global
        .offset:         64
        .size:           8
        .value_kind:     global_buffer
      - .actual_access:  read_only
        .address_space:  global
        .offset:         72
        .size:           8
        .value_kind:     global_buffer
      - .actual_access:  read_only
        .address_space:  global
        .offset:         80
        .size:           8
        .value_kind:     global_buffer
      - .actual_access:  read_only
        .address_space:  global
        .offset:         88
        .size:           8
        .value_kind:     global_buffer
      - .actual_access:  read_only
        .address_space:  global
        .offset:         96
        .size:           8
        .value_kind:     global_buffer
      - .offset:         104
        .size:           16
        .value_kind:     by_value
      - .actual_access:  read_only
        .address_space:  global
        .offset:         120
        .size:           8
        .value_kind:     global_buffer
      - .actual_access:  read_only
        .address_space:  global
        .offset:         128
        .size:           8
        .value_kind:     global_buffer
      - .actual_access:  read_only
        .address_space:  global
        .offset:         136
        .size:           8
        .value_kind:     global_buffer
      - .actual_access:  read_only
        .address_space:  global
        .offset:         144
        .size:           8
        .value_kind:     global_buffer
      - .actual_access:  write_only
        .address_space:  global
        .offset:         152
        .size:           8
        .value_kind:     global_buffer
      - .actual_access:  write_only
        .address_space:  global
        .offset:         160
        .size:           8
        .value_kind:     global_buffer
      - .offset:         168
        .size:           4
        .value_kind:     by_value
      - .offset:         172
        .size:           4
        .value_kind:     by_value
      - .offset:         176
        .size:           4
        .value_kind:     by_value
      - .offset:         180
        .size:           4
        .value_kind:     by_value
      - .offset:         184
        .size:           1
        .value_kind:     by_value
      - .offset:         185
        .size:           1
        .value_kind:     by_value
      - .offset:         186
        .size:           1
        .value_kind:     by_value
    .group_segment_fixed_size: 0
    .kernarg_segment_align: 8
    .kernarg_segment_size: 188
    .language:       OpenCL C
    .language_version:
      - 2
      - 0
    .max_flat_workgroup_size: 256
    .name:           _ZN9rocsparseL30bsrgemm_fill_block_per_row_2x2ILj256ELj16ELj64ELj137Ell21rocsparse_complex_numIdEEEv20rocsparse_direction_T4_S4_PKS4_S6_NS_24const_host_device_scalarIT5_EEPKT3_S6_PKS8_SC_S6_SE_S9_SC_S6_SE_SC_PS4_PS8_21rocsparse_index_base_SH_SH_SH_bbb
    .private_segment_fixed_size: 24
    .sgpr_count:     40
    .sgpr_spill_count: 0
    .symbol:         _ZN9rocsparseL30bsrgemm_fill_block_per_row_2x2ILj256ELj16ELj64ELj137Ell21rocsparse_complex_numIdEEEv20rocsparse_direction_T4_S4_PKS4_S6_NS_24const_host_device_scalarIT5_EEPKT3_S6_PKS8_SC_S6_SE_S9_SC_S6_SE_SC_PS4_PS8_21rocsparse_index_base_SH_SH_SH_bbb.kd
    .uniform_work_group_size: 1
    .uses_dynamic_stack: false
    .vgpr_count:     63
    .vgpr_spill_count: 0
    .wavefront_size: 32
    .workgroup_processor_mode: 1
  - .args:
      - .offset:         0
        .size:           4
        .value_kind:     by_value
      - .offset:         8
        .size:           8
        .value_kind:     by_value
      - .offset:         16
        .size:           8
        .value_kind:     by_value
      - .actual_access:  read_only
        .address_space:  global
        .offset:         24
        .size:           8
        .value_kind:     global_buffer
      - .actual_access:  read_only
        .address_space:  global
        .offset:         32
        .size:           8
        .value_kind:     global_buffer
      - .offset:         40
        .size:           16
        .value_kind:     by_value
      - .actual_access:  read_only
        .address_space:  global
        .offset:         56
        .size:           8
        .value_kind:     global_buffer
      - .actual_access:  read_only
        .address_space:  global
        .offset:         64
        .size:           8
        .value_kind:     global_buffer
      - .actual_access:  read_only
        .address_space:  global
        .offset:         72
        .size:           8
        .value_kind:     global_buffer
      - .actual_access:  read_only
        .address_space:  global
        .offset:         80
        .size:           8
        .value_kind:     global_buffer
      - .actual_access:  read_only
        .address_space:  global
        .offset:         88
        .size:           8
        .value_kind:     global_buffer
      - .actual_access:  read_only
        .address_space:  global
        .offset:         96
        .size:           8
        .value_kind:     global_buffer
      - .offset:         104
        .size:           16
        .value_kind:     by_value
      - .actual_access:  read_only
        .address_space:  global
        .offset:         120
        .size:           8
        .value_kind:     global_buffer
      - .actual_access:  read_only
        .address_space:  global
        .offset:         128
        .size:           8
        .value_kind:     global_buffer
      - .actual_access:  read_only
        .address_space:  global
        .offset:         136
        .size:           8
        .value_kind:     global_buffer
      - .actual_access:  read_only
        .address_space:  global
        .offset:         144
        .size:           8
        .value_kind:     global_buffer
      - .actual_access:  write_only
        .address_space:  global
        .offset:         152
        .size:           8
        .value_kind:     global_buffer
      - .actual_access:  write_only
        .address_space:  global
        .offset:         160
        .size:           8
        .value_kind:     global_buffer
      - .offset:         168
        .size:           4
        .value_kind:     by_value
      - .offset:         172
        .size:           4
        .value_kind:     by_value
      - .offset:         176
        .size:           4
        .value_kind:     by_value
      - .offset:         180
        .size:           4
        .value_kind:     by_value
      - .offset:         184
        .size:           1
        .value_kind:     by_value
      - .offset:         185
        .size:           1
        .value_kind:     by_value
      - .offset:         186
        .size:           1
        .value_kind:     by_value
    .group_segment_fixed_size: 0
    .kernarg_segment_align: 8
    .kernarg_segment_size: 188
    .language:       OpenCL C
    .language_version:
      - 2
      - 0
    .max_flat_workgroup_size: 256
    .name:           _ZN9rocsparseL30bsrgemm_fill_block_per_row_2x2ILj256ELj16ELj128ELj137Ell21rocsparse_complex_numIdEEEv20rocsparse_direction_T4_S4_PKS4_S6_NS_24const_host_device_scalarIT5_EEPKT3_S6_PKS8_SC_S6_SE_S9_SC_S6_SE_SC_PS4_PS8_21rocsparse_index_base_SH_SH_SH_bbb
    .private_segment_fixed_size: 24
    .sgpr_count:     50
    .sgpr_spill_count: 0
    .symbol:         _ZN9rocsparseL30bsrgemm_fill_block_per_row_2x2ILj256ELj16ELj128ELj137Ell21rocsparse_complex_numIdEEEv20rocsparse_direction_T4_S4_PKS4_S6_NS_24const_host_device_scalarIT5_EEPKT3_S6_PKS8_SC_S6_SE_S9_SC_S6_SE_SC_PS4_PS8_21rocsparse_index_base_SH_SH_SH_bbb.kd
    .uniform_work_group_size: 1
    .uses_dynamic_stack: false
    .vgpr_count:     63
    .vgpr_spill_count: 0
    .wavefront_size: 32
    .workgroup_processor_mode: 1
  - .args:
      - .offset:         0
        .size:           4
        .value_kind:     by_value
      - .offset:         8
        .size:           8
        .value_kind:     by_value
      - .offset:         16
        .size:           8
        .value_kind:     by_value
      - .actual_access:  read_only
        .address_space:  global
        .offset:         24
        .size:           8
        .value_kind:     global_buffer
      - .actual_access:  read_only
        .address_space:  global
        .offset:         32
        .size:           8
        .value_kind:     global_buffer
      - .offset:         40
        .size:           16
        .value_kind:     by_value
      - .actual_access:  read_only
        .address_space:  global
        .offset:         56
        .size:           8
        .value_kind:     global_buffer
      - .actual_access:  read_only
        .address_space:  global
        .offset:         64
        .size:           8
        .value_kind:     global_buffer
      - .actual_access:  read_only
        .address_space:  global
        .offset:         72
        .size:           8
        .value_kind:     global_buffer
      - .actual_access:  read_only
        .address_space:  global
        .offset:         80
        .size:           8
        .value_kind:     global_buffer
      - .actual_access:  read_only
        .address_space:  global
        .offset:         88
        .size:           8
        .value_kind:     global_buffer
      - .actual_access:  read_only
        .address_space:  global
        .offset:         96
        .size:           8
        .value_kind:     global_buffer
      - .offset:         104
        .size:           16
        .value_kind:     by_value
      - .actual_access:  read_only
        .address_space:  global
        .offset:         120
        .size:           8
        .value_kind:     global_buffer
      - .actual_access:  read_only
        .address_space:  global
        .offset:         128
        .size:           8
        .value_kind:     global_buffer
      - .actual_access:  read_only
        .address_space:  global
        .offset:         136
        .size:           8
        .value_kind:     global_buffer
      - .actual_access:  read_only
        .address_space:  global
        .offset:         144
        .size:           8
        .value_kind:     global_buffer
      - .actual_access:  write_only
        .address_space:  global
        .offset:         152
        .size:           8
        .value_kind:     global_buffer
      - .actual_access:  write_only
        .address_space:  global
        .offset:         160
        .size:           8
        .value_kind:     global_buffer
      - .offset:         168
        .size:           4
        .value_kind:     by_value
      - .offset:         172
        .size:           4
        .value_kind:     by_value
      - .offset:         176
        .size:           4
        .value_kind:     by_value
      - .offset:         180
        .size:           4
        .value_kind:     by_value
      - .offset:         184
        .size:           1
        .value_kind:     by_value
      - .offset:         185
        .size:           1
        .value_kind:     by_value
      - .offset:         186
        .size:           1
        .value_kind:     by_value
    .group_segment_fixed_size: 0
    .kernarg_segment_align: 8
    .kernarg_segment_size: 188
    .language:       OpenCL C
    .language_version:
      - 2
      - 0
    .max_flat_workgroup_size: 256
    .name:           _ZN9rocsparseL30bsrgemm_fill_block_per_row_2x2ILj256ELj16ELj256ELj137Ell21rocsparse_complex_numIdEEEv20rocsparse_direction_T4_S4_PKS4_S6_NS_24const_host_device_scalarIT5_EEPKT3_S6_PKS8_SC_S6_SE_S9_SC_S6_SE_SC_PS4_PS8_21rocsparse_index_base_SH_SH_SH_bbb
    .private_segment_fixed_size: 24
    .sgpr_count:     50
    .sgpr_spill_count: 0
    .symbol:         _ZN9rocsparseL30bsrgemm_fill_block_per_row_2x2ILj256ELj16ELj256ELj137Ell21rocsparse_complex_numIdEEEv20rocsparse_direction_T4_S4_PKS4_S6_NS_24const_host_device_scalarIT5_EEPKT3_S6_PKS8_SC_S6_SE_S9_SC_S6_SE_SC_PS4_PS8_21rocsparse_index_base_SH_SH_SH_bbb.kd
    .uniform_work_group_size: 1
    .uses_dynamic_stack: false
    .vgpr_count:     63
    .vgpr_spill_count: 0
    .wavefront_size: 32
    .workgroup_processor_mode: 1
  - .args:
      - .offset:         0
        .size:           4
        .value_kind:     by_value
      - .offset:         8
        .size:           8
        .value_kind:     by_value
      - .offset:         16
        .size:           8
        .value_kind:     by_value
      - .actual_access:  read_only
        .address_space:  global
        .offset:         24
        .size:           8
        .value_kind:     global_buffer
      - .actual_access:  read_only
        .address_space:  global
        .offset:         32
        .size:           8
        .value_kind:     global_buffer
      - .offset:         40
        .size:           16
        .value_kind:     by_value
      - .actual_access:  read_only
        .address_space:  global
        .offset:         56
        .size:           8
        .value_kind:     global_buffer
      - .actual_access:  read_only
        .address_space:  global
        .offset:         64
        .size:           8
        .value_kind:     global_buffer
      - .actual_access:  read_only
        .address_space:  global
        .offset:         72
        .size:           8
        .value_kind:     global_buffer
      - .actual_access:  read_only
        .address_space:  global
        .offset:         80
        .size:           8
        .value_kind:     global_buffer
      - .actual_access:  read_only
        .address_space:  global
        .offset:         88
        .size:           8
        .value_kind:     global_buffer
      - .actual_access:  read_only
        .address_space:  global
        .offset:         96
        .size:           8
        .value_kind:     global_buffer
      - .offset:         104
        .size:           16
        .value_kind:     by_value
      - .actual_access:  read_only
        .address_space:  global
        .offset:         120
        .size:           8
        .value_kind:     global_buffer
      - .actual_access:  read_only
        .address_space:  global
        .offset:         128
        .size:           8
        .value_kind:     global_buffer
      - .actual_access:  read_only
        .address_space:  global
        .offset:         136
        .size:           8
        .value_kind:     global_buffer
      - .actual_access:  read_only
        .address_space:  global
        .offset:         144
        .size:           8
        .value_kind:     global_buffer
      - .actual_access:  write_only
        .address_space:  global
        .offset:         152
        .size:           8
        .value_kind:     global_buffer
      - .actual_access:  write_only
        .address_space:  global
        .offset:         160
        .size:           8
        .value_kind:     global_buffer
      - .address_space:  global
        .offset:         168
        .size:           8
        .value_kind:     global_buffer
      - .offset:         176
        .size:           4
        .value_kind:     by_value
      - .offset:         180
        .size:           4
        .value_kind:     by_value
      - .offset:         184
        .size:           4
        .value_kind:     by_value
      - .offset:         188
        .size:           4
        .value_kind:     by_value
      - .offset:         192
        .size:           1
        .value_kind:     by_value
      - .offset:         193
        .size:           1
        .value_kind:     by_value
      - .offset:         194
        .size:           1
        .value_kind:     by_value
    .group_segment_fixed_size: 21512
    .kernarg_segment_align: 8
    .kernarg_segment_size: 196
    .language:       OpenCL C
    .language_version:
      - 2
      - 0
    .max_flat_workgroup_size: 256
    .name:           _ZN9rocsparseL38bsrgemm_block_per_row_atomic_multipassILj256ELj256ELj2Ell21rocsparse_complex_numIdEEEv20rocsparse_direction_T3_S4_PKS4_S6_NS_24const_host_device_scalarIT4_EEPKT2_S6_PKS8_SC_S6_SE_S9_SC_S6_SE_SC_PS4_PS8_PSA_21rocsparse_index_base_SI_SI_SI_bbb
    .private_segment_fixed_size: 24
    .sgpr_count:     68
    .sgpr_spill_count: 0
    .symbol:         _ZN9rocsparseL38bsrgemm_block_per_row_atomic_multipassILj256ELj256ELj2Ell21rocsparse_complex_numIdEEEv20rocsparse_direction_T3_S4_PKS4_S6_NS_24const_host_device_scalarIT4_EEPKT2_S6_PKS8_SC_S6_SE_S9_SC_S6_SE_SC_PS4_PS8_PSA_21rocsparse_index_base_SI_SI_SI_bbb.kd
    .uniform_work_group_size: 1
    .uses_dynamic_stack: false
    .vgpr_count:     81
    .vgpr_spill_count: 0
    .wavefront_size: 32
    .workgroup_processor_mode: 1
  - .args:
      - .offset:         0
        .size:           4
        .value_kind:     by_value
      - .offset:         8
        .size:           8
        .value_kind:     by_value
      - .offset:         16
        .size:           8
        .value_kind:     by_value
      - .offset:         24
        .size:           8
        .value_kind:     by_value
      - .actual_access:  read_only
        .address_space:  global
        .offset:         32
        .size:           8
        .value_kind:     global_buffer
      - .actual_access:  read_only
        .address_space:  global
        .offset:         40
        .size:           8
        .value_kind:     global_buffer
      - .offset:         48
        .size:           16
        .value_kind:     by_value
      - .actual_access:  read_only
        .address_space:  global
        .offset:         64
        .size:           8
        .value_kind:     global_buffer
      - .actual_access:  read_only
        .address_space:  global
        .offset:         72
        .size:           8
        .value_kind:     global_buffer
      - .actual_access:  read_only
        .address_space:  global
        .offset:         80
        .size:           8
        .value_kind:     global_buffer
      - .actual_access:  read_only
        .address_space:  global
        .offset:         88
        .size:           8
        .value_kind:     global_buffer
      - .actual_access:  read_only
        .address_space:  global
        .offset:         96
        .size:           8
        .value_kind:     global_buffer
      - .actual_access:  read_only
        .address_space:  global
        .offset:         104
        .size:           8
        .value_kind:     global_buffer
      - .offset:         112
        .size:           16
        .value_kind:     by_value
      - .actual_access:  read_only
        .address_space:  global
        .offset:         128
        .size:           8
        .value_kind:     global_buffer
      - .actual_access:  read_only
        .address_space:  global
        .offset:         136
        .size:           8
        .value_kind:     global_buffer
      - .actual_access:  read_only
        .address_space:  global
        .offset:         144
        .size:           8
        .value_kind:     global_buffer
      - .actual_access:  read_only
        .address_space:  global
        .offset:         152
        .size:           8
        .value_kind:     global_buffer
      - .actual_access:  write_only
        .address_space:  global
        .offset:         160
        .size:           8
        .value_kind:     global_buffer
      - .actual_access:  write_only
        .address_space:  global
        .offset:         168
        .size:           8
        .value_kind:     global_buffer
      - .offset:         176
        .size:           4
        .value_kind:     by_value
      - .offset:         180
        .size:           4
        .value_kind:     by_value
      - .offset:         184
        .size:           4
        .value_kind:     by_value
      - .offset:         188
        .size:           4
        .value_kind:     by_value
      - .offset:         192
        .size:           1
        .value_kind:     by_value
      - .offset:         193
        .size:           1
        .value_kind:     by_value
      - .offset:         194
        .size:           1
        .value_kind:     by_value
    .group_segment_fixed_size: 12544
    .kernarg_segment_align: 8
    .kernarg_segment_size: 196
    .language:       OpenCL C
    .language_version:
      - 2
      - 0
    .max_flat_workgroup_size: 256
    .name:           _ZN9rocsparseL23bsrgemm_fill_wf_per_rowILj256ELj64ELj8ELj137ELj4Ell21rocsparse_complex_numIdEEEv20rocsparse_direction_T5_S4_S4_PKS4_S6_NS_24const_host_device_scalarIT6_EEPKT4_S6_PKS8_SC_S6_SE_S9_SC_S6_SE_SC_PS4_PS8_21rocsparse_index_base_SH_SH_SH_bbb
    .private_segment_fixed_size: 0
    .sgpr_count:     55
    .sgpr_spill_count: 0
    .symbol:         _ZN9rocsparseL23bsrgemm_fill_wf_per_rowILj256ELj64ELj8ELj137ELj4Ell21rocsparse_complex_numIdEEEv20rocsparse_direction_T5_S4_S4_PKS4_S6_NS_24const_host_device_scalarIT6_EEPKT4_S6_PKS8_SC_S6_SE_S9_SC_S6_SE_SC_PS4_PS8_21rocsparse_index_base_SH_SH_SH_bbb.kd
    .uniform_work_group_size: 1
    .uses_dynamic_stack: false
    .vgpr_count:     56
    .vgpr_spill_count: 0
    .wavefront_size: 32
    .workgroup_processor_mode: 1
  - .args:
      - .offset:         0
        .size:           4
        .value_kind:     by_value
      - .offset:         8
        .size:           8
        .value_kind:     by_value
      - .offset:         16
        .size:           8
        .value_kind:     by_value
      - .offset:         24
        .size:           8
        .value_kind:     by_value
      - .actual_access:  read_only
        .address_space:  global
        .offset:         32
        .size:           8
        .value_kind:     global_buffer
      - .actual_access:  read_only
        .address_space:  global
        .offset:         40
        .size:           8
        .value_kind:     global_buffer
      - .offset:         48
        .size:           16
        .value_kind:     by_value
      - .actual_access:  read_only
        .address_space:  global
        .offset:         64
        .size:           8
        .value_kind:     global_buffer
      - .actual_access:  read_only
        .address_space:  global
        .offset:         72
        .size:           8
        .value_kind:     global_buffer
      - .actual_access:  read_only
        .address_space:  global
        .offset:         80
        .size:           8
        .value_kind:     global_buffer
      - .actual_access:  read_only
        .address_space:  global
        .offset:         88
        .size:           8
        .value_kind:     global_buffer
      - .actual_access:  read_only
        .address_space:  global
        .offset:         96
        .size:           8
        .value_kind:     global_buffer
      - .actual_access:  read_only
        .address_space:  global
        .offset:         104
        .size:           8
        .value_kind:     global_buffer
      - .offset:         112
        .size:           16
        .value_kind:     by_value
      - .actual_access:  read_only
        .address_space:  global
        .offset:         128
        .size:           8
        .value_kind:     global_buffer
      - .actual_access:  read_only
        .address_space:  global
        .offset:         136
        .size:           8
        .value_kind:     global_buffer
      - .actual_access:  read_only
        .address_space:  global
        .offset:         144
        .size:           8
        .value_kind:     global_buffer
      - .actual_access:  read_only
        .address_space:  global
        .offset:         152
        .size:           8
        .value_kind:     global_buffer
      - .actual_access:  write_only
        .address_space:  global
        .offset:         160
        .size:           8
        .value_kind:     global_buffer
      - .actual_access:  write_only
        .address_space:  global
        .offset:         168
        .size:           8
        .value_kind:     global_buffer
      - .offset:         176
        .size:           4
        .value_kind:     by_value
      - .offset:         180
        .size:           4
        .value_kind:     by_value
      - .offset:         184
        .size:           4
        .value_kind:     by_value
      - .offset:         188
        .size:           4
        .value_kind:     by_value
      - .offset:         192
        .size:           1
        .value_kind:     by_value
      - .offset:         193
        .size:           1
        .value_kind:     by_value
      - .offset:         194
        .size:           1
        .value_kind:     by_value
    .group_segment_fixed_size: 16896
    .kernarg_segment_align: 8
    .kernarg_segment_size: 196
    .language:       OpenCL C
    .language_version:
      - 2
      - 0
    .max_flat_workgroup_size: 256
    .name:           _ZN9rocsparseL23bsrgemm_fill_wf_per_rowILj256ELj64ELj16ELj137ELj4Ell21rocsparse_complex_numIdEEEv20rocsparse_direction_T5_S4_S4_PKS4_S6_NS_24const_host_device_scalarIT6_EEPKT4_S6_PKS8_SC_S6_SE_S9_SC_S6_SE_SC_PS4_PS8_21rocsparse_index_base_SH_SH_SH_bbb
    .private_segment_fixed_size: 24
    .sgpr_count:     55
    .sgpr_spill_count: 0
    .symbol:         _ZN9rocsparseL23bsrgemm_fill_wf_per_rowILj256ELj64ELj16ELj137ELj4Ell21rocsparse_complex_numIdEEEv20rocsparse_direction_T5_S4_S4_PKS4_S6_NS_24const_host_device_scalarIT6_EEPKT4_S6_PKS8_SC_S6_SE_S9_SC_S6_SE_SC_PS4_PS8_21rocsparse_index_base_SH_SH_SH_bbb.kd
    .uniform_work_group_size: 1
    .uses_dynamic_stack: false
    .vgpr_count:     56
    .vgpr_spill_count: 0
    .wavefront_size: 32
    .workgroup_processor_mode: 1
  - .args:
      - .offset:         0
        .size:           4
        .value_kind:     by_value
      - .offset:         8
        .size:           8
        .value_kind:     by_value
      - .offset:         16
        .size:           8
        .value_kind:     by_value
      - .actual_access:  read_only
        .address_space:  global
        .offset:         24
        .size:           8
        .value_kind:     global_buffer
      - .actual_access:  read_only
        .address_space:  global
        .offset:         32
        .size:           8
        .value_kind:     global_buffer
      - .offset:         40
        .size:           16
        .value_kind:     by_value
      - .actual_access:  read_only
        .address_space:  global
        .offset:         56
        .size:           8
        .value_kind:     global_buffer
      - .actual_access:  read_only
        .address_space:  global
        .offset:         64
        .size:           8
        .value_kind:     global_buffer
      - .actual_access:  read_only
        .address_space:  global
        .offset:         72
        .size:           8
        .value_kind:     global_buffer
      - .actual_access:  read_only
        .address_space:  global
        .offset:         80
        .size:           8
        .value_kind:     global_buffer
      - .actual_access:  read_only
        .address_space:  global
        .offset:         88
        .size:           8
        .value_kind:     global_buffer
      - .actual_access:  read_only
        .address_space:  global
        .offset:         96
        .size:           8
        .value_kind:     global_buffer
      - .offset:         104
        .size:           16
        .value_kind:     by_value
      - .actual_access:  read_only
        .address_space:  global
        .offset:         120
        .size:           8
        .value_kind:     global_buffer
      - .actual_access:  read_only
        .address_space:  global
        .offset:         128
        .size:           8
        .value_kind:     global_buffer
      - .actual_access:  read_only
        .address_space:  global
        .offset:         136
        .size:           8
        .value_kind:     global_buffer
      - .actual_access:  read_only
        .address_space:  global
        .offset:         144
        .size:           8
        .value_kind:     global_buffer
      - .actual_access:  write_only
        .address_space:  global
        .offset:         152
        .size:           8
        .value_kind:     global_buffer
      - .actual_access:  write_only
        .address_space:  global
        .offset:         160
        .size:           8
        .value_kind:     global_buffer
      - .address_space:  global
        .offset:         168
        .size:           8
        .value_kind:     global_buffer
      - .offset:         176
        .size:           4
        .value_kind:     by_value
      - .offset:         180
        .size:           4
        .value_kind:     by_value
      - .offset:         184
        .size:           4
        .value_kind:     by_value
      - .offset:         188
        .size:           4
        .value_kind:     by_value
      - .offset:         192
        .size:           1
        .value_kind:     by_value
      - .offset:         193
        .size:           1
        .value_kind:     by_value
      - .offset:         194
        .size:           1
        .value_kind:     by_value
    .group_segment_fixed_size: 14472
    .kernarg_segment_align: 8
    .kernarg_segment_size: 196
    .language:       OpenCL C
    .language_version:
      - 2
      - 0
    .max_flat_workgroup_size: 256
    .name:           _ZN9rocsparseL38bsrgemm_block_per_row_atomic_multipassILj256ELj32ELj4Ell21rocsparse_complex_numIdEEEv20rocsparse_direction_T3_S4_PKS4_S6_NS_24const_host_device_scalarIT4_EEPKT2_S6_PKS8_SC_S6_SE_S9_SC_S6_SE_SC_PS4_PS8_PSA_21rocsparse_index_base_SI_SI_SI_bbb
    .private_segment_fixed_size: 16
    .sgpr_count:     65
    .sgpr_spill_count: 0
    .symbol:         _ZN9rocsparseL38bsrgemm_block_per_row_atomic_multipassILj256ELj32ELj4Ell21rocsparse_complex_numIdEEEv20rocsparse_direction_T3_S4_PKS4_S6_NS_24const_host_device_scalarIT4_EEPKT2_S6_PKS8_SC_S6_SE_S9_SC_S6_SE_SC_PS4_PS8_PSA_21rocsparse_index_base_SI_SI_SI_bbb.kd
    .uniform_work_group_size: 1
    .uses_dynamic_stack: false
    .vgpr_count:     80
    .vgpr_spill_count: 0
    .wavefront_size: 32
    .workgroup_processor_mode: 1
  - .args:
      - .offset:         0
        .size:           4
        .value_kind:     by_value
      - .offset:         8
        .size:           8
        .value_kind:     by_value
      - .offset:         16
        .size:           8
        .value_kind:     by_value
      - .actual_access:  read_only
        .address_space:  global
        .offset:         24
        .size:           8
        .value_kind:     global_buffer
      - .actual_access:  read_only
        .address_space:  global
        .offset:         32
        .size:           8
        .value_kind:     global_buffer
      - .offset:         40
        .size:           16
        .value_kind:     by_value
      - .actual_access:  read_only
        .address_space:  global
        .offset:         56
        .size:           8
        .value_kind:     global_buffer
      - .actual_access:  read_only
        .address_space:  global
        .offset:         64
        .size:           8
        .value_kind:     global_buffer
      - .actual_access:  read_only
        .address_space:  global
        .offset:         72
        .size:           8
        .value_kind:     global_buffer
      - .actual_access:  read_only
        .address_space:  global
        .offset:         80
        .size:           8
        .value_kind:     global_buffer
      - .actual_access:  read_only
        .address_space:  global
        .offset:         88
        .size:           8
        .value_kind:     global_buffer
      - .actual_access:  read_only
        .address_space:  global
        .offset:         96
        .size:           8
        .value_kind:     global_buffer
      - .offset:         104
        .size:           16
        .value_kind:     by_value
      - .actual_access:  read_only
        .address_space:  global
        .offset:         120
        .size:           8
        .value_kind:     global_buffer
      - .actual_access:  read_only
        .address_space:  global
        .offset:         128
        .size:           8
        .value_kind:     global_buffer
      - .actual_access:  read_only
        .address_space:  global
        .offset:         136
        .size:           8
        .value_kind:     global_buffer
      - .actual_access:  read_only
        .address_space:  global
        .offset:         144
        .size:           8
        .value_kind:     global_buffer
      - .actual_access:  write_only
        .address_space:  global
        .offset:         152
        .size:           8
        .value_kind:     global_buffer
      - .actual_access:  write_only
        .address_space:  global
        .offset:         160
        .size:           8
        .value_kind:     global_buffer
      - .address_space:  global
        .offset:         168
        .size:           8
        .value_kind:     global_buffer
      - .offset:         176
        .size:           4
        .value_kind:     by_value
      - .offset:         180
        .size:           4
        .value_kind:     by_value
      - .offset:         184
        .size:           4
        .value_kind:     by_value
      - .offset:         188
        .size:           4
        .value_kind:     by_value
      - .offset:         192
        .size:           1
        .value_kind:     by_value
      - .offset:         193
        .size:           1
        .value_kind:     by_value
      - .offset:         194
        .size:           1
        .value_kind:     by_value
    .group_segment_fixed_size: 20744
    .kernarg_segment_align: 8
    .kernarg_segment_size: 196
    .language:       OpenCL C
    .language_version:
      - 2
      - 0
    .max_flat_workgroup_size: 256
    .name:           _ZN9rocsparseL38bsrgemm_block_per_row_atomic_multipassILj256ELj64ELj4Ell21rocsparse_complex_numIdEEEv20rocsparse_direction_T3_S4_PKS4_S6_NS_24const_host_device_scalarIT4_EEPKT2_S6_PKS8_SC_S6_SE_S9_SC_S6_SE_SC_PS4_PS8_PSA_21rocsparse_index_base_SI_SI_SI_bbb
    .private_segment_fixed_size: 24
    .sgpr_count:     66
    .sgpr_spill_count: 0
    .symbol:         _ZN9rocsparseL38bsrgemm_block_per_row_atomic_multipassILj256ELj64ELj4Ell21rocsparse_complex_numIdEEEv20rocsparse_direction_T3_S4_PKS4_S6_NS_24const_host_device_scalarIT4_EEPKT2_S6_PKS8_SC_S6_SE_S9_SC_S6_SE_SC_PS4_PS8_PSA_21rocsparse_index_base_SI_SI_SI_bbb.kd
    .uniform_work_group_size: 1
    .uses_dynamic_stack: false
    .vgpr_count:     79
    .vgpr_spill_count: 0
    .wavefront_size: 32
    .workgroup_processor_mode: 1
  - .args:
      - .offset:         0
        .size:           4
        .value_kind:     by_value
      - .offset:         8
        .size:           8
        .value_kind:     by_value
      - .offset:         16
        .size:           8
        .value_kind:     by_value
      - .actual_access:  read_only
        .address_space:  global
        .offset:         24
        .size:           8
        .value_kind:     global_buffer
      - .actual_access:  read_only
        .address_space:  global
        .offset:         32
        .size:           8
        .value_kind:     global_buffer
      - .offset:         40
        .size:           16
        .value_kind:     by_value
      - .actual_access:  read_only
        .address_space:  global
        .offset:         56
        .size:           8
        .value_kind:     global_buffer
      - .actual_access:  read_only
        .address_space:  global
        .offset:         64
        .size:           8
        .value_kind:     global_buffer
      - .actual_access:  read_only
        .address_space:  global
        .offset:         72
        .size:           8
        .value_kind:     global_buffer
      - .actual_access:  read_only
        .address_space:  global
        .offset:         80
        .size:           8
        .value_kind:     global_buffer
      - .actual_access:  read_only
        .address_space:  global
        .offset:         88
        .size:           8
        .value_kind:     global_buffer
      - .actual_access:  read_only
        .address_space:  global
        .offset:         96
        .size:           8
        .value_kind:     global_buffer
      - .offset:         104
        .size:           16
        .value_kind:     by_value
      - .actual_access:  read_only
        .address_space:  global
        .offset:         120
        .size:           8
        .value_kind:     global_buffer
      - .actual_access:  read_only
        .address_space:  global
        .offset:         128
        .size:           8
        .value_kind:     global_buffer
      - .actual_access:  read_only
        .address_space:  global
        .offset:         136
        .size:           8
        .value_kind:     global_buffer
      - .actual_access:  read_only
        .address_space:  global
        .offset:         144
        .size:           8
        .value_kind:     global_buffer
      - .actual_access:  write_only
        .address_space:  global
        .offset:         152
        .size:           8
        .value_kind:     global_buffer
      - .actual_access:  write_only
        .address_space:  global
        .offset:         160
        .size:           8
        .value_kind:     global_buffer
      - .address_space:  global
        .offset:         168
        .size:           8
        .value_kind:     global_buffer
      - .offset:         176
        .size:           4
        .value_kind:     by_value
      - .offset:         180
        .size:           4
        .value_kind:     by_value
      - .offset:         184
        .size:           4
        .value_kind:     by_value
      - .offset:         188
        .size:           4
        .value_kind:     by_value
      - .offset:         192
        .size:           1
        .value_kind:     by_value
      - .offset:         193
        .size:           1
        .value_kind:     by_value
      - .offset:         194
        .size:           1
        .value_kind:     by_value
    .group_segment_fixed_size: 41480
    .kernarg_segment_align: 8
    .kernarg_segment_size: 196
    .language:       OpenCL C
    .language_version:
      - 2
      - 0
    .max_flat_workgroup_size: 256
    .name:           _ZN9rocsparseL38bsrgemm_block_per_row_atomic_multipassILj256ELj128ELj4Ell21rocsparse_complex_numIdEEEv20rocsparse_direction_T3_S4_PKS4_S6_NS_24const_host_device_scalarIT4_EEPKT2_S6_PKS8_SC_S6_SE_S9_SC_S6_SE_SC_PS4_PS8_PSA_21rocsparse_index_base_SI_SI_SI_bbb
    .private_segment_fixed_size: 0
    .sgpr_count:     68
    .sgpr_spill_count: 0
    .symbol:         _ZN9rocsparseL38bsrgemm_block_per_row_atomic_multipassILj256ELj128ELj4Ell21rocsparse_complex_numIdEEEv20rocsparse_direction_T3_S4_PKS4_S6_NS_24const_host_device_scalarIT4_EEPKT2_S6_PKS8_SC_S6_SE_S9_SC_S6_SE_SC_PS4_PS8_PSA_21rocsparse_index_base_SI_SI_SI_bbb.kd
    .uniform_work_group_size: 1
    .uses_dynamic_stack: false
    .vgpr_count:     81
    .vgpr_spill_count: 0
    .wavefront_size: 32
    .workgroup_processor_mode: 1
  - .args:
      - .offset:         0
        .size:           4
        .value_kind:     by_value
      - .offset:         8
        .size:           8
        .value_kind:     by_value
      - .offset:         16
        .size:           8
        .value_kind:     by_value
      - .offset:         24
        .size:           8
        .value_kind:     by_value
      - .actual_access:  read_only
        .address_space:  global
        .offset:         32
        .size:           8
        .value_kind:     global_buffer
      - .actual_access:  read_only
        .address_space:  global
        .offset:         40
        .size:           8
        .value_kind:     global_buffer
      - .offset:         48
        .size:           16
        .value_kind:     by_value
      - .actual_access:  read_only
        .address_space:  global
        .offset:         64
        .size:           8
        .value_kind:     global_buffer
      - .actual_access:  read_only
        .address_space:  global
        .offset:         72
        .size:           8
        .value_kind:     global_buffer
      - .actual_access:  read_only
        .address_space:  global
        .offset:         80
        .size:           8
        .value_kind:     global_buffer
      - .actual_access:  read_only
        .address_space:  global
        .offset:         88
        .size:           8
        .value_kind:     global_buffer
      - .actual_access:  read_only
        .address_space:  global
        .offset:         96
        .size:           8
        .value_kind:     global_buffer
      - .actual_access:  read_only
        .address_space:  global
        .offset:         104
        .size:           8
        .value_kind:     global_buffer
      - .offset:         112
        .size:           16
        .value_kind:     by_value
      - .actual_access:  read_only
        .address_space:  global
        .offset:         128
        .size:           8
        .value_kind:     global_buffer
      - .actual_access:  read_only
        .address_space:  global
        .offset:         136
        .size:           8
        .value_kind:     global_buffer
      - .actual_access:  read_only
        .address_space:  global
        .offset:         144
        .size:           8
        .value_kind:     global_buffer
      - .actual_access:  read_only
        .address_space:  global
        .offset:         152
        .size:           8
        .value_kind:     global_buffer
      - .actual_access:  write_only
        .address_space:  global
        .offset:         160
        .size:           8
        .value_kind:     global_buffer
      - .actual_access:  write_only
        .address_space:  global
        .offset:         168
        .size:           8
        .value_kind:     global_buffer
      - .offset:         176
        .size:           4
        .value_kind:     by_value
      - .offset:         180
        .size:           4
        .value_kind:     by_value
      - .offset:         184
        .size:           4
        .value_kind:     by_value
      - .offset:         188
        .size:           4
        .value_kind:     by_value
      - .offset:         192
        .size:           1
        .value_kind:     by_value
      - .offset:         193
        .size:           1
        .value_kind:     by_value
      - .offset:         194
        .size:           1
        .value_kind:     by_value
    .group_segment_fixed_size: 37120
    .kernarg_segment_align: 8
    .kernarg_segment_size: 196
    .language:       OpenCL C
    .language_version:
      - 2
      - 0
    .max_flat_workgroup_size: 256
    .name:           _ZN9rocsparseL23bsrgemm_fill_wf_per_rowILj256ELj64ELj8ELj137ELj8Ell21rocsparse_complex_numIdEEEv20rocsparse_direction_T5_S4_S4_PKS4_S6_NS_24const_host_device_scalarIT6_EEPKT4_S6_PKS8_SC_S6_SE_S9_SC_S6_SE_SC_PS4_PS8_21rocsparse_index_base_SH_SH_SH_bbb
    .private_segment_fixed_size: 0
    .sgpr_count:     53
    .sgpr_spill_count: 0
    .symbol:         _ZN9rocsparseL23bsrgemm_fill_wf_per_rowILj256ELj64ELj8ELj137ELj8Ell21rocsparse_complex_numIdEEEv20rocsparse_direction_T5_S4_S4_PKS4_S6_NS_24const_host_device_scalarIT6_EEPKT4_S6_PKS8_SC_S6_SE_S9_SC_S6_SE_SC_PS4_PS8_21rocsparse_index_base_SH_SH_SH_bbb.kd
    .uniform_work_group_size: 1
    .uses_dynamic_stack: false
    .vgpr_count:     57
    .vgpr_spill_count: 0
    .wavefront_size: 32
    .workgroup_processor_mode: 1
  - .args:
      - .offset:         0
        .size:           4
        .value_kind:     by_value
      - .offset:         8
        .size:           8
        .value_kind:     by_value
      - .offset:         16
        .size:           8
        .value_kind:     by_value
      - .actual_access:  read_only
        .address_space:  global
        .offset:         24
        .size:           8
        .value_kind:     global_buffer
      - .actual_access:  read_only
        .address_space:  global
        .offset:         32
        .size:           8
        .value_kind:     global_buffer
      - .offset:         40
        .size:           16
        .value_kind:     by_value
      - .actual_access:  read_only
        .address_space:  global
        .offset:         56
        .size:           8
        .value_kind:     global_buffer
      - .actual_access:  read_only
        .address_space:  global
        .offset:         64
        .size:           8
        .value_kind:     global_buffer
      - .actual_access:  read_only
        .address_space:  global
        .offset:         72
        .size:           8
        .value_kind:     global_buffer
      - .actual_access:  read_only
        .address_space:  global
        .offset:         80
        .size:           8
        .value_kind:     global_buffer
      - .actual_access:  read_only
        .address_space:  global
        .offset:         88
        .size:           8
        .value_kind:     global_buffer
      - .actual_access:  read_only
        .address_space:  global
        .offset:         96
        .size:           8
        .value_kind:     global_buffer
      - .offset:         104
        .size:           16
        .value_kind:     by_value
      - .actual_access:  read_only
        .address_space:  global
        .offset:         120
        .size:           8
        .value_kind:     global_buffer
      - .actual_access:  read_only
        .address_space:  global
        .offset:         128
        .size:           8
        .value_kind:     global_buffer
      - .actual_access:  read_only
        .address_space:  global
        .offset:         136
        .size:           8
        .value_kind:     global_buffer
      - .actual_access:  read_only
        .address_space:  global
        .offset:         144
        .size:           8
        .value_kind:     global_buffer
      - .actual_access:  write_only
        .address_space:  global
        .offset:         152
        .size:           8
        .value_kind:     global_buffer
      - .actual_access:  write_only
        .address_space:  global
        .offset:         160
        .size:           8
        .value_kind:     global_buffer
      - .address_space:  global
        .offset:         168
        .size:           8
        .value_kind:     global_buffer
      - .offset:         176
        .size:           4
        .value_kind:     by_value
      - .offset:         180
        .size:           4
        .value_kind:     by_value
      - .offset:         184
        .size:           4
        .value_kind:     by_value
      - .offset:         188
        .size:           4
        .value_kind:     by_value
      - .offset:         192
        .size:           1
        .value_kind:     by_value
      - .offset:         193
        .size:           1
        .value_kind:     by_value
      - .offset:         194
        .size:           1
        .value_kind:     by_value
    .group_segment_fixed_size: 20552
    .kernarg_segment_align: 8
    .kernarg_segment_size: 196
    .language:       OpenCL C
    .language_version:
      - 2
      - 0
    .max_flat_workgroup_size: 256
    .name:           _ZN9rocsparseL38bsrgemm_block_per_row_atomic_multipassILj256ELj16ELj8Ell21rocsparse_complex_numIdEEEv20rocsparse_direction_T3_S4_PKS4_S6_NS_24const_host_device_scalarIT4_EEPKT2_S6_PKS8_SC_S6_SE_S9_SC_S6_SE_SC_PS4_PS8_PSA_21rocsparse_index_base_SI_SI_SI_bbb
    .private_segment_fixed_size: 24
    .sgpr_count:     64
    .sgpr_spill_count: 0
    .symbol:         _ZN9rocsparseL38bsrgemm_block_per_row_atomic_multipassILj256ELj16ELj8Ell21rocsparse_complex_numIdEEEv20rocsparse_direction_T3_S4_PKS4_S6_NS_24const_host_device_scalarIT4_EEPKT2_S6_PKS8_SC_S6_SE_S9_SC_S6_SE_SC_PS4_PS8_PSA_21rocsparse_index_base_SI_SI_SI_bbb.kd
    .uniform_work_group_size: 1
    .uses_dynamic_stack: false
    .vgpr_count:     77
    .vgpr_spill_count: 0
    .wavefront_size: 32
    .workgroup_processor_mode: 1
  - .args:
      - .offset:         0
        .size:           4
        .value_kind:     by_value
      - .offset:         8
        .size:           8
        .value_kind:     by_value
      - .offset:         16
        .size:           8
        .value_kind:     by_value
      - .actual_access:  read_only
        .address_space:  global
        .offset:         24
        .size:           8
        .value_kind:     global_buffer
      - .actual_access:  read_only
        .address_space:  global
        .offset:         32
        .size:           8
        .value_kind:     global_buffer
      - .offset:         40
        .size:           16
        .value_kind:     by_value
      - .actual_access:  read_only
        .address_space:  global
        .offset:         56
        .size:           8
        .value_kind:     global_buffer
      - .actual_access:  read_only
        .address_space:  global
        .offset:         64
        .size:           8
        .value_kind:     global_buffer
      - .actual_access:  read_only
        .address_space:  global
        .offset:         72
        .size:           8
        .value_kind:     global_buffer
      - .actual_access:  read_only
        .address_space:  global
        .offset:         80
        .size:           8
        .value_kind:     global_buffer
      - .actual_access:  read_only
        .address_space:  global
        .offset:         88
        .size:           8
        .value_kind:     global_buffer
      - .actual_access:  read_only
        .address_space:  global
        .offset:         96
        .size:           8
        .value_kind:     global_buffer
      - .offset:         104
        .size:           16
        .value_kind:     by_value
      - .actual_access:  read_only
        .address_space:  global
        .offset:         120
        .size:           8
        .value_kind:     global_buffer
      - .actual_access:  read_only
        .address_space:  global
        .offset:         128
        .size:           8
        .value_kind:     global_buffer
      - .actual_access:  read_only
        .address_space:  global
        .offset:         136
        .size:           8
        .value_kind:     global_buffer
      - .actual_access:  read_only
        .address_space:  global
        .offset:         144
        .size:           8
        .value_kind:     global_buffer
      - .actual_access:  write_only
        .address_space:  global
        .offset:         152
        .size:           8
        .value_kind:     global_buffer
      - .actual_access:  write_only
        .address_space:  global
        .offset:         160
        .size:           8
        .value_kind:     global_buffer
      - .address_space:  global
        .offset:         168
        .size:           8
        .value_kind:     global_buffer
      - .offset:         176
        .size:           4
        .value_kind:     by_value
      - .offset:         180
        .size:           4
        .value_kind:     by_value
      - .offset:         184
        .size:           4
        .value_kind:     by_value
      - .offset:         188
        .size:           4
        .value_kind:     by_value
      - .offset:         192
        .size:           1
        .value_kind:     by_value
      - .offset:         193
        .size:           1
        .value_kind:     by_value
      - .offset:         194
        .size:           1
        .value_kind:     by_value
    .group_segment_fixed_size: 41096
    .kernarg_segment_align: 8
    .kernarg_segment_size: 196
    .language:       OpenCL C
    .language_version:
      - 2
      - 0
    .max_flat_workgroup_size: 256
    .name:           _ZN9rocsparseL38bsrgemm_block_per_row_atomic_multipassILj256ELj32ELj8Ell21rocsparse_complex_numIdEEEv20rocsparse_direction_T3_S4_PKS4_S6_NS_24const_host_device_scalarIT4_EEPKT2_S6_PKS8_SC_S6_SE_S9_SC_S6_SE_SC_PS4_PS8_PSA_21rocsparse_index_base_SI_SI_SI_bbb
    .private_segment_fixed_size: 0
    .sgpr_count:     70
    .sgpr_spill_count: 0
    .symbol:         _ZN9rocsparseL38bsrgemm_block_per_row_atomic_multipassILj256ELj32ELj8Ell21rocsparse_complex_numIdEEEv20rocsparse_direction_T3_S4_PKS4_S6_NS_24const_host_device_scalarIT4_EEPKT2_S6_PKS8_SC_S6_SE_S9_SC_S6_SE_SC_PS4_PS8_PSA_21rocsparse_index_base_SI_SI_SI_bbb.kd
    .uniform_work_group_size: 1
    .uses_dynamic_stack: false
    .vgpr_count:     79
    .vgpr_spill_count: 0
    .wavefront_size: 32
    .workgroup_processor_mode: 1
  - .args:
      - .offset:         0
        .size:           4
        .value_kind:     by_value
      - .offset:         8
        .size:           8
        .value_kind:     by_value
      - .offset:         16
        .size:           8
        .value_kind:     by_value
      - .actual_access:  read_only
        .address_space:  global
        .offset:         24
        .size:           8
        .value_kind:     global_buffer
      - .actual_access:  read_only
        .address_space:  global
        .offset:         32
        .size:           8
        .value_kind:     global_buffer
      - .offset:         40
        .size:           16
        .value_kind:     by_value
      - .actual_access:  read_only
        .address_space:  global
        .offset:         56
        .size:           8
        .value_kind:     global_buffer
      - .actual_access:  read_only
        .address_space:  global
        .offset:         64
        .size:           8
        .value_kind:     global_buffer
      - .actual_access:  read_only
        .address_space:  global
        .offset:         72
        .size:           8
        .value_kind:     global_buffer
      - .actual_access:  read_only
        .address_space:  global
        .offset:         80
        .size:           8
        .value_kind:     global_buffer
      - .actual_access:  read_only
        .address_space:  global
        .offset:         88
        .size:           8
        .value_kind:     global_buffer
      - .actual_access:  read_only
        .address_space:  global
        .offset:         96
        .size:           8
        .value_kind:     global_buffer
      - .offset:         104
        .size:           16
        .value_kind:     by_value
      - .actual_access:  read_only
        .address_space:  global
        .offset:         120
        .size:           8
        .value_kind:     global_buffer
      - .actual_access:  read_only
        .address_space:  global
        .offset:         128
        .size:           8
        .value_kind:     global_buffer
      - .actual_access:  read_only
        .address_space:  global
        .offset:         136
        .size:           8
        .value_kind:     global_buffer
      - .actual_access:  read_only
        .address_space:  global
        .offset:         144
        .size:           8
        .value_kind:     global_buffer
      - .actual_access:  write_only
        .address_space:  global
        .offset:         152
        .size:           8
        .value_kind:     global_buffer
      - .actual_access:  write_only
        .address_space:  global
        .offset:         160
        .size:           8
        .value_kind:     global_buffer
      - .address_space:  global
        .offset:         168
        .size:           8
        .value_kind:     global_buffer
      - .offset:         176
        .size:           4
        .value_kind:     by_value
      - .offset:         180
        .size:           4
        .value_kind:     by_value
      - .offset:         184
        .size:           4
        .value_kind:     by_value
      - .offset:         188
        .size:           4
        .value_kind:     by_value
      - .offset:         192
        .size:           1
        .value_kind:     by_value
      - .offset:         193
        .size:           1
        .value_kind:     by_value
      - .offset:         194
        .size:           1
        .value_kind:     by_value
    .group_segment_fixed_size: 36872
    .kernarg_segment_align: 8
    .kernarg_segment_size: 196
    .language:       OpenCL C
    .language_version:
      - 2
      - 0
    .max_flat_workgroup_size: 256
    .name:           _ZN9rocsparseL31bsrgemm_block_per_row_multipassILj256ELj8ELj16Ell21rocsparse_complex_numIdEEEv20rocsparse_direction_T3_S4_PKS4_S6_NS_24const_host_device_scalarIT4_EEPKT2_S6_PKS8_SC_S6_SE_S9_SC_S6_SE_SC_PS4_PS8_PSA_21rocsparse_index_base_SI_SI_SI_bbb
    .private_segment_fixed_size: 0
    .sgpr_count:     75
    .sgpr_spill_count: 0
    .symbol:         _ZN9rocsparseL31bsrgemm_block_per_row_multipassILj256ELj8ELj16Ell21rocsparse_complex_numIdEEEv20rocsparse_direction_T3_S4_PKS4_S6_NS_24const_host_device_scalarIT4_EEPKT2_S6_PKS8_SC_S6_SE_S9_SC_S6_SE_SC_PS4_PS8_PSA_21rocsparse_index_base_SI_SI_SI_bbb.kd
    .uniform_work_group_size: 1
    .uses_dynamic_stack: false
    .vgpr_count:     66
    .vgpr_spill_count: 0
    .wavefront_size: 32
    .workgroup_processor_mode: 1
  - .args:
      - .offset:         0
        .size:           4
        .value_kind:     by_value
      - .offset:         8
        .size:           8
        .value_kind:     by_value
      - .offset:         16
        .size:           8
        .value_kind:     by_value
      - .actual_access:  read_only
        .address_space:  global
        .offset:         24
        .size:           8
        .value_kind:     global_buffer
      - .actual_access:  read_only
        .address_space:  global
        .offset:         32
        .size:           8
        .value_kind:     global_buffer
      - .offset:         40
        .size:           16
        .value_kind:     by_value
      - .actual_access:  read_only
        .address_space:  global
        .offset:         56
        .size:           8
        .value_kind:     global_buffer
      - .actual_access:  read_only
        .address_space:  global
        .offset:         64
        .size:           8
        .value_kind:     global_buffer
      - .actual_access:  read_only
        .address_space:  global
        .offset:         72
        .size:           8
        .value_kind:     global_buffer
      - .actual_access:  read_only
        .address_space:  global
        .offset:         80
        .size:           8
        .value_kind:     global_buffer
      - .actual_access:  read_only
        .address_space:  global
        .offset:         88
        .size:           8
        .value_kind:     global_buffer
      - .actual_access:  read_only
        .address_space:  global
        .offset:         96
        .size:           8
        .value_kind:     global_buffer
      - .offset:         104
        .size:           16
        .value_kind:     by_value
      - .actual_access:  read_only
        .address_space:  global
        .offset:         120
        .size:           8
        .value_kind:     global_buffer
      - .actual_access:  read_only
        .address_space:  global
        .offset:         128
        .size:           8
        .value_kind:     global_buffer
      - .actual_access:  read_only
        .address_space:  global
        .offset:         136
        .size:           8
        .value_kind:     global_buffer
      - .actual_access:  read_only
        .address_space:  global
        .offset:         144
        .size:           8
        .value_kind:     global_buffer
      - .actual_access:  write_only
        .address_space:  global
        .offset:         152
        .size:           8
        .value_kind:     global_buffer
      - .actual_access:  write_only
        .address_space:  global
        .offset:         160
        .size:           8
        .value_kind:     global_buffer
      - .address_space:  global
        .offset:         168
        .size:           8
        .value_kind:     global_buffer
      - .offset:         176
        .size:           4
        .value_kind:     by_value
      - .offset:         180
        .size:           4
        .value_kind:     by_value
      - .offset:         184
        .size:           4
        .value_kind:     by_value
      - .offset:         188
        .size:           4
        .value_kind:     by_value
      - .offset:         192
        .size:           1
        .value_kind:     by_value
      - .offset:         193
        .size:           1
        .value_kind:     by_value
      - .offset:         194
        .size:           1
        .value_kind:     by_value
    .group_segment_fixed_size: 36872
    .kernarg_segment_align: 8
    .kernarg_segment_size: 196
    .language:       OpenCL C
    .language_version:
      - 2
      - 0
    .max_flat_workgroup_size: 256
    .name:           _ZN9rocsparseL31bsrgemm_block_per_row_multipassILj256ELj2ELj32Ell21rocsparse_complex_numIdEEEv20rocsparse_direction_T3_S4_PKS4_S6_NS_24const_host_device_scalarIT4_EEPKT2_S6_PKS8_SC_S6_SE_S9_SC_S6_SE_SC_PS4_PS8_PSA_21rocsparse_index_base_SI_SI_SI_bbb
    .private_segment_fixed_size: 0
    .sgpr_count:     81
    .sgpr_spill_count: 0
    .symbol:         _ZN9rocsparseL31bsrgemm_block_per_row_multipassILj256ELj2ELj32Ell21rocsparse_complex_numIdEEEv20rocsparse_direction_T3_S4_PKS4_S6_NS_24const_host_device_scalarIT4_EEPKT2_S6_PKS8_SC_S6_SE_S9_SC_S6_SE_SC_PS4_PS8_PSA_21rocsparse_index_base_SI_SI_SI_bbb.kd
    .uniform_work_group_size: 1
    .uses_dynamic_stack: false
    .vgpr_count:     96
    .vgpr_spill_count: 0
    .wavefront_size: 32
    .workgroup_processor_mode: 1
  - .args:
      - .offset:         0
        .size:           4
        .value_kind:     by_value
      - .actual_access:  read_only
        .address_space:  global
        .offset:         8
        .size:           8
        .value_kind:     global_buffer
      - .actual_access:  write_only
        .address_space:  global
        .offset:         16
        .size:           8
        .value_kind:     global_buffer
      - .offset:         24
        .size:           4
        .value_kind:     hidden_block_count_x
      - .offset:         28
        .size:           4
        .value_kind:     hidden_block_count_y
      - .offset:         32
        .size:           4
        .value_kind:     hidden_block_count_z
      - .offset:         36
        .size:           2
        .value_kind:     hidden_group_size_x
      - .offset:         38
        .size:           2
        .value_kind:     hidden_group_size_y
      - .offset:         40
        .size:           2
        .value_kind:     hidden_group_size_z
      - .offset:         42
        .size:           2
        .value_kind:     hidden_remainder_x
      - .offset:         44
        .size:           2
        .value_kind:     hidden_remainder_y
      - .offset:         46
        .size:           2
        .value_kind:     hidden_remainder_z
      - .offset:         64
        .size:           8
        .value_kind:     hidden_global_offset_x
      - .offset:         72
        .size:           8
        .value_kind:     hidden_global_offset_y
      - .offset:         80
        .size:           8
        .value_kind:     hidden_global_offset_z
      - .offset:         88
        .size:           2
        .value_kind:     hidden_grid_dims
    .group_segment_fixed_size: 1024
    .kernarg_segment_align: 8
    .kernarg_segment_size: 280
    .language:       OpenCL C
    .language_version:
      - 2
      - 0
    .max_flat_workgroup_size: 256
    .name:           _ZN9rocsparseL25csrgemm_max_row_nnz_part1ILj256EliEEvT1_PKT0_PS1_
    .private_segment_fixed_size: 0
    .sgpr_count:     18
    .sgpr_spill_count: 0
    .symbol:         _ZN9rocsparseL25csrgemm_max_row_nnz_part1ILj256EliEEvT1_PKT0_PS1_.kd
    .uniform_work_group_size: 1
    .uses_dynamic_stack: false
    .vgpr_count:     8
    .vgpr_spill_count: 0
    .wavefront_size: 32
    .workgroup_processor_mode: 1
  - .args:
      - .offset:         0
        .size:           4
        .value_kind:     by_value
      - .actual_access:  read_only
        .address_space:  global
        .offset:         8
        .size:           8
        .value_kind:     global_buffer
      - .actual_access:  write_only
        .address_space:  global
        .offset:         16
        .size:           8
        .value_kind:     global_buffer
      - .actual_access:  write_only
        .address_space:  global
        .offset:         24
        .size:           8
        .value_kind:     global_buffer
      - .offset:         32
        .size:           4
        .value_kind:     hidden_block_count_x
      - .offset:         36
        .size:           4
        .value_kind:     hidden_block_count_y
      - .offset:         40
        .size:           4
        .value_kind:     hidden_block_count_z
      - .offset:         44
        .size:           2
        .value_kind:     hidden_group_size_x
      - .offset:         46
        .size:           2
        .value_kind:     hidden_group_size_y
      - .offset:         48
        .size:           2
        .value_kind:     hidden_group_size_z
      - .offset:         50
        .size:           2
        .value_kind:     hidden_remainder_x
      - .offset:         52
        .size:           2
        .value_kind:     hidden_remainder_y
      - .offset:         54
        .size:           2
        .value_kind:     hidden_remainder_z
      - .offset:         72
        .size:           8
        .value_kind:     hidden_global_offset_x
      - .offset:         80
        .size:           8
        .value_kind:     hidden_global_offset_y
      - .offset:         88
        .size:           8
        .value_kind:     hidden_global_offset_z
      - .offset:         96
        .size:           2
        .value_kind:     hidden_grid_dims
    .group_segment_fixed_size: 8192
    .kernarg_segment_align: 8
    .kernarg_segment_size: 288
    .language:       OpenCL C
    .language_version:
      - 2
      - 0
    .max_flat_workgroup_size: 256
    .name:           _ZN9rocsparseL26bsrgemm_group_reduce_part2ILj256ELj8ELj2EfliEEvT4_PKT3_PS1_Pi
    .private_segment_fixed_size: 0
    .sgpr_count:     20
    .sgpr_spill_count: 0
    .symbol:         _ZN9rocsparseL26bsrgemm_group_reduce_part2ILj256ELj8ELj2EfliEEvT4_PKT3_PS1_Pi.kd
    .uniform_work_group_size: 1
    .uses_dynamic_stack: false
    .vgpr_count:     18
    .vgpr_spill_count: 0
    .wavefront_size: 32
    .workgroup_processor_mode: 1
  - .args:
      - .offset:         0
        .size:           4
        .value_kind:     by_value
      - .actual_access:  read_only
        .address_space:  global
        .offset:         8
        .size:           8
        .value_kind:     global_buffer
      - .actual_access:  write_only
        .address_space:  global
        .offset:         16
        .size:           8
        .value_kind:     global_buffer
      - .actual_access:  write_only
        .address_space:  global
        .offset:         24
        .size:           8
        .value_kind:     global_buffer
      - .offset:         32
        .size:           4
        .value_kind:     hidden_block_count_x
      - .offset:         36
        .size:           4
        .value_kind:     hidden_block_count_y
      - .offset:         40
        .size:           4
        .value_kind:     hidden_block_count_z
      - .offset:         44
        .size:           2
        .value_kind:     hidden_group_size_x
      - .offset:         46
        .size:           2
        .value_kind:     hidden_group_size_y
      - .offset:         48
        .size:           2
        .value_kind:     hidden_group_size_z
      - .offset:         50
        .size:           2
        .value_kind:     hidden_remainder_x
      - .offset:         52
        .size:           2
        .value_kind:     hidden_remainder_y
      - .offset:         54
        .size:           2
        .value_kind:     hidden_remainder_z
      - .offset:         72
        .size:           8
        .value_kind:     hidden_global_offset_x
      - .offset:         80
        .size:           8
        .value_kind:     hidden_global_offset_y
      - .offset:         88
        .size:           8
        .value_kind:     hidden_global_offset_z
      - .offset:         96
        .size:           2
        .value_kind:     hidden_grid_dims
    .group_segment_fixed_size: 8192
    .kernarg_segment_align: 8
    .kernarg_segment_size: 288
    .language:       OpenCL C
    .language_version:
      - 2
      - 0
    .max_flat_workgroup_size: 256
    .name:           _ZN9rocsparseL26bsrgemm_group_reduce_part2ILj256ELj8ELj8EfliEEvT4_PKT3_PS1_Pi
    .private_segment_fixed_size: 0
    .sgpr_count:     20
    .sgpr_spill_count: 0
    .symbol:         _ZN9rocsparseL26bsrgemm_group_reduce_part2ILj256ELj8ELj8EfliEEvT4_PKT3_PS1_Pi.kd
    .uniform_work_group_size: 1
    .uses_dynamic_stack: false
    .vgpr_count:     18
    .vgpr_spill_count: 0
    .wavefront_size: 32
    .workgroup_processor_mode: 1
  - .args:
      - .offset:         0
        .size:           4
        .value_kind:     by_value
      - .offset:         4
        .size:           4
        .value_kind:     by_value
      - .offset:         8
        .size:           4
        .value_kind:     by_value
      - .actual_access:  read_only
        .address_space:  global
        .offset:         16
        .size:           8
        .value_kind:     global_buffer
      - .actual_access:  read_only
        .address_space:  global
        .offset:         24
        .size:           8
        .value_kind:     global_buffer
      - .offset:         32
        .size:           8
        .value_kind:     by_value
      - .actual_access:  read_only
        .address_space:  global
        .offset:         40
        .size:           8
        .value_kind:     global_buffer
      - .actual_access:  read_only
        .address_space:  global
        .offset:         48
        .size:           8
        .value_kind:     global_buffer
      - .actual_access:  read_only
        .address_space:  global
        .offset:         56
        .size:           8
        .value_kind:     global_buffer
      - .actual_access:  read_only
        .address_space:  global
        .offset:         64
        .size:           8
        .value_kind:     global_buffer
      - .actual_access:  read_only
        .address_space:  global
        .offset:         72
        .size:           8
        .value_kind:     global_buffer
      - .actual_access:  read_only
        .address_space:  global
        .offset:         80
        .size:           8
        .value_kind:     global_buffer
      - .offset:         88
        .size:           8
        .value_kind:     by_value
      - .actual_access:  read_only
        .address_space:  global
        .offset:         96
        .size:           8
        .value_kind:     global_buffer
      - .actual_access:  read_only
        .address_space:  global
        .offset:         104
        .size:           8
        .value_kind:     global_buffer
      - .actual_access:  read_only
        .address_space:  global
        .offset:         112
        .size:           8
        .value_kind:     global_buffer
      - .actual_access:  read_only
        .address_space:  global
        .offset:         120
        .size:           8
        .value_kind:     global_buffer
      - .actual_access:  write_only
        .address_space:  global
        .offset:         128
        .size:           8
        .value_kind:     global_buffer
      - .actual_access:  write_only
        .address_space:  global
        .offset:         136
        .size:           8
        .value_kind:     global_buffer
      - .offset:         144
        .size:           4
        .value_kind:     by_value
      - .offset:         148
        .size:           4
        .value_kind:     by_value
      - .offset:         152
        .size:           4
        .value_kind:     by_value
      - .offset:         156
        .size:           4
        .value_kind:     by_value
      - .offset:         160
        .size:           1
        .value_kind:     by_value
      - .offset:         161
        .size:           1
        .value_kind:     by_value
      - .offset:         162
        .size:           1
        .value_kind:     by_value
    .group_segment_fixed_size: 2560
    .kernarg_segment_align: 8
    .kernarg_segment_size: 164
    .language:       OpenCL C
    .language_version:
      - 2
      - 0
    .max_flat_workgroup_size: 256
    .name:           _ZN9rocsparseL27bsrgemm_fill_wf_per_row_2x2ILj256ELj16ELj8ELj137ElifEEv20rocsparse_direction_T4_S2_PKS2_S4_NS_24const_host_device_scalarIT5_EEPKT3_S4_PKS6_SA_S4_SC_S7_SA_S4_SC_SA_PS2_PS6_21rocsparse_index_base_SF_SF_SF_bbb
    .private_segment_fixed_size: 0
    .sgpr_count:     50
    .sgpr_spill_count: 0
    .symbol:         _ZN9rocsparseL27bsrgemm_fill_wf_per_row_2x2ILj256ELj16ELj8ELj137ElifEEv20rocsparse_direction_T4_S2_PKS2_S4_NS_24const_host_device_scalarIT5_EEPKT3_S4_PKS6_SA_S4_SC_S7_SA_S4_SC_SA_PS2_PS6_21rocsparse_index_base_SF_SF_SF_bbb.kd
    .uniform_work_group_size: 1
    .uses_dynamic_stack: false
    .vgpr_count:     33
    .vgpr_spill_count: 0
    .wavefront_size: 32
    .workgroup_processor_mode: 1
  - .args:
      - .offset:         0
        .size:           4
        .value_kind:     by_value
      - .offset:         4
        .size:           4
        .value_kind:     by_value
      - .offset:         8
        .size:           4
        .value_kind:     by_value
      - .actual_access:  read_only
        .address_space:  global
        .offset:         16
        .size:           8
        .value_kind:     global_buffer
      - .actual_access:  read_only
        .address_space:  global
        .offset:         24
        .size:           8
        .value_kind:     global_buffer
      - .offset:         32
        .size:           8
        .value_kind:     by_value
      - .actual_access:  read_only
        .address_space:  global
        .offset:         40
        .size:           8
        .value_kind:     global_buffer
      - .actual_access:  read_only
        .address_space:  global
        .offset:         48
        .size:           8
        .value_kind:     global_buffer
      - .actual_access:  read_only
        .address_space:  global
        .offset:         56
        .size:           8
        .value_kind:     global_buffer
      - .actual_access:  read_only
        .address_space:  global
        .offset:         64
        .size:           8
        .value_kind:     global_buffer
      - .actual_access:  read_only
        .address_space:  global
        .offset:         72
        .size:           8
        .value_kind:     global_buffer
      - .actual_access:  read_only
        .address_space:  global
        .offset:         80
        .size:           8
        .value_kind:     global_buffer
      - .offset:         88
        .size:           8
        .value_kind:     by_value
      - .actual_access:  read_only
        .address_space:  global
        .offset:         96
        .size:           8
        .value_kind:     global_buffer
      - .actual_access:  read_only
        .address_space:  global
        .offset:         104
        .size:           8
        .value_kind:     global_buffer
      - .actual_access:  read_only
        .address_space:  global
        .offset:         112
        .size:           8
        .value_kind:     global_buffer
      - .actual_access:  read_only
        .address_space:  global
        .offset:         120
        .size:           8
        .value_kind:     global_buffer
      - .actual_access:  write_only
        .address_space:  global
        .offset:         128
        .size:           8
        .value_kind:     global_buffer
      - .actual_access:  write_only
        .address_space:  global
        .offset:         136
        .size:           8
        .value_kind:     global_buffer
      - .offset:         144
        .size:           4
        .value_kind:     by_value
      - .offset:         148
        .size:           4
        .value_kind:     by_value
      - .offset:         152
        .size:           4
        .value_kind:     by_value
      - .offset:         156
        .size:           4
        .value_kind:     by_value
      - .offset:         160
        .size:           1
        .value_kind:     by_value
      - .offset:         161
        .size:           1
        .value_kind:     by_value
      - .offset:         162
        .size:           1
        .value_kind:     by_value
    .group_segment_fixed_size: 5120
    .kernarg_segment_align: 8
    .kernarg_segment_size: 164
    .language:       OpenCL C
    .language_version:
      - 2
      - 0
    .max_flat_workgroup_size: 256
    .name:           _ZN9rocsparseL27bsrgemm_fill_wf_per_row_2x2ILj256ELj16ELj16ELj137ElifEEv20rocsparse_direction_T4_S2_PKS2_S4_NS_24const_host_device_scalarIT5_EEPKT3_S4_PKS6_SA_S4_SC_S7_SA_S4_SC_SA_PS2_PS6_21rocsparse_index_base_SF_SF_SF_bbb
    .private_segment_fixed_size: 0
    .sgpr_count:     46
    .sgpr_spill_count: 0
    .symbol:         _ZN9rocsparseL27bsrgemm_fill_wf_per_row_2x2ILj256ELj16ELj16ELj137ElifEEv20rocsparse_direction_T4_S2_PKS2_S4_NS_24const_host_device_scalarIT5_EEPKT3_S4_PKS6_SA_S4_SC_S7_SA_S4_SC_SA_PS2_PS6_21rocsparse_index_base_SF_SF_SF_bbb.kd
    .uniform_work_group_size: 1
    .uses_dynamic_stack: false
    .vgpr_count:     34
    .vgpr_spill_count: 0
    .wavefront_size: 32
    .workgroup_processor_mode: 1
  - .args:
      - .offset:         0
        .size:           4
        .value_kind:     by_value
      - .offset:         4
        .size:           4
        .value_kind:     by_value
      - .offset:         8
        .size:           4
        .value_kind:     by_value
      - .actual_access:  read_only
        .address_space:  global
        .offset:         16
        .size:           8
        .value_kind:     global_buffer
      - .actual_access:  read_only
        .address_space:  global
        .offset:         24
        .size:           8
        .value_kind:     global_buffer
      - .offset:         32
        .size:           8
        .value_kind:     by_value
      - .actual_access:  read_only
        .address_space:  global
        .offset:         40
        .size:           8
        .value_kind:     global_buffer
      - .actual_access:  read_only
        .address_space:  global
        .offset:         48
        .size:           8
        .value_kind:     global_buffer
      - .actual_access:  read_only
        .address_space:  global
        .offset:         56
        .size:           8
        .value_kind:     global_buffer
      - .actual_access:  read_only
        .address_space:  global
        .offset:         64
        .size:           8
        .value_kind:     global_buffer
      - .actual_access:  read_only
        .address_space:  global
        .offset:         72
        .size:           8
        .value_kind:     global_buffer
      - .actual_access:  read_only
        .address_space:  global
        .offset:         80
        .size:           8
        .value_kind:     global_buffer
      - .offset:         88
        .size:           8
        .value_kind:     by_value
      - .actual_access:  read_only
        .address_space:  global
        .offset:         96
        .size:           8
        .value_kind:     global_buffer
      - .actual_access:  read_only
        .address_space:  global
        .offset:         104
        .size:           8
        .value_kind:     global_buffer
      - .actual_access:  read_only
        .address_space:  global
        .offset:         112
        .size:           8
        .value_kind:     global_buffer
      - .actual_access:  read_only
        .address_space:  global
        .offset:         120
        .size:           8
        .value_kind:     global_buffer
      - .actual_access:  write_only
        .address_space:  global
        .offset:         128
        .size:           8
        .value_kind:     global_buffer
      - .actual_access:  write_only
        .address_space:  global
        .offset:         136
        .size:           8
        .value_kind:     global_buffer
      - .offset:         144
        .size:           4
        .value_kind:     by_value
      - .offset:         148
        .size:           4
        .value_kind:     by_value
      - .offset:         152
        .size:           4
        .value_kind:     by_value
      - .offset:         156
        .size:           4
        .value_kind:     by_value
      - .offset:         160
        .size:           1
        .value_kind:     by_value
      - .offset:         161
        .size:           1
        .value_kind:     by_value
      - .offset:         162
        .size:           1
        .value_kind:     by_value
    .group_segment_fixed_size: 10240
    .kernarg_segment_align: 8
    .kernarg_segment_size: 164
    .language:       OpenCL C
    .language_version:
      - 2
      - 0
    .max_flat_workgroup_size: 256
    .name:           _ZN9rocsparseL27bsrgemm_fill_wf_per_row_2x2ILj256ELj16ELj32ELj137ElifEEv20rocsparse_direction_T4_S2_PKS2_S4_NS_24const_host_device_scalarIT5_EEPKT3_S4_PKS6_SA_S4_SC_S7_SA_S4_SC_SA_PS2_PS6_21rocsparse_index_base_SF_SF_SF_bbb
    .private_segment_fixed_size: 0
    .sgpr_count:     46
    .sgpr_spill_count: 0
    .symbol:         _ZN9rocsparseL27bsrgemm_fill_wf_per_row_2x2ILj256ELj16ELj32ELj137ElifEEv20rocsparse_direction_T4_S2_PKS2_S4_NS_24const_host_device_scalarIT5_EEPKT3_S4_PKS6_SA_S4_SC_S7_SA_S4_SC_SA_PS2_PS6_21rocsparse_index_base_SF_SF_SF_bbb.kd
    .uniform_work_group_size: 1
    .uses_dynamic_stack: false
    .vgpr_count:     35
    .vgpr_spill_count: 0
    .wavefront_size: 32
    .workgroup_processor_mode: 1
  - .args:
      - .offset:         0
        .size:           4
        .value_kind:     by_value
      - .offset:         4
        .size:           4
        .value_kind:     by_value
      - .offset:         8
        .size:           4
        .value_kind:     by_value
      - .actual_access:  read_only
        .address_space:  global
        .offset:         16
        .size:           8
        .value_kind:     global_buffer
      - .actual_access:  read_only
        .address_space:  global
        .offset:         24
        .size:           8
        .value_kind:     global_buffer
      - .offset:         32
        .size:           8
        .value_kind:     by_value
      - .actual_access:  read_only
        .address_space:  global
        .offset:         40
        .size:           8
        .value_kind:     global_buffer
      - .actual_access:  read_only
        .address_space:  global
        .offset:         48
        .size:           8
        .value_kind:     global_buffer
      - .actual_access:  read_only
        .address_space:  global
        .offset:         56
        .size:           8
        .value_kind:     global_buffer
      - .actual_access:  read_only
        .address_space:  global
        .offset:         64
        .size:           8
        .value_kind:     global_buffer
      - .actual_access:  read_only
        .address_space:  global
        .offset:         72
        .size:           8
        .value_kind:     global_buffer
      - .actual_access:  read_only
        .address_space:  global
        .offset:         80
        .size:           8
        .value_kind:     global_buffer
      - .offset:         88
        .size:           8
        .value_kind:     by_value
      - .actual_access:  read_only
        .address_space:  global
        .offset:         96
        .size:           8
        .value_kind:     global_buffer
      - .actual_access:  read_only
        .address_space:  global
        .offset:         104
        .size:           8
        .value_kind:     global_buffer
      - .actual_access:  read_only
        .address_space:  global
        .offset:         112
        .size:           8
        .value_kind:     global_buffer
      - .actual_access:  read_only
        .address_space:  global
        .offset:         120
        .size:           8
        .value_kind:     global_buffer
      - .actual_access:  write_only
        .address_space:  global
        .offset:         128
        .size:           8
        .value_kind:     global_buffer
      - .actual_access:  write_only
        .address_space:  global
        .offset:         136
        .size:           8
        .value_kind:     global_buffer
      - .offset:         144
        .size:           4
        .value_kind:     by_value
      - .offset:         148
        .size:           4
        .value_kind:     by_value
      - .offset:         152
        .size:           4
        .value_kind:     by_value
      - .offset:         156
        .size:           4
        .value_kind:     by_value
      - .offset:         160
        .size:           1
        .value_kind:     by_value
      - .offset:         161
        .size:           1
        .value_kind:     by_value
      - .offset:         162
        .size:           1
        .value_kind:     by_value
    .group_segment_fixed_size: 0
    .kernarg_segment_align: 8
    .kernarg_segment_size: 164
    .language:       OpenCL C
    .language_version:
      - 2
      - 0
    .max_flat_workgroup_size: 256
    .name:           _ZN9rocsparseL30bsrgemm_fill_block_per_row_2x2ILj256ELj16ELj64ELj137ElifEEv20rocsparse_direction_T4_S2_PKS2_S4_NS_24const_host_device_scalarIT5_EEPKT3_S4_PKS6_SA_S4_SC_S7_SA_S4_SC_SA_PS2_PS6_21rocsparse_index_base_SF_SF_SF_bbb
    .private_segment_fixed_size: 0
    .sgpr_count:     40
    .sgpr_spill_count: 0
    .symbol:         _ZN9rocsparseL30bsrgemm_fill_block_per_row_2x2ILj256ELj16ELj64ELj137ElifEEv20rocsparse_direction_T4_S2_PKS2_S4_NS_24const_host_device_scalarIT5_EEPKT3_S4_PKS6_SA_S4_SC_S7_SA_S4_SC_SA_PS2_PS6_21rocsparse_index_base_SF_SF_SF_bbb.kd
    .uniform_work_group_size: 1
    .uses_dynamic_stack: false
    .vgpr_count:     28
    .vgpr_spill_count: 0
    .wavefront_size: 32
    .workgroup_processor_mode: 1
  - .args:
      - .offset:         0
        .size:           4
        .value_kind:     by_value
      - .offset:         4
        .size:           4
        .value_kind:     by_value
      - .offset:         8
        .size:           4
        .value_kind:     by_value
      - .actual_access:  read_only
        .address_space:  global
        .offset:         16
        .size:           8
        .value_kind:     global_buffer
      - .actual_access:  read_only
        .address_space:  global
        .offset:         24
        .size:           8
        .value_kind:     global_buffer
      - .offset:         32
        .size:           8
        .value_kind:     by_value
      - .actual_access:  read_only
        .address_space:  global
        .offset:         40
        .size:           8
        .value_kind:     global_buffer
      - .actual_access:  read_only
        .address_space:  global
        .offset:         48
        .size:           8
        .value_kind:     global_buffer
      - .actual_access:  read_only
        .address_space:  global
        .offset:         56
        .size:           8
        .value_kind:     global_buffer
      - .actual_access:  read_only
        .address_space:  global
        .offset:         64
        .size:           8
        .value_kind:     global_buffer
      - .actual_access:  read_only
        .address_space:  global
        .offset:         72
        .size:           8
        .value_kind:     global_buffer
      - .actual_access:  read_only
        .address_space:  global
        .offset:         80
        .size:           8
        .value_kind:     global_buffer
      - .offset:         88
        .size:           8
        .value_kind:     by_value
      - .actual_access:  read_only
        .address_space:  global
        .offset:         96
        .size:           8
        .value_kind:     global_buffer
      - .actual_access:  read_only
        .address_space:  global
        .offset:         104
        .size:           8
        .value_kind:     global_buffer
      - .actual_access:  read_only
        .address_space:  global
        .offset:         112
        .size:           8
        .value_kind:     global_buffer
      - .actual_access:  read_only
        .address_space:  global
        .offset:         120
        .size:           8
        .value_kind:     global_buffer
      - .actual_access:  write_only
        .address_space:  global
        .offset:         128
        .size:           8
        .value_kind:     global_buffer
      - .actual_access:  write_only
        .address_space:  global
        .offset:         136
        .size:           8
        .value_kind:     global_buffer
      - .offset:         144
        .size:           4
        .value_kind:     by_value
      - .offset:         148
        .size:           4
        .value_kind:     by_value
      - .offset:         152
        .size:           4
        .value_kind:     by_value
      - .offset:         156
        .size:           4
        .value_kind:     by_value
      - .offset:         160
        .size:           1
        .value_kind:     by_value
      - .offset:         161
        .size:           1
        .value_kind:     by_value
      - .offset:         162
        .size:           1
        .value_kind:     by_value
    .group_segment_fixed_size: 0
    .kernarg_segment_align: 8
    .kernarg_segment_size: 164
    .language:       OpenCL C
    .language_version:
      - 2
      - 0
    .max_flat_workgroup_size: 256
    .name:           _ZN9rocsparseL30bsrgemm_fill_block_per_row_2x2ILj256ELj16ELj128ELj137ElifEEv20rocsparse_direction_T4_S2_PKS2_S4_NS_24const_host_device_scalarIT5_EEPKT3_S4_PKS6_SA_S4_SC_S7_SA_S4_SC_SA_PS2_PS6_21rocsparse_index_base_SF_SF_SF_bbb
    .private_segment_fixed_size: 0
    .sgpr_count:     50
    .sgpr_spill_count: 0
    .symbol:         _ZN9rocsparseL30bsrgemm_fill_block_per_row_2x2ILj256ELj16ELj128ELj137ElifEEv20rocsparse_direction_T4_S2_PKS2_S4_NS_24const_host_device_scalarIT5_EEPKT3_S4_PKS6_SA_S4_SC_S7_SA_S4_SC_SA_PS2_PS6_21rocsparse_index_base_SF_SF_SF_bbb.kd
    .uniform_work_group_size: 1
    .uses_dynamic_stack: false
    .vgpr_count:     27
    .vgpr_spill_count: 0
    .wavefront_size: 32
    .workgroup_processor_mode: 1
  - .args:
      - .offset:         0
        .size:           4
        .value_kind:     by_value
      - .offset:         4
        .size:           4
        .value_kind:     by_value
      - .offset:         8
        .size:           4
        .value_kind:     by_value
      - .actual_access:  read_only
        .address_space:  global
        .offset:         16
        .size:           8
        .value_kind:     global_buffer
      - .actual_access:  read_only
        .address_space:  global
        .offset:         24
        .size:           8
        .value_kind:     global_buffer
      - .offset:         32
        .size:           8
        .value_kind:     by_value
      - .actual_access:  read_only
        .address_space:  global
        .offset:         40
        .size:           8
        .value_kind:     global_buffer
      - .actual_access:  read_only
        .address_space:  global
        .offset:         48
        .size:           8
        .value_kind:     global_buffer
      - .actual_access:  read_only
        .address_space:  global
        .offset:         56
        .size:           8
        .value_kind:     global_buffer
      - .actual_access:  read_only
        .address_space:  global
        .offset:         64
        .size:           8
        .value_kind:     global_buffer
      - .actual_access:  read_only
        .address_space:  global
        .offset:         72
        .size:           8
        .value_kind:     global_buffer
      - .actual_access:  read_only
        .address_space:  global
        .offset:         80
        .size:           8
        .value_kind:     global_buffer
      - .offset:         88
        .size:           8
        .value_kind:     by_value
      - .actual_access:  read_only
        .address_space:  global
        .offset:         96
        .size:           8
        .value_kind:     global_buffer
      - .actual_access:  read_only
        .address_space:  global
        .offset:         104
        .size:           8
        .value_kind:     global_buffer
      - .actual_access:  read_only
        .address_space:  global
        .offset:         112
        .size:           8
        .value_kind:     global_buffer
      - .actual_access:  read_only
        .address_space:  global
        .offset:         120
        .size:           8
        .value_kind:     global_buffer
      - .actual_access:  write_only
        .address_space:  global
        .offset:         128
        .size:           8
        .value_kind:     global_buffer
      - .actual_access:  write_only
        .address_space:  global
        .offset:         136
        .size:           8
        .value_kind:     global_buffer
      - .offset:         144
        .size:           4
        .value_kind:     by_value
      - .offset:         148
        .size:           4
        .value_kind:     by_value
      - .offset:         152
        .size:           4
        .value_kind:     by_value
      - .offset:         156
        .size:           4
        .value_kind:     by_value
      - .offset:         160
        .size:           1
        .value_kind:     by_value
      - .offset:         161
        .size:           1
        .value_kind:     by_value
      - .offset:         162
        .size:           1
        .value_kind:     by_value
    .group_segment_fixed_size: 0
    .kernarg_segment_align: 8
    .kernarg_segment_size: 164
    .language:       OpenCL C
    .language_version:
      - 2
      - 0
    .max_flat_workgroup_size: 256
    .name:           _ZN9rocsparseL30bsrgemm_fill_block_per_row_2x2ILj256ELj16ELj256ELj137ElifEEv20rocsparse_direction_T4_S2_PKS2_S4_NS_24const_host_device_scalarIT5_EEPKT3_S4_PKS6_SA_S4_SC_S7_SA_S4_SC_SA_PS2_PS6_21rocsparse_index_base_SF_SF_SF_bbb
    .private_segment_fixed_size: 0
    .sgpr_count:     50
    .sgpr_spill_count: 0
    .symbol:         _ZN9rocsparseL30bsrgemm_fill_block_per_row_2x2ILj256ELj16ELj256ELj137ElifEEv20rocsparse_direction_T4_S2_PKS2_S4_NS_24const_host_device_scalarIT5_EEPKT3_S4_PKS6_SA_S4_SC_S7_SA_S4_SC_SA_PS2_PS6_21rocsparse_index_base_SF_SF_SF_bbb.kd
    .uniform_work_group_size: 1
    .uses_dynamic_stack: false
    .vgpr_count:     28
    .vgpr_spill_count: 0
    .wavefront_size: 32
    .workgroup_processor_mode: 1
  - .args:
      - .offset:         0
        .size:           4
        .value_kind:     by_value
      - .offset:         4
        .size:           4
        .value_kind:     by_value
      - .offset:         8
        .size:           4
        .value_kind:     by_value
      - .actual_access:  read_only
        .address_space:  global
        .offset:         16
        .size:           8
        .value_kind:     global_buffer
      - .actual_access:  read_only
        .address_space:  global
        .offset:         24
        .size:           8
        .value_kind:     global_buffer
      - .offset:         32
        .size:           8
        .value_kind:     by_value
      - .actual_access:  read_only
        .address_space:  global
        .offset:         40
        .size:           8
        .value_kind:     global_buffer
      - .actual_access:  read_only
        .address_space:  global
        .offset:         48
        .size:           8
        .value_kind:     global_buffer
      - .actual_access:  read_only
        .address_space:  global
        .offset:         56
        .size:           8
        .value_kind:     global_buffer
      - .actual_access:  read_only
        .address_space:  global
        .offset:         64
        .size:           8
        .value_kind:     global_buffer
      - .actual_access:  read_only
        .address_space:  global
        .offset:         72
        .size:           8
        .value_kind:     global_buffer
      - .actual_access:  read_only
        .address_space:  global
        .offset:         80
        .size:           8
        .value_kind:     global_buffer
      - .offset:         88
        .size:           8
        .value_kind:     by_value
      - .actual_access:  read_only
        .address_space:  global
        .offset:         96
        .size:           8
        .value_kind:     global_buffer
      - .actual_access:  read_only
        .address_space:  global
        .offset:         104
        .size:           8
        .value_kind:     global_buffer
      - .actual_access:  read_only
        .address_space:  global
        .offset:         112
        .size:           8
        .value_kind:     global_buffer
      - .actual_access:  read_only
        .address_space:  global
        .offset:         120
        .size:           8
        .value_kind:     global_buffer
      - .actual_access:  write_only
        .address_space:  global
        .offset:         128
        .size:           8
        .value_kind:     global_buffer
      - .actual_access:  write_only
        .address_space:  global
        .offset:         136
        .size:           8
        .value_kind:     global_buffer
      - .offset:         144
        .size:           4
        .value_kind:     by_value
      - .offset:         148
        .size:           4
        .value_kind:     by_value
      - .offset:         152
        .size:           4
        .value_kind:     by_value
      - .offset:         156
        .size:           4
        .value_kind:     by_value
      - .offset:         160
        .size:           1
        .value_kind:     by_value
      - .offset:         161
        .size:           1
        .value_kind:     by_value
      - .offset:         162
        .size:           1
        .value_kind:     by_value
    .group_segment_fixed_size: 0
    .kernarg_segment_align: 8
    .kernarg_segment_size: 164
    .language:       OpenCL C
    .language_version:
      - 2
      - 0
    .max_flat_workgroup_size: 256
    .name:           _ZN9rocsparseL30bsrgemm_fill_block_per_row_2x2ILj256ELj16ELj512ELj137ElifEEv20rocsparse_direction_T4_S2_PKS2_S4_NS_24const_host_device_scalarIT5_EEPKT3_S4_PKS6_SA_S4_SC_S7_SA_S4_SC_SA_PS2_PS6_21rocsparse_index_base_SF_SF_SF_bbb
    .private_segment_fixed_size: 0
    .sgpr_count:     50
    .sgpr_spill_count: 0
    .symbol:         _ZN9rocsparseL30bsrgemm_fill_block_per_row_2x2ILj256ELj16ELj512ELj137ElifEEv20rocsparse_direction_T4_S2_PKS2_S4_NS_24const_host_device_scalarIT5_EEPKT3_S4_PKS6_SA_S4_SC_S7_SA_S4_SC_SA_PS2_PS6_21rocsparse_index_base_SF_SF_SF_bbb.kd
    .uniform_work_group_size: 1
    .uses_dynamic_stack: false
    .vgpr_count:     26
    .vgpr_spill_count: 0
    .wavefront_size: 32
    .workgroup_processor_mode: 1
  - .args:
      - .offset:         0
        .size:           4
        .value_kind:     by_value
      - .offset:         4
        .size:           4
        .value_kind:     by_value
      - .offset:         8
        .size:           4
        .value_kind:     by_value
      - .actual_access:  read_only
        .address_space:  global
        .offset:         16
        .size:           8
        .value_kind:     global_buffer
      - .actual_access:  read_only
        .address_space:  global
        .offset:         24
        .size:           8
        .value_kind:     global_buffer
      - .offset:         32
        .size:           8
        .value_kind:     by_value
      - .actual_access:  read_only
        .address_space:  global
        .offset:         40
        .size:           8
        .value_kind:     global_buffer
      - .actual_access:  read_only
        .address_space:  global
        .offset:         48
        .size:           8
        .value_kind:     global_buffer
      - .actual_access:  read_only
        .address_space:  global
        .offset:         56
        .size:           8
        .value_kind:     global_buffer
      - .actual_access:  read_only
        .address_space:  global
        .offset:         64
        .size:           8
        .value_kind:     global_buffer
      - .actual_access:  read_only
        .address_space:  global
        .offset:         72
        .size:           8
        .value_kind:     global_buffer
      - .actual_access:  read_only
        .address_space:  global
        .offset:         80
        .size:           8
        .value_kind:     global_buffer
      - .offset:         88
        .size:           8
        .value_kind:     by_value
      - .actual_access:  read_only
        .address_space:  global
        .offset:         96
        .size:           8
        .value_kind:     global_buffer
      - .actual_access:  read_only
        .address_space:  global
        .offset:         104
        .size:           8
        .value_kind:     global_buffer
      - .actual_access:  read_only
        .address_space:  global
        .offset:         112
        .size:           8
        .value_kind:     global_buffer
      - .actual_access:  read_only
        .address_space:  global
        .offset:         120
        .size:           8
        .value_kind:     global_buffer
      - .actual_access:  write_only
        .address_space:  global
        .offset:         128
        .size:           8
        .value_kind:     global_buffer
      - .actual_access:  write_only
        .address_space:  global
        .offset:         136
        .size:           8
        .value_kind:     global_buffer
      - .address_space:  global
        .offset:         144
        .size:           8
        .value_kind:     global_buffer
      - .offset:         152
        .size:           4
        .value_kind:     by_value
      - .offset:         156
        .size:           4
        .value_kind:     by_value
      - .offset:         160
        .size:           4
        .value_kind:     by_value
      - .offset:         164
        .size:           4
        .value_kind:     by_value
      - .offset:         168
        .size:           1
        .value_kind:     by_value
      - .offset:         169
        .size:           1
        .value_kind:     by_value
      - .offset:         170
        .size:           1
        .value_kind:     by_value
    .group_segment_fixed_size: 6148
    .kernarg_segment_align: 8
    .kernarg_segment_size: 172
    .language:       OpenCL C
    .language_version:
      - 2
      - 0
    .max_flat_workgroup_size: 256
    .name:           _ZN9rocsparseL38bsrgemm_block_per_row_atomic_multipassILj256ELj256ELj2ElifEEv20rocsparse_direction_T3_S2_PKS2_S4_NS_24const_host_device_scalarIT4_EEPKT2_S4_PKS6_SA_S4_SC_S7_SA_S4_SC_SA_PS2_PS6_PS8_21rocsparse_index_base_SG_SG_SG_bbb
    .private_segment_fixed_size: 0
    .sgpr_count:     66
    .sgpr_spill_count: 0
    .symbol:         _ZN9rocsparseL38bsrgemm_block_per_row_atomic_multipassILj256ELj256ELj2ElifEEv20rocsparse_direction_T3_S2_PKS2_S4_NS_24const_host_device_scalarIT4_EEPKT2_S4_PKS6_SA_S4_SC_S7_SA_S4_SC_SA_PS2_PS6_PS8_21rocsparse_index_base_SG_SG_SG_bbb.kd
    .uniform_work_group_size: 1
    .uses_dynamic_stack: false
    .vgpr_count:     61
    .vgpr_spill_count: 0
    .wavefront_size: 32
    .workgroup_processor_mode: 1
  - .args:
      - .offset:         0
        .size:           4
        .value_kind:     by_value
      - .offset:         4
        .size:           4
        .value_kind:     by_value
      - .offset:         8
        .size:           4
        .value_kind:     by_value
      - .offset:         12
        .size:           4
        .value_kind:     by_value
      - .actual_access:  read_only
        .address_space:  global
        .offset:         16
        .size:           8
        .value_kind:     global_buffer
      - .actual_access:  read_only
        .address_space:  global
        .offset:         24
        .size:           8
        .value_kind:     global_buffer
      - .offset:         32
        .size:           8
        .value_kind:     by_value
      - .actual_access:  read_only
        .address_space:  global
        .offset:         40
        .size:           8
        .value_kind:     global_buffer
      - .actual_access:  read_only
        .address_space:  global
        .offset:         48
        .size:           8
        .value_kind:     global_buffer
      - .actual_access:  read_only
        .address_space:  global
        .offset:         56
        .size:           8
        .value_kind:     global_buffer
      - .actual_access:  read_only
        .address_space:  global
        .offset:         64
        .size:           8
        .value_kind:     global_buffer
      - .actual_access:  read_only
        .address_space:  global
        .offset:         72
        .size:           8
        .value_kind:     global_buffer
      - .actual_access:  read_only
        .address_space:  global
        .offset:         80
        .size:           8
        .value_kind:     global_buffer
      - .offset:         88
        .size:           8
        .value_kind:     by_value
      - .actual_access:  read_only
        .address_space:  global
        .offset:         96
        .size:           8
        .value_kind:     global_buffer
      - .actual_access:  read_only
        .address_space:  global
        .offset:         104
        .size:           8
        .value_kind:     global_buffer
      - .actual_access:  read_only
        .address_space:  global
        .offset:         112
        .size:           8
        .value_kind:     global_buffer
      - .actual_access:  read_only
        .address_space:  global
        .offset:         120
        .size:           8
        .value_kind:     global_buffer
      - .actual_access:  write_only
        .address_space:  global
        .offset:         128
        .size:           8
        .value_kind:     global_buffer
      - .actual_access:  write_only
        .address_space:  global
        .offset:         136
        .size:           8
        .value_kind:     global_buffer
      - .offset:         144
        .size:           4
        .value_kind:     by_value
      - .offset:         148
        .size:           4
        .value_kind:     by_value
      - .offset:         152
        .size:           4
        .value_kind:     by_value
      - .offset:         156
        .size:           4
        .value_kind:     by_value
      - .offset:         160
        .size:           1
        .value_kind:     by_value
      - .offset:         161
        .size:           1
        .value_kind:     by_value
      - .offset:         162
        .size:           1
        .value_kind:     by_value
    .group_segment_fixed_size: 2176
    .kernarg_segment_align: 8
    .kernarg_segment_size: 164
    .language:       OpenCL C
    .language_version:
      - 2
      - 0
    .max_flat_workgroup_size: 256
    .name:           _ZN9rocsparseL23bsrgemm_fill_wf_per_rowILj256ELj64ELj8ELj137ELj4ElifEEv20rocsparse_direction_T5_S2_S2_PKS2_S4_NS_24const_host_device_scalarIT6_EEPKT4_S4_PKS6_SA_S4_SC_S7_SA_S4_SC_SA_PS2_PS6_21rocsparse_index_base_SF_SF_SF_bbb
    .private_segment_fixed_size: 0
    .sgpr_count:     51
    .sgpr_spill_count: 0
    .symbol:         _ZN9rocsparseL23bsrgemm_fill_wf_per_rowILj256ELj64ELj8ELj137ELj4ElifEEv20rocsparse_direction_T5_S2_S2_PKS2_S4_NS_24const_host_device_scalarIT6_EEPKT4_S4_PKS6_SA_S4_SC_S7_SA_S4_SC_SA_PS2_PS6_21rocsparse_index_base_SF_SF_SF_bbb.kd
    .uniform_work_group_size: 1
    .uses_dynamic_stack: false
    .vgpr_count:     40
    .vgpr_spill_count: 0
    .wavefront_size: 32
    .workgroup_processor_mode: 1
  - .args:
      - .offset:         0
        .size:           4
        .value_kind:     by_value
      - .offset:         4
        .size:           4
        .value_kind:     by_value
      - .offset:         8
        .size:           4
        .value_kind:     by_value
      - .offset:         12
        .size:           4
        .value_kind:     by_value
      - .actual_access:  read_only
        .address_space:  global
        .offset:         16
        .size:           8
        .value_kind:     global_buffer
      - .actual_access:  read_only
        .address_space:  global
        .offset:         24
        .size:           8
        .value_kind:     global_buffer
      - .offset:         32
        .size:           8
        .value_kind:     by_value
      - .actual_access:  read_only
        .address_space:  global
        .offset:         40
        .size:           8
        .value_kind:     global_buffer
      - .actual_access:  read_only
        .address_space:  global
        .offset:         48
        .size:           8
        .value_kind:     global_buffer
      - .actual_access:  read_only
        .address_space:  global
        .offset:         56
        .size:           8
        .value_kind:     global_buffer
      - .actual_access:  read_only
        .address_space:  global
        .offset:         64
        .size:           8
        .value_kind:     global_buffer
      - .actual_access:  read_only
        .address_space:  global
        .offset:         72
        .size:           8
        .value_kind:     global_buffer
      - .actual_access:  read_only
        .address_space:  global
        .offset:         80
        .size:           8
        .value_kind:     global_buffer
      - .offset:         88
        .size:           8
        .value_kind:     by_value
      - .actual_access:  read_only
        .address_space:  global
        .offset:         96
        .size:           8
        .value_kind:     global_buffer
      - .actual_access:  read_only
        .address_space:  global
        .offset:         104
        .size:           8
        .value_kind:     global_buffer
      - .actual_access:  read_only
        .address_space:  global
        .offset:         112
        .size:           8
        .value_kind:     global_buffer
      - .actual_access:  read_only
        .address_space:  global
        .offset:         120
        .size:           8
        .value_kind:     global_buffer
      - .actual_access:  write_only
        .address_space:  global
        .offset:         128
        .size:           8
        .value_kind:     global_buffer
      - .actual_access:  write_only
        .address_space:  global
        .offset:         136
        .size:           8
        .value_kind:     global_buffer
      - .offset:         144
        .size:           4
        .value_kind:     by_value
      - .offset:         148
        .size:           4
        .value_kind:     by_value
      - .offset:         152
        .size:           4
        .value_kind:     by_value
      - .offset:         156
        .size:           4
        .value_kind:     by_value
      - .offset:         160
        .size:           1
        .value_kind:     by_value
      - .offset:         161
        .size:           1
        .value_kind:     by_value
      - .offset:         162
        .size:           1
        .value_kind:     by_value
    .group_segment_fixed_size: 4352
    .kernarg_segment_align: 8
    .kernarg_segment_size: 164
    .language:       OpenCL C
    .language_version:
      - 2
      - 0
    .max_flat_workgroup_size: 256
    .name:           _ZN9rocsparseL23bsrgemm_fill_wf_per_rowILj256ELj64ELj16ELj137ELj4ElifEEv20rocsparse_direction_T5_S2_S2_PKS2_S4_NS_24const_host_device_scalarIT6_EEPKT4_S4_PKS6_SA_S4_SC_S7_SA_S4_SC_SA_PS2_PS6_21rocsparse_index_base_SF_SF_SF_bbb
    .private_segment_fixed_size: 0
    .sgpr_count:     51
    .sgpr_spill_count: 0
    .symbol:         _ZN9rocsparseL23bsrgemm_fill_wf_per_rowILj256ELj64ELj16ELj137ELj4ElifEEv20rocsparse_direction_T5_S2_S2_PKS2_S4_NS_24const_host_device_scalarIT6_EEPKT4_S4_PKS6_SA_S4_SC_S7_SA_S4_SC_SA_PS2_PS6_21rocsparse_index_base_SF_SF_SF_bbb.kd
    .uniform_work_group_size: 1
    .uses_dynamic_stack: false
    .vgpr_count:     40
    .vgpr_spill_count: 0
    .wavefront_size: 32
    .workgroup_processor_mode: 1
  - .args:
      - .offset:         0
        .size:           4
        .value_kind:     by_value
      - .offset:         4
        .size:           4
        .value_kind:     by_value
      - .offset:         8
        .size:           4
        .value_kind:     by_value
      - .actual_access:  read_only
        .address_space:  global
        .offset:         16
        .size:           8
        .value_kind:     global_buffer
      - .actual_access:  read_only
        .address_space:  global
        .offset:         24
        .size:           8
        .value_kind:     global_buffer
      - .offset:         32
        .size:           8
        .value_kind:     by_value
      - .actual_access:  read_only
        .address_space:  global
        .offset:         40
        .size:           8
        .value_kind:     global_buffer
      - .actual_access:  read_only
        .address_space:  global
        .offset:         48
        .size:           8
        .value_kind:     global_buffer
      - .actual_access:  read_only
        .address_space:  global
        .offset:         56
        .size:           8
        .value_kind:     global_buffer
      - .actual_access:  read_only
        .address_space:  global
        .offset:         64
        .size:           8
        .value_kind:     global_buffer
      - .actual_access:  read_only
        .address_space:  global
        .offset:         72
        .size:           8
        .value_kind:     global_buffer
      - .actual_access:  read_only
        .address_space:  global
        .offset:         80
        .size:           8
        .value_kind:     global_buffer
      - .offset:         88
        .size:           8
        .value_kind:     by_value
      - .actual_access:  read_only
        .address_space:  global
        .offset:         96
        .size:           8
        .value_kind:     global_buffer
      - .actual_access:  read_only
        .address_space:  global
        .offset:         104
        .size:           8
        .value_kind:     global_buffer
      - .actual_access:  read_only
        .address_space:  global
        .offset:         112
        .size:           8
        .value_kind:     global_buffer
      - .actual_access:  read_only
        .address_space:  global
        .offset:         120
        .size:           8
        .value_kind:     global_buffer
      - .actual_access:  write_only
        .address_space:  global
        .offset:         128
        .size:           8
        .value_kind:     global_buffer
      - .actual_access:  write_only
        .address_space:  global
        .offset:         136
        .size:           8
        .value_kind:     global_buffer
      - .address_space:  global
        .offset:         144
        .size:           8
        .value_kind:     global_buffer
      - .offset:         152
        .size:           4
        .value_kind:     by_value
      - .offset:         156
        .size:           4
        .value_kind:     by_value
      - .offset:         160
        .size:           4
        .value_kind:     by_value
      - .offset:         164
        .size:           4
        .value_kind:     by_value
      - .offset:         168
        .size:           1
        .value_kind:     by_value
      - .offset:         169
        .size:           1
        .value_kind:     by_value
      - .offset:         170
        .size:           1
        .value_kind:     by_value
    .group_segment_fixed_size: 3204
    .kernarg_segment_align: 8
    .kernarg_segment_size: 172
    .language:       OpenCL C
    .language_version:
      - 2
      - 0
    .max_flat_workgroup_size: 256
    .name:           _ZN9rocsparseL38bsrgemm_block_per_row_atomic_multipassILj256ELj32ELj4ElifEEv20rocsparse_direction_T3_S2_PKS2_S4_NS_24const_host_device_scalarIT4_EEPKT2_S4_PKS6_SA_S4_SC_S7_SA_S4_SC_SA_PS2_PS6_PS8_21rocsparse_index_base_SG_SG_SG_bbb
    .private_segment_fixed_size: 0
    .sgpr_count:     64
    .sgpr_spill_count: 0
    .symbol:         _ZN9rocsparseL38bsrgemm_block_per_row_atomic_multipassILj256ELj32ELj4ElifEEv20rocsparse_direction_T3_S2_PKS2_S4_NS_24const_host_device_scalarIT4_EEPKT2_S4_PKS6_SA_S4_SC_S7_SA_S4_SC_SA_PS2_PS6_PS8_21rocsparse_index_base_SG_SG_SG_bbb.kd
    .uniform_work_group_size: 1
    .uses_dynamic_stack: false
    .vgpr_count:     58
    .vgpr_spill_count: 0
    .wavefront_size: 32
    .workgroup_processor_mode: 1
  - .args:
      - .offset:         0
        .size:           4
        .value_kind:     by_value
      - .offset:         4
        .size:           4
        .value_kind:     by_value
      - .offset:         8
        .size:           4
        .value_kind:     by_value
      - .actual_access:  read_only
        .address_space:  global
        .offset:         16
        .size:           8
        .value_kind:     global_buffer
      - .actual_access:  read_only
        .address_space:  global
        .offset:         24
        .size:           8
        .value_kind:     global_buffer
      - .offset:         32
        .size:           8
        .value_kind:     by_value
      - .actual_access:  read_only
        .address_space:  global
        .offset:         40
        .size:           8
        .value_kind:     global_buffer
      - .actual_access:  read_only
        .address_space:  global
        .offset:         48
        .size:           8
        .value_kind:     global_buffer
      - .actual_access:  read_only
        .address_space:  global
        .offset:         56
        .size:           8
        .value_kind:     global_buffer
      - .actual_access:  read_only
        .address_space:  global
        .offset:         64
        .size:           8
        .value_kind:     global_buffer
      - .actual_access:  read_only
        .address_space:  global
        .offset:         72
        .size:           8
        .value_kind:     global_buffer
      - .actual_access:  read_only
        .address_space:  global
        .offset:         80
        .size:           8
        .value_kind:     global_buffer
      - .offset:         88
        .size:           8
        .value_kind:     by_value
      - .actual_access:  read_only
        .address_space:  global
        .offset:         96
        .size:           8
        .value_kind:     global_buffer
      - .actual_access:  read_only
        .address_space:  global
        .offset:         104
        .size:           8
        .value_kind:     global_buffer
      - .actual_access:  read_only
        .address_space:  global
        .offset:         112
        .size:           8
        .value_kind:     global_buffer
      - .actual_access:  read_only
        .address_space:  global
        .offset:         120
        .size:           8
        .value_kind:     global_buffer
      - .actual_access:  write_only
        .address_space:  global
        .offset:         128
        .size:           8
        .value_kind:     global_buffer
      - .actual_access:  write_only
        .address_space:  global
        .offset:         136
        .size:           8
        .value_kind:     global_buffer
      - .address_space:  global
        .offset:         144
        .size:           8
        .value_kind:     global_buffer
      - .offset:         152
        .size:           4
        .value_kind:     by_value
      - .offset:         156
        .size:           4
        .value_kind:     by_value
      - .offset:         160
        .size:           4
        .value_kind:     by_value
      - .offset:         164
        .size:           4
        .value_kind:     by_value
      - .offset:         168
        .size:           1
        .value_kind:     by_value
      - .offset:         169
        .size:           1
        .value_kind:     by_value
      - .offset:         170
        .size:           1
        .value_kind:     by_value
    .group_segment_fixed_size: 5380
    .kernarg_segment_align: 8
    .kernarg_segment_size: 172
    .language:       OpenCL C
    .language_version:
      - 2
      - 0
    .max_flat_workgroup_size: 256
    .name:           _ZN9rocsparseL38bsrgemm_block_per_row_atomic_multipassILj256ELj64ELj4ElifEEv20rocsparse_direction_T3_S2_PKS2_S4_NS_24const_host_device_scalarIT4_EEPKT2_S4_PKS6_SA_S4_SC_S7_SA_S4_SC_SA_PS2_PS6_PS8_21rocsparse_index_base_SG_SG_SG_bbb
    .private_segment_fixed_size: 0
    .sgpr_count:     64
    .sgpr_spill_count: 0
    .symbol:         _ZN9rocsparseL38bsrgemm_block_per_row_atomic_multipassILj256ELj64ELj4ElifEEv20rocsparse_direction_T3_S2_PKS2_S4_NS_24const_host_device_scalarIT4_EEPKT2_S4_PKS6_SA_S4_SC_S7_SA_S4_SC_SA_PS2_PS6_PS8_21rocsparse_index_base_SG_SG_SG_bbb.kd
    .uniform_work_group_size: 1
    .uses_dynamic_stack: false
    .vgpr_count:     59
    .vgpr_spill_count: 0
    .wavefront_size: 32
    .workgroup_processor_mode: 1
  - .args:
      - .offset:         0
        .size:           4
        .value_kind:     by_value
      - .offset:         4
        .size:           4
        .value_kind:     by_value
      - .offset:         8
        .size:           4
        .value_kind:     by_value
      - .actual_access:  read_only
        .address_space:  global
        .offset:         16
        .size:           8
        .value_kind:     global_buffer
      - .actual_access:  read_only
        .address_space:  global
        .offset:         24
        .size:           8
        .value_kind:     global_buffer
      - .offset:         32
        .size:           8
        .value_kind:     by_value
      - .actual_access:  read_only
        .address_space:  global
        .offset:         40
        .size:           8
        .value_kind:     global_buffer
      - .actual_access:  read_only
        .address_space:  global
        .offset:         48
        .size:           8
        .value_kind:     global_buffer
      - .actual_access:  read_only
        .address_space:  global
        .offset:         56
        .size:           8
        .value_kind:     global_buffer
      - .actual_access:  read_only
        .address_space:  global
        .offset:         64
        .size:           8
        .value_kind:     global_buffer
      - .actual_access:  read_only
        .address_space:  global
        .offset:         72
        .size:           8
        .value_kind:     global_buffer
      - .actual_access:  read_only
        .address_space:  global
        .offset:         80
        .size:           8
        .value_kind:     global_buffer
      - .offset:         88
        .size:           8
        .value_kind:     by_value
      - .actual_access:  read_only
        .address_space:  global
        .offset:         96
        .size:           8
        .value_kind:     global_buffer
      - .actual_access:  read_only
        .address_space:  global
        .offset:         104
        .size:           8
        .value_kind:     global_buffer
      - .actual_access:  read_only
        .address_space:  global
        .offset:         112
        .size:           8
        .value_kind:     global_buffer
      - .actual_access:  read_only
        .address_space:  global
        .offset:         120
        .size:           8
        .value_kind:     global_buffer
      - .actual_access:  write_only
        .address_space:  global
        .offset:         128
        .size:           8
        .value_kind:     global_buffer
      - .actual_access:  write_only
        .address_space:  global
        .offset:         136
        .size:           8
        .value_kind:     global_buffer
      - .address_space:  global
        .offset:         144
        .size:           8
        .value_kind:     global_buffer
      - .offset:         152
        .size:           4
        .value_kind:     by_value
      - .offset:         156
        .size:           4
        .value_kind:     by_value
      - .offset:         160
        .size:           4
        .value_kind:     by_value
      - .offset:         164
        .size:           4
        .value_kind:     by_value
      - .offset:         168
        .size:           1
        .value_kind:     by_value
      - .offset:         169
        .size:           1
        .value_kind:     by_value
      - .offset:         170
        .size:           1
        .value_kind:     by_value
    .group_segment_fixed_size: 9732
    .kernarg_segment_align: 8
    .kernarg_segment_size: 172
    .language:       OpenCL C
    .language_version:
      - 2
      - 0
    .max_flat_workgroup_size: 256
    .name:           _ZN9rocsparseL38bsrgemm_block_per_row_atomic_multipassILj256ELj128ELj4ElifEEv20rocsparse_direction_T3_S2_PKS2_S4_NS_24const_host_device_scalarIT4_EEPKT2_S4_PKS6_SA_S4_SC_S7_SA_S4_SC_SA_PS2_PS6_PS8_21rocsparse_index_base_SG_SG_SG_bbb
    .private_segment_fixed_size: 0
    .sgpr_count:     68
    .sgpr_spill_count: 0
    .symbol:         _ZN9rocsparseL38bsrgemm_block_per_row_atomic_multipassILj256ELj128ELj4ElifEEv20rocsparse_direction_T3_S2_PKS2_S4_NS_24const_host_device_scalarIT4_EEPKT2_S4_PKS6_SA_S4_SC_S7_SA_S4_SC_SA_PS2_PS6_PS8_21rocsparse_index_base_SG_SG_SG_bbb.kd
    .uniform_work_group_size: 1
    .uses_dynamic_stack: false
    .vgpr_count:     59
    .vgpr_spill_count: 0
    .wavefront_size: 32
    .workgroup_processor_mode: 1
  - .args:
      - .offset:         0
        .size:           4
        .value_kind:     by_value
      - .offset:         4
        .size:           4
        .value_kind:     by_value
      - .offset:         8
        .size:           4
        .value_kind:     by_value
      - .offset:         12
        .size:           4
        .value_kind:     by_value
      - .actual_access:  read_only
        .address_space:  global
        .offset:         16
        .size:           8
        .value_kind:     global_buffer
      - .actual_access:  read_only
        .address_space:  global
        .offset:         24
        .size:           8
        .value_kind:     global_buffer
      - .offset:         32
        .size:           8
        .value_kind:     by_value
      - .actual_access:  read_only
        .address_space:  global
        .offset:         40
        .size:           8
        .value_kind:     global_buffer
      - .actual_access:  read_only
        .address_space:  global
        .offset:         48
        .size:           8
        .value_kind:     global_buffer
      - .actual_access:  read_only
        .address_space:  global
        .offset:         56
        .size:           8
        .value_kind:     global_buffer
      - .actual_access:  read_only
        .address_space:  global
        .offset:         64
        .size:           8
        .value_kind:     global_buffer
      - .actual_access:  read_only
        .address_space:  global
        .offset:         72
        .size:           8
        .value_kind:     global_buffer
      - .actual_access:  read_only
        .address_space:  global
        .offset:         80
        .size:           8
        .value_kind:     global_buffer
      - .offset:         88
        .size:           8
        .value_kind:     by_value
      - .actual_access:  read_only
        .address_space:  global
        .offset:         96
        .size:           8
        .value_kind:     global_buffer
      - .actual_access:  read_only
        .address_space:  global
        .offset:         104
        .size:           8
        .value_kind:     global_buffer
      - .actual_access:  read_only
        .address_space:  global
        .offset:         112
        .size:           8
        .value_kind:     global_buffer
      - .actual_access:  read_only
        .address_space:  global
        .offset:         120
        .size:           8
        .value_kind:     global_buffer
      - .actual_access:  write_only
        .address_space:  global
        .offset:         128
        .size:           8
        .value_kind:     global_buffer
      - .actual_access:  write_only
        .address_space:  global
        .offset:         136
        .size:           8
        .value_kind:     global_buffer
      - .offset:         144
        .size:           4
        .value_kind:     by_value
      - .offset:         148
        .size:           4
        .value_kind:     by_value
      - .offset:         152
        .size:           4
        .value_kind:     by_value
      - .offset:         156
        .size:           4
        .value_kind:     by_value
      - .offset:         160
        .size:           1
        .value_kind:     by_value
      - .offset:         161
        .size:           1
        .value_kind:     by_value
      - .offset:         162
        .size:           1
        .value_kind:     by_value
    .group_segment_fixed_size: 8320
    .kernarg_segment_align: 8
    .kernarg_segment_size: 164
    .language:       OpenCL C
    .language_version:
      - 2
      - 0
    .max_flat_workgroup_size: 256
    .name:           _ZN9rocsparseL23bsrgemm_fill_wf_per_rowILj256ELj64ELj8ELj137ELj8ElifEEv20rocsparse_direction_T5_S2_S2_PKS2_S4_NS_24const_host_device_scalarIT6_EEPKT4_S4_PKS6_SA_S4_SC_S7_SA_S4_SC_SA_PS2_PS6_21rocsparse_index_base_SF_SF_SF_bbb
    .private_segment_fixed_size: 0
    .sgpr_count:     50
    .sgpr_spill_count: 0
    .symbol:         _ZN9rocsparseL23bsrgemm_fill_wf_per_rowILj256ELj64ELj8ELj137ELj8ElifEEv20rocsparse_direction_T5_S2_S2_PKS2_S4_NS_24const_host_device_scalarIT6_EEPKT4_S4_PKS6_SA_S4_SC_S7_SA_S4_SC_SA_PS2_PS6_21rocsparse_index_base_SF_SF_SF_bbb.kd
    .uniform_work_group_size: 1
    .uses_dynamic_stack: false
    .vgpr_count:     39
    .vgpr_spill_count: 0
    .wavefront_size: 32
    .workgroup_processor_mode: 1
  - .args:
      - .offset:         0
        .size:           4
        .value_kind:     by_value
      - .offset:         4
        .size:           4
        .value_kind:     by_value
      - .offset:         8
        .size:           4
        .value_kind:     by_value
      - .actual_access:  read_only
        .address_space:  global
        .offset:         16
        .size:           8
        .value_kind:     global_buffer
      - .actual_access:  read_only
        .address_space:  global
        .offset:         24
        .size:           8
        .value_kind:     global_buffer
      - .offset:         32
        .size:           8
        .value_kind:     by_value
      - .actual_access:  read_only
        .address_space:  global
        .offset:         40
        .size:           8
        .value_kind:     global_buffer
      - .actual_access:  read_only
        .address_space:  global
        .offset:         48
        .size:           8
        .value_kind:     global_buffer
      - .actual_access:  read_only
        .address_space:  global
        .offset:         56
        .size:           8
        .value_kind:     global_buffer
      - .actual_access:  read_only
        .address_space:  global
        .offset:         64
        .size:           8
        .value_kind:     global_buffer
      - .actual_access:  read_only
        .address_space:  global
        .offset:         72
        .size:           8
        .value_kind:     global_buffer
      - .actual_access:  read_only
        .address_space:  global
        .offset:         80
        .size:           8
        .value_kind:     global_buffer
      - .offset:         88
        .size:           8
        .value_kind:     by_value
      - .actual_access:  read_only
        .address_space:  global
        .offset:         96
        .size:           8
        .value_kind:     global_buffer
      - .actual_access:  read_only
        .address_space:  global
        .offset:         104
        .size:           8
        .value_kind:     global_buffer
      - .actual_access:  read_only
        .address_space:  global
        .offset:         112
        .size:           8
        .value_kind:     global_buffer
      - .actual_access:  read_only
        .address_space:  global
        .offset:         120
        .size:           8
        .value_kind:     global_buffer
      - .actual_access:  write_only
        .address_space:  global
        .offset:         128
        .size:           8
        .value_kind:     global_buffer
      - .actual_access:  write_only
        .address_space:  global
        .offset:         136
        .size:           8
        .value_kind:     global_buffer
      - .address_space:  global
        .offset:         144
        .size:           8
        .value_kind:     global_buffer
      - .offset:         152
        .size:           4
        .value_kind:     by_value
      - .offset:         156
        .size:           4
        .value_kind:     by_value
      - .offset:         160
        .size:           4
        .value_kind:     by_value
      - .offset:         164
        .size:           4
        .value_kind:     by_value
      - .offset:         168
        .size:           1
        .value_kind:     by_value
      - .offset:         169
        .size:           1
        .value_kind:     by_value
      - .offset:         170
        .size:           1
        .value_kind:     by_value
    .group_segment_fixed_size: 5188
    .kernarg_segment_align: 8
    .kernarg_segment_size: 172
    .language:       OpenCL C
    .language_version:
      - 2
      - 0
    .max_flat_workgroup_size: 256
    .name:           _ZN9rocsparseL38bsrgemm_block_per_row_atomic_multipassILj256ELj16ELj8ElifEEv20rocsparse_direction_T3_S2_PKS2_S4_NS_24const_host_device_scalarIT4_EEPKT2_S4_PKS6_SA_S4_SC_S7_SA_S4_SC_SA_PS2_PS6_PS8_21rocsparse_index_base_SG_SG_SG_bbb
    .private_segment_fixed_size: 0
    .sgpr_count:     62
    .sgpr_spill_count: 0
    .symbol:         _ZN9rocsparseL38bsrgemm_block_per_row_atomic_multipassILj256ELj16ELj8ElifEEv20rocsparse_direction_T3_S2_PKS2_S4_NS_24const_host_device_scalarIT4_EEPKT2_S4_PKS6_SA_S4_SC_S7_SA_S4_SC_SA_PS2_PS6_PS8_21rocsparse_index_base_SG_SG_SG_bbb.kd
    .uniform_work_group_size: 1
    .uses_dynamic_stack: false
    .vgpr_count:     57
    .vgpr_spill_count: 0
    .wavefront_size: 32
    .workgroup_processor_mode: 1
  - .args:
      - .offset:         0
        .size:           4
        .value_kind:     by_value
      - .offset:         4
        .size:           4
        .value_kind:     by_value
      - .offset:         8
        .size:           4
        .value_kind:     by_value
      - .actual_access:  read_only
        .address_space:  global
        .offset:         16
        .size:           8
        .value_kind:     global_buffer
      - .actual_access:  read_only
        .address_space:  global
        .offset:         24
        .size:           8
        .value_kind:     global_buffer
      - .offset:         32
        .size:           8
        .value_kind:     by_value
      - .actual_access:  read_only
        .address_space:  global
        .offset:         40
        .size:           8
        .value_kind:     global_buffer
      - .actual_access:  read_only
        .address_space:  global
        .offset:         48
        .size:           8
        .value_kind:     global_buffer
      - .actual_access:  read_only
        .address_space:  global
        .offset:         56
        .size:           8
        .value_kind:     global_buffer
      - .actual_access:  read_only
        .address_space:  global
        .offset:         64
        .size:           8
        .value_kind:     global_buffer
      - .actual_access:  read_only
        .address_space:  global
        .offset:         72
        .size:           8
        .value_kind:     global_buffer
      - .actual_access:  read_only
        .address_space:  global
        .offset:         80
        .size:           8
        .value_kind:     global_buffer
      - .offset:         88
        .size:           8
        .value_kind:     by_value
      - .actual_access:  read_only
        .address_space:  global
        .offset:         96
        .size:           8
        .value_kind:     global_buffer
      - .actual_access:  read_only
        .address_space:  global
        .offset:         104
        .size:           8
        .value_kind:     global_buffer
      - .actual_access:  read_only
        .address_space:  global
        .offset:         112
        .size:           8
        .value_kind:     global_buffer
      - .actual_access:  read_only
        .address_space:  global
        .offset:         120
        .size:           8
        .value_kind:     global_buffer
      - .actual_access:  write_only
        .address_space:  global
        .offset:         128
        .size:           8
        .value_kind:     global_buffer
      - .actual_access:  write_only
        .address_space:  global
        .offset:         136
        .size:           8
        .value_kind:     global_buffer
      - .address_space:  global
        .offset:         144
        .size:           8
        .value_kind:     global_buffer
      - .offset:         152
        .size:           4
        .value_kind:     by_value
      - .offset:         156
        .size:           4
        .value_kind:     by_value
      - .offset:         160
        .size:           4
        .value_kind:     by_value
      - .offset:         164
        .size:           4
        .value_kind:     by_value
      - .offset:         168
        .size:           1
        .value_kind:     by_value
      - .offset:         169
        .size:           1
        .value_kind:     by_value
      - .offset:         170
        .size:           1
        .value_kind:     by_value
    .group_segment_fixed_size: 9348
    .kernarg_segment_align: 8
    .kernarg_segment_size: 172
    .language:       OpenCL C
    .language_version:
      - 2
      - 0
    .max_flat_workgroup_size: 256
    .name:           _ZN9rocsparseL38bsrgemm_block_per_row_atomic_multipassILj256ELj32ELj8ElifEEv20rocsparse_direction_T3_S2_PKS2_S4_NS_24const_host_device_scalarIT4_EEPKT2_S4_PKS6_SA_S4_SC_S7_SA_S4_SC_SA_PS2_PS6_PS8_21rocsparse_index_base_SG_SG_SG_bbb
    .private_segment_fixed_size: 0
    .sgpr_count:     66
    .sgpr_spill_count: 0
    .symbol:         _ZN9rocsparseL38bsrgemm_block_per_row_atomic_multipassILj256ELj32ELj8ElifEEv20rocsparse_direction_T3_S2_PKS2_S4_NS_24const_host_device_scalarIT4_EEPKT2_S4_PKS6_SA_S4_SC_S7_SA_S4_SC_SA_PS2_PS6_PS8_21rocsparse_index_base_SG_SG_SG_bbb.kd
    .uniform_work_group_size: 1
    .uses_dynamic_stack: false
    .vgpr_count:     57
    .vgpr_spill_count: 0
    .wavefront_size: 32
    .workgroup_processor_mode: 1
  - .args:
      - .offset:         0
        .size:           4
        .value_kind:     by_value
      - .offset:         4
        .size:           4
        .value_kind:     by_value
      - .offset:         8
        .size:           4
        .value_kind:     by_value
      - .actual_access:  read_only
        .address_space:  global
        .offset:         16
        .size:           8
        .value_kind:     global_buffer
      - .actual_access:  read_only
        .address_space:  global
        .offset:         24
        .size:           8
        .value_kind:     global_buffer
      - .offset:         32
        .size:           8
        .value_kind:     by_value
      - .actual_access:  read_only
        .address_space:  global
        .offset:         40
        .size:           8
        .value_kind:     global_buffer
      - .actual_access:  read_only
        .address_space:  global
        .offset:         48
        .size:           8
        .value_kind:     global_buffer
      - .actual_access:  read_only
        .address_space:  global
        .offset:         56
        .size:           8
        .value_kind:     global_buffer
      - .actual_access:  read_only
        .address_space:  global
        .offset:         64
        .size:           8
        .value_kind:     global_buffer
      - .actual_access:  read_only
        .address_space:  global
        .offset:         72
        .size:           8
        .value_kind:     global_buffer
      - .actual_access:  read_only
        .address_space:  global
        .offset:         80
        .size:           8
        .value_kind:     global_buffer
      - .offset:         88
        .size:           8
        .value_kind:     by_value
      - .actual_access:  read_only
        .address_space:  global
        .offset:         96
        .size:           8
        .value_kind:     global_buffer
      - .actual_access:  read_only
        .address_space:  global
        .offset:         104
        .size:           8
        .value_kind:     global_buffer
      - .actual_access:  read_only
        .address_space:  global
        .offset:         112
        .size:           8
        .value_kind:     global_buffer
      - .actual_access:  read_only
        .address_space:  global
        .offset:         120
        .size:           8
        .value_kind:     global_buffer
      - .actual_access:  write_only
        .address_space:  global
        .offset:         128
        .size:           8
        .value_kind:     global_buffer
      - .actual_access:  write_only
        .address_space:  global
        .offset:         136
        .size:           8
        .value_kind:     global_buffer
      - .address_space:  global
        .offset:         144
        .size:           8
        .value_kind:     global_buffer
      - .offset:         152
        .size:           4
        .value_kind:     by_value
      - .offset:         156
        .size:           4
        .value_kind:     by_value
      - .offset:         160
        .size:           4
        .value_kind:     by_value
      - .offset:         164
        .size:           4
        .value_kind:     by_value
      - .offset:         168
        .size:           1
        .value_kind:     by_value
      - .offset:         169
        .size:           1
        .value_kind:     by_value
      - .offset:         170
        .size:           1
        .value_kind:     by_value
    .group_segment_fixed_size: 8200
    .kernarg_segment_align: 8
    .kernarg_segment_size: 172
    .language:       OpenCL C
    .language_version:
      - 2
      - 0
    .max_flat_workgroup_size: 256
    .name:           _ZN9rocsparseL31bsrgemm_block_per_row_multipassILj256ELj8ELj16ElifEEv20rocsparse_direction_T3_S2_PKS2_S4_NS_24const_host_device_scalarIT4_EEPKT2_S4_PKS6_SA_S4_SC_S7_SA_S4_SC_SA_PS2_PS6_PS8_21rocsparse_index_base_SG_SG_SG_bbb
    .private_segment_fixed_size: 0
    .sgpr_count:     68
    .sgpr_spill_count: 0
    .symbol:         _ZN9rocsparseL31bsrgemm_block_per_row_multipassILj256ELj8ELj16ElifEEv20rocsparse_direction_T3_S2_PKS2_S4_NS_24const_host_device_scalarIT4_EEPKT2_S4_PKS6_SA_S4_SC_S7_SA_S4_SC_SA_PS2_PS6_PS8_21rocsparse_index_base_SG_SG_SG_bbb.kd
    .uniform_work_group_size: 1
    .uses_dynamic_stack: false
    .vgpr_count:     43
    .vgpr_spill_count: 0
    .wavefront_size: 32
    .workgroup_processor_mode: 1
  - .args:
      - .offset:         0
        .size:           4
        .value_kind:     by_value
      - .offset:         4
        .size:           4
        .value_kind:     by_value
      - .offset:         8
        .size:           4
        .value_kind:     by_value
      - .actual_access:  read_only
        .address_space:  global
        .offset:         16
        .size:           8
        .value_kind:     global_buffer
      - .actual_access:  read_only
        .address_space:  global
        .offset:         24
        .size:           8
        .value_kind:     global_buffer
      - .offset:         32
        .size:           8
        .value_kind:     by_value
      - .actual_access:  read_only
        .address_space:  global
        .offset:         40
        .size:           8
        .value_kind:     global_buffer
      - .actual_access:  read_only
        .address_space:  global
        .offset:         48
        .size:           8
        .value_kind:     global_buffer
      - .actual_access:  read_only
        .address_space:  global
        .offset:         56
        .size:           8
        .value_kind:     global_buffer
      - .actual_access:  read_only
        .address_space:  global
        .offset:         64
        .size:           8
        .value_kind:     global_buffer
      - .actual_access:  read_only
        .address_space:  global
        .offset:         72
        .size:           8
        .value_kind:     global_buffer
      - .actual_access:  read_only
        .address_space:  global
        .offset:         80
        .size:           8
        .value_kind:     global_buffer
      - .offset:         88
        .size:           8
        .value_kind:     by_value
      - .actual_access:  read_only
        .address_space:  global
        .offset:         96
        .size:           8
        .value_kind:     global_buffer
      - .actual_access:  read_only
        .address_space:  global
        .offset:         104
        .size:           8
        .value_kind:     global_buffer
      - .actual_access:  read_only
        .address_space:  global
        .offset:         112
        .size:           8
        .value_kind:     global_buffer
      - .actual_access:  read_only
        .address_space:  global
        .offset:         120
        .size:           8
        .value_kind:     global_buffer
      - .actual_access:  write_only
        .address_space:  global
        .offset:         128
        .size:           8
        .value_kind:     global_buffer
      - .actual_access:  write_only
        .address_space:  global
        .offset:         136
        .size:           8
        .value_kind:     global_buffer
      - .address_space:  global
        .offset:         144
        .size:           8
        .value_kind:     global_buffer
      - .offset:         152
        .size:           4
        .value_kind:     by_value
      - .offset:         156
        .size:           4
        .value_kind:     by_value
      - .offset:         160
        .size:           4
        .value_kind:     by_value
      - .offset:         164
        .size:           4
        .value_kind:     by_value
      - .offset:         168
        .size:           1
        .value_kind:     by_value
      - .offset:         169
        .size:           1
        .value_kind:     by_value
      - .offset:         170
        .size:           1
        .value_kind:     by_value
    .group_segment_fixed_size: 8196
    .kernarg_segment_align: 8
    .kernarg_segment_size: 172
    .language:       OpenCL C
    .language_version:
      - 2
      - 0
    .max_flat_workgroup_size: 256
    .name:           _ZN9rocsparseL31bsrgemm_block_per_row_multipassILj256ELj2ELj32ElifEEv20rocsparse_direction_T3_S2_PKS2_S4_NS_24const_host_device_scalarIT4_EEPKT2_S4_PKS6_SA_S4_SC_S7_SA_S4_SC_SA_PS2_PS6_PS8_21rocsparse_index_base_SG_SG_SG_bbb
    .private_segment_fixed_size: 0
    .sgpr_count:     74
    .sgpr_spill_count: 0
    .symbol:         _ZN9rocsparseL31bsrgemm_block_per_row_multipassILj256ELj2ELj32ElifEEv20rocsparse_direction_T3_S2_PKS2_S4_NS_24const_host_device_scalarIT4_EEPKT2_S4_PKS6_SA_S4_SC_S7_SA_S4_SC_SA_PS2_PS6_PS8_21rocsparse_index_base_SG_SG_SG_bbb.kd
    .uniform_work_group_size: 1
    .uses_dynamic_stack: false
    .vgpr_count:     84
    .vgpr_spill_count: 0
    .wavefront_size: 32
    .workgroup_processor_mode: 1
  - .args:
      - .offset:         0
        .size:           4
        .value_kind:     by_value
      - .actual_access:  read_only
        .address_space:  global
        .offset:         8
        .size:           8
        .value_kind:     global_buffer
      - .actual_access:  write_only
        .address_space:  global
        .offset:         16
        .size:           8
        .value_kind:     global_buffer
      - .actual_access:  write_only
        .address_space:  global
        .offset:         24
        .size:           8
        .value_kind:     global_buffer
      - .offset:         32
        .size:           4
        .value_kind:     hidden_block_count_x
      - .offset:         36
        .size:           4
        .value_kind:     hidden_block_count_y
      - .offset:         40
        .size:           4
        .value_kind:     hidden_block_count_z
      - .offset:         44
        .size:           2
        .value_kind:     hidden_group_size_x
      - .offset:         46
        .size:           2
        .value_kind:     hidden_group_size_y
      - .offset:         48
        .size:           2
        .value_kind:     hidden_group_size_z
      - .offset:         50
        .size:           2
        .value_kind:     hidden_remainder_x
      - .offset:         52
        .size:           2
        .value_kind:     hidden_remainder_y
      - .offset:         54
        .size:           2
        .value_kind:     hidden_remainder_z
      - .offset:         72
        .size:           8
        .value_kind:     hidden_global_offset_x
      - .offset:         80
        .size:           8
        .value_kind:     hidden_global_offset_y
      - .offset:         88
        .size:           8
        .value_kind:     hidden_global_offset_z
      - .offset:         96
        .size:           2
        .value_kind:     hidden_grid_dims
    .group_segment_fixed_size: 8192
    .kernarg_segment_align: 8
    .kernarg_segment_size: 288
    .language:       OpenCL C
    .language_version:
      - 2
      - 0
    .max_flat_workgroup_size: 256
    .name:           _ZN9rocsparseL26bsrgemm_group_reduce_part2ILj256ELj8ELj2EdliEEvT4_PKT3_PS1_Pi
    .private_segment_fixed_size: 0
    .sgpr_count:     20
    .sgpr_spill_count: 0
    .symbol:         _ZN9rocsparseL26bsrgemm_group_reduce_part2ILj256ELj8ELj2EdliEEvT4_PKT3_PS1_Pi.kd
    .uniform_work_group_size: 1
    .uses_dynamic_stack: false
    .vgpr_count:     18
    .vgpr_spill_count: 0
    .wavefront_size: 32
    .workgroup_processor_mode: 1
  - .args:
      - .offset:         0
        .size:           4
        .value_kind:     by_value
      - .actual_access:  read_only
        .address_space:  global
        .offset:         8
        .size:           8
        .value_kind:     global_buffer
      - .actual_access:  write_only
        .address_space:  global
        .offset:         16
        .size:           8
        .value_kind:     global_buffer
      - .actual_access:  write_only
        .address_space:  global
        .offset:         24
        .size:           8
        .value_kind:     global_buffer
      - .offset:         32
        .size:           4
        .value_kind:     hidden_block_count_x
      - .offset:         36
        .size:           4
        .value_kind:     hidden_block_count_y
      - .offset:         40
        .size:           4
        .value_kind:     hidden_block_count_z
      - .offset:         44
        .size:           2
        .value_kind:     hidden_group_size_x
      - .offset:         46
        .size:           2
        .value_kind:     hidden_group_size_y
      - .offset:         48
        .size:           2
        .value_kind:     hidden_group_size_z
      - .offset:         50
        .size:           2
        .value_kind:     hidden_remainder_x
      - .offset:         52
        .size:           2
        .value_kind:     hidden_remainder_y
      - .offset:         54
        .size:           2
        .value_kind:     hidden_remainder_z
      - .offset:         72
        .size:           8
        .value_kind:     hidden_global_offset_x
      - .offset:         80
        .size:           8
        .value_kind:     hidden_global_offset_y
      - .offset:         88
        .size:           8
        .value_kind:     hidden_global_offset_z
      - .offset:         96
        .size:           2
        .value_kind:     hidden_grid_dims
    .group_segment_fixed_size: 8192
    .kernarg_segment_align: 8
    .kernarg_segment_size: 288
    .language:       OpenCL C
    .language_version:
      - 2
      - 0
    .max_flat_workgroup_size: 256
    .name:           _ZN9rocsparseL26bsrgemm_group_reduce_part2ILj256ELj8ELj8EdliEEvT4_PKT3_PS1_Pi
    .private_segment_fixed_size: 0
    .sgpr_count:     20
    .sgpr_spill_count: 0
    .symbol:         _ZN9rocsparseL26bsrgemm_group_reduce_part2ILj256ELj8ELj8EdliEEvT4_PKT3_PS1_Pi.kd
    .uniform_work_group_size: 1
    .uses_dynamic_stack: false
    .vgpr_count:     18
    .vgpr_spill_count: 0
    .wavefront_size: 32
    .workgroup_processor_mode: 1
  - .args:
      - .offset:         0
        .size:           4
        .value_kind:     by_value
      - .offset:         4
        .size:           4
        .value_kind:     by_value
      - .offset:         8
        .size:           4
        .value_kind:     by_value
      - .actual_access:  read_only
        .address_space:  global
        .offset:         16
        .size:           8
        .value_kind:     global_buffer
      - .actual_access:  read_only
        .address_space:  global
        .offset:         24
        .size:           8
        .value_kind:     global_buffer
      - .offset:         32
        .size:           8
        .value_kind:     by_value
      - .actual_access:  read_only
        .address_space:  global
        .offset:         40
        .size:           8
        .value_kind:     global_buffer
      - .actual_access:  read_only
        .address_space:  global
        .offset:         48
        .size:           8
        .value_kind:     global_buffer
      - .actual_access:  read_only
        .address_space:  global
        .offset:         56
        .size:           8
        .value_kind:     global_buffer
      - .actual_access:  read_only
        .address_space:  global
        .offset:         64
        .size:           8
        .value_kind:     global_buffer
      - .actual_access:  read_only
        .address_space:  global
        .offset:         72
        .size:           8
        .value_kind:     global_buffer
      - .actual_access:  read_only
        .address_space:  global
        .offset:         80
        .size:           8
        .value_kind:     global_buffer
      - .offset:         88
        .size:           8
        .value_kind:     by_value
      - .actual_access:  read_only
        .address_space:  global
        .offset:         96
        .size:           8
        .value_kind:     global_buffer
      - .actual_access:  read_only
        .address_space:  global
        .offset:         104
        .size:           8
        .value_kind:     global_buffer
      - .actual_access:  read_only
        .address_space:  global
        .offset:         112
        .size:           8
        .value_kind:     global_buffer
      - .actual_access:  read_only
        .address_space:  global
        .offset:         120
        .size:           8
        .value_kind:     global_buffer
      - .actual_access:  write_only
        .address_space:  global
        .offset:         128
        .size:           8
        .value_kind:     global_buffer
      - .actual_access:  write_only
        .address_space:  global
        .offset:         136
        .size:           8
        .value_kind:     global_buffer
      - .offset:         144
        .size:           4
        .value_kind:     by_value
      - .offset:         148
        .size:           4
        .value_kind:     by_value
      - .offset:         152
        .size:           4
        .value_kind:     by_value
      - .offset:         156
        .size:           4
        .value_kind:     by_value
      - .offset:         160
        .size:           1
        .value_kind:     by_value
      - .offset:         161
        .size:           1
        .value_kind:     by_value
      - .offset:         162
        .size:           1
        .value_kind:     by_value
    .group_segment_fixed_size: 4608
    .kernarg_segment_align: 8
    .kernarg_segment_size: 164
    .language:       OpenCL C
    .language_version:
      - 2
      - 0
    .max_flat_workgroup_size: 256
    .name:           _ZN9rocsparseL27bsrgemm_fill_wf_per_row_2x2ILj256ELj16ELj8ELj137ElidEEv20rocsparse_direction_T4_S2_PKS2_S4_NS_24const_host_device_scalarIT5_EEPKT3_S4_PKS6_SA_S4_SC_S7_SA_S4_SC_SA_PS2_PS6_21rocsparse_index_base_SF_SF_SF_bbb
    .private_segment_fixed_size: 0
    .sgpr_count:     50
    .sgpr_spill_count: 0
    .symbol:         _ZN9rocsparseL27bsrgemm_fill_wf_per_row_2x2ILj256ELj16ELj8ELj137ElidEEv20rocsparse_direction_T4_S2_PKS2_S4_NS_24const_host_device_scalarIT5_EEPKT3_S4_PKS6_SA_S4_SC_S7_SA_S4_SC_SA_PS2_PS6_21rocsparse_index_base_SF_SF_SF_bbb.kd
    .uniform_work_group_size: 1
    .uses_dynamic_stack: false
    .vgpr_count:     46
    .vgpr_spill_count: 0
    .wavefront_size: 32
    .workgroup_processor_mode: 1
  - .args:
      - .offset:         0
        .size:           4
        .value_kind:     by_value
      - .offset:         4
        .size:           4
        .value_kind:     by_value
      - .offset:         8
        .size:           4
        .value_kind:     by_value
      - .actual_access:  read_only
        .address_space:  global
        .offset:         16
        .size:           8
        .value_kind:     global_buffer
      - .actual_access:  read_only
        .address_space:  global
        .offset:         24
        .size:           8
        .value_kind:     global_buffer
      - .offset:         32
        .size:           8
        .value_kind:     by_value
      - .actual_access:  read_only
        .address_space:  global
        .offset:         40
        .size:           8
        .value_kind:     global_buffer
      - .actual_access:  read_only
        .address_space:  global
        .offset:         48
        .size:           8
        .value_kind:     global_buffer
      - .actual_access:  read_only
        .address_space:  global
        .offset:         56
        .size:           8
        .value_kind:     global_buffer
      - .actual_access:  read_only
        .address_space:  global
        .offset:         64
        .size:           8
        .value_kind:     global_buffer
      - .actual_access:  read_only
        .address_space:  global
        .offset:         72
        .size:           8
        .value_kind:     global_buffer
      - .actual_access:  read_only
        .address_space:  global
        .offset:         80
        .size:           8
        .value_kind:     global_buffer
      - .offset:         88
        .size:           8
        .value_kind:     by_value
      - .actual_access:  read_only
        .address_space:  global
        .offset:         96
        .size:           8
        .value_kind:     global_buffer
      - .actual_access:  read_only
        .address_space:  global
        .offset:         104
        .size:           8
        .value_kind:     global_buffer
      - .actual_access:  read_only
        .address_space:  global
        .offset:         112
        .size:           8
        .value_kind:     global_buffer
      - .actual_access:  read_only
        .address_space:  global
        .offset:         120
        .size:           8
        .value_kind:     global_buffer
      - .actual_access:  write_only
        .address_space:  global
        .offset:         128
        .size:           8
        .value_kind:     global_buffer
      - .actual_access:  write_only
        .address_space:  global
        .offset:         136
        .size:           8
        .value_kind:     global_buffer
      - .offset:         144
        .size:           4
        .value_kind:     by_value
      - .offset:         148
        .size:           4
        .value_kind:     by_value
      - .offset:         152
        .size:           4
        .value_kind:     by_value
      - .offset:         156
        .size:           4
        .value_kind:     by_value
      - .offset:         160
        .size:           1
        .value_kind:     by_value
      - .offset:         161
        .size:           1
        .value_kind:     by_value
      - .offset:         162
        .size:           1
        .value_kind:     by_value
    .group_segment_fixed_size: 9216
    .kernarg_segment_align: 8
    .kernarg_segment_size: 164
    .language:       OpenCL C
    .language_version:
      - 2
      - 0
    .max_flat_workgroup_size: 256
    .name:           _ZN9rocsparseL27bsrgemm_fill_wf_per_row_2x2ILj256ELj16ELj16ELj137ElidEEv20rocsparse_direction_T4_S2_PKS2_S4_NS_24const_host_device_scalarIT5_EEPKT3_S4_PKS6_SA_S4_SC_S7_SA_S4_SC_SA_PS2_PS6_21rocsparse_index_base_SF_SF_SF_bbb
    .private_segment_fixed_size: 0
    .sgpr_count:     46
    .sgpr_spill_count: 0
    .symbol:         _ZN9rocsparseL27bsrgemm_fill_wf_per_row_2x2ILj256ELj16ELj16ELj137ElidEEv20rocsparse_direction_T4_S2_PKS2_S4_NS_24const_host_device_scalarIT5_EEPKT3_S4_PKS6_SA_S4_SC_S7_SA_S4_SC_SA_PS2_PS6_21rocsparse_index_base_SF_SF_SF_bbb.kd
    .uniform_work_group_size: 1
    .uses_dynamic_stack: false
    .vgpr_count:     47
    .vgpr_spill_count: 0
    .wavefront_size: 32
    .workgroup_processor_mode: 1
  - .args:
      - .offset:         0
        .size:           4
        .value_kind:     by_value
      - .offset:         4
        .size:           4
        .value_kind:     by_value
      - .offset:         8
        .size:           4
        .value_kind:     by_value
      - .actual_access:  read_only
        .address_space:  global
        .offset:         16
        .size:           8
        .value_kind:     global_buffer
      - .actual_access:  read_only
        .address_space:  global
        .offset:         24
        .size:           8
        .value_kind:     global_buffer
      - .offset:         32
        .size:           8
        .value_kind:     by_value
      - .actual_access:  read_only
        .address_space:  global
        .offset:         40
        .size:           8
        .value_kind:     global_buffer
      - .actual_access:  read_only
        .address_space:  global
        .offset:         48
        .size:           8
        .value_kind:     global_buffer
      - .actual_access:  read_only
        .address_space:  global
        .offset:         56
        .size:           8
        .value_kind:     global_buffer
      - .actual_access:  read_only
        .address_space:  global
        .offset:         64
        .size:           8
        .value_kind:     global_buffer
      - .actual_access:  read_only
        .address_space:  global
        .offset:         72
        .size:           8
        .value_kind:     global_buffer
      - .actual_access:  read_only
        .address_space:  global
        .offset:         80
        .size:           8
        .value_kind:     global_buffer
      - .offset:         88
        .size:           8
        .value_kind:     by_value
      - .actual_access:  read_only
        .address_space:  global
        .offset:         96
        .size:           8
        .value_kind:     global_buffer
      - .actual_access:  read_only
        .address_space:  global
        .offset:         104
        .size:           8
        .value_kind:     global_buffer
      - .actual_access:  read_only
        .address_space:  global
        .offset:         112
        .size:           8
        .value_kind:     global_buffer
      - .actual_access:  read_only
        .address_space:  global
        .offset:         120
        .size:           8
        .value_kind:     global_buffer
      - .actual_access:  write_only
        .address_space:  global
        .offset:         128
        .size:           8
        .value_kind:     global_buffer
      - .actual_access:  write_only
        .address_space:  global
        .offset:         136
        .size:           8
        .value_kind:     global_buffer
      - .offset:         144
        .size:           4
        .value_kind:     by_value
      - .offset:         148
        .size:           4
        .value_kind:     by_value
      - .offset:         152
        .size:           4
        .value_kind:     by_value
      - .offset:         156
        .size:           4
        .value_kind:     by_value
      - .offset:         160
        .size:           1
        .value_kind:     by_value
      - .offset:         161
        .size:           1
        .value_kind:     by_value
      - .offset:         162
        .size:           1
        .value_kind:     by_value
    .group_segment_fixed_size: 18432
    .kernarg_segment_align: 8
    .kernarg_segment_size: 164
    .language:       OpenCL C
    .language_version:
      - 2
      - 0
    .max_flat_workgroup_size: 256
    .name:           _ZN9rocsparseL27bsrgemm_fill_wf_per_row_2x2ILj256ELj16ELj32ELj137ElidEEv20rocsparse_direction_T4_S2_PKS2_S4_NS_24const_host_device_scalarIT5_EEPKT3_S4_PKS6_SA_S4_SC_S7_SA_S4_SC_SA_PS2_PS6_21rocsparse_index_base_SF_SF_SF_bbb
    .private_segment_fixed_size: 0
    .sgpr_count:     46
    .sgpr_spill_count: 0
    .symbol:         _ZN9rocsparseL27bsrgemm_fill_wf_per_row_2x2ILj256ELj16ELj32ELj137ElidEEv20rocsparse_direction_T4_S2_PKS2_S4_NS_24const_host_device_scalarIT5_EEPKT3_S4_PKS6_SA_S4_SC_S7_SA_S4_SC_SA_PS2_PS6_21rocsparse_index_base_SF_SF_SF_bbb.kd
    .uniform_work_group_size: 1
    .uses_dynamic_stack: false
    .vgpr_count:     49
    .vgpr_spill_count: 0
    .wavefront_size: 32
    .workgroup_processor_mode: 1
  - .args:
      - .offset:         0
        .size:           4
        .value_kind:     by_value
      - .offset:         4
        .size:           4
        .value_kind:     by_value
      - .offset:         8
        .size:           4
        .value_kind:     by_value
      - .actual_access:  read_only
        .address_space:  global
        .offset:         16
        .size:           8
        .value_kind:     global_buffer
      - .actual_access:  read_only
        .address_space:  global
        .offset:         24
        .size:           8
        .value_kind:     global_buffer
      - .offset:         32
        .size:           8
        .value_kind:     by_value
      - .actual_access:  read_only
        .address_space:  global
        .offset:         40
        .size:           8
        .value_kind:     global_buffer
      - .actual_access:  read_only
        .address_space:  global
        .offset:         48
        .size:           8
        .value_kind:     global_buffer
      - .actual_access:  read_only
        .address_space:  global
        .offset:         56
        .size:           8
        .value_kind:     global_buffer
      - .actual_access:  read_only
        .address_space:  global
        .offset:         64
        .size:           8
        .value_kind:     global_buffer
      - .actual_access:  read_only
        .address_space:  global
        .offset:         72
        .size:           8
        .value_kind:     global_buffer
      - .actual_access:  read_only
        .address_space:  global
        .offset:         80
        .size:           8
        .value_kind:     global_buffer
      - .offset:         88
        .size:           8
        .value_kind:     by_value
      - .actual_access:  read_only
        .address_space:  global
        .offset:         96
        .size:           8
        .value_kind:     global_buffer
      - .actual_access:  read_only
        .address_space:  global
        .offset:         104
        .size:           8
        .value_kind:     global_buffer
      - .actual_access:  read_only
        .address_space:  global
        .offset:         112
        .size:           8
        .value_kind:     global_buffer
      - .actual_access:  read_only
        .address_space:  global
        .offset:         120
        .size:           8
        .value_kind:     global_buffer
      - .actual_access:  write_only
        .address_space:  global
        .offset:         128
        .size:           8
        .value_kind:     global_buffer
      - .actual_access:  write_only
        .address_space:  global
        .offset:         136
        .size:           8
        .value_kind:     global_buffer
      - .offset:         144
        .size:           4
        .value_kind:     by_value
      - .offset:         148
        .size:           4
        .value_kind:     by_value
      - .offset:         152
        .size:           4
        .value_kind:     by_value
      - .offset:         156
        .size:           4
        .value_kind:     by_value
      - .offset:         160
        .size:           1
        .value_kind:     by_value
      - .offset:         161
        .size:           1
        .value_kind:     by_value
      - .offset:         162
        .size:           1
        .value_kind:     by_value
    .group_segment_fixed_size: 0
    .kernarg_segment_align: 8
    .kernarg_segment_size: 164
    .language:       OpenCL C
    .language_version:
      - 2
      - 0
    .max_flat_workgroup_size: 256
    .name:           _ZN9rocsparseL30bsrgemm_fill_block_per_row_2x2ILj256ELj16ELj64ELj137ElidEEv20rocsparse_direction_T4_S2_PKS2_S4_NS_24const_host_device_scalarIT5_EEPKT3_S4_PKS6_SA_S4_SC_S7_SA_S4_SC_SA_PS2_PS6_21rocsparse_index_base_SF_SF_SF_bbb
    .private_segment_fixed_size: 0
    .sgpr_count:     40
    .sgpr_spill_count: 0
    .symbol:         _ZN9rocsparseL30bsrgemm_fill_block_per_row_2x2ILj256ELj16ELj64ELj137ElidEEv20rocsparse_direction_T4_S2_PKS2_S4_NS_24const_host_device_scalarIT5_EEPKT3_S4_PKS6_SA_S4_SC_S7_SA_S4_SC_SA_PS2_PS6_21rocsparse_index_base_SF_SF_SF_bbb.kd
    .uniform_work_group_size: 1
    .uses_dynamic_stack: false
    .vgpr_count:     40
    .vgpr_spill_count: 0
    .wavefront_size: 32
    .workgroup_processor_mode: 1
  - .args:
      - .offset:         0
        .size:           4
        .value_kind:     by_value
      - .offset:         4
        .size:           4
        .value_kind:     by_value
      - .offset:         8
        .size:           4
        .value_kind:     by_value
      - .actual_access:  read_only
        .address_space:  global
        .offset:         16
        .size:           8
        .value_kind:     global_buffer
      - .actual_access:  read_only
        .address_space:  global
        .offset:         24
        .size:           8
        .value_kind:     global_buffer
      - .offset:         32
        .size:           8
        .value_kind:     by_value
      - .actual_access:  read_only
        .address_space:  global
        .offset:         40
        .size:           8
        .value_kind:     global_buffer
      - .actual_access:  read_only
        .address_space:  global
        .offset:         48
        .size:           8
        .value_kind:     global_buffer
      - .actual_access:  read_only
        .address_space:  global
        .offset:         56
        .size:           8
        .value_kind:     global_buffer
      - .actual_access:  read_only
        .address_space:  global
        .offset:         64
        .size:           8
        .value_kind:     global_buffer
      - .actual_access:  read_only
        .address_space:  global
        .offset:         72
        .size:           8
        .value_kind:     global_buffer
      - .actual_access:  read_only
        .address_space:  global
        .offset:         80
        .size:           8
        .value_kind:     global_buffer
      - .offset:         88
        .size:           8
        .value_kind:     by_value
      - .actual_access:  read_only
        .address_space:  global
        .offset:         96
        .size:           8
        .value_kind:     global_buffer
      - .actual_access:  read_only
        .address_space:  global
        .offset:         104
        .size:           8
        .value_kind:     global_buffer
      - .actual_access:  read_only
        .address_space:  global
        .offset:         112
        .size:           8
        .value_kind:     global_buffer
      - .actual_access:  read_only
        .address_space:  global
        .offset:         120
        .size:           8
        .value_kind:     global_buffer
      - .actual_access:  write_only
        .address_space:  global
        .offset:         128
        .size:           8
        .value_kind:     global_buffer
      - .actual_access:  write_only
        .address_space:  global
        .offset:         136
        .size:           8
        .value_kind:     global_buffer
      - .offset:         144
        .size:           4
        .value_kind:     by_value
      - .offset:         148
        .size:           4
        .value_kind:     by_value
      - .offset:         152
        .size:           4
        .value_kind:     by_value
      - .offset:         156
        .size:           4
        .value_kind:     by_value
      - .offset:         160
        .size:           1
        .value_kind:     by_value
      - .offset:         161
        .size:           1
        .value_kind:     by_value
      - .offset:         162
        .size:           1
        .value_kind:     by_value
    .group_segment_fixed_size: 0
    .kernarg_segment_align: 8
    .kernarg_segment_size: 164
    .language:       OpenCL C
    .language_version:
      - 2
      - 0
    .max_flat_workgroup_size: 256
    .name:           _ZN9rocsparseL30bsrgemm_fill_block_per_row_2x2ILj256ELj16ELj128ELj137ElidEEv20rocsparse_direction_T4_S2_PKS2_S4_NS_24const_host_device_scalarIT5_EEPKT3_S4_PKS6_SA_S4_SC_S7_SA_S4_SC_SA_PS2_PS6_21rocsparse_index_base_SF_SF_SF_bbb
    .private_segment_fixed_size: 0
    .sgpr_count:     50
    .sgpr_spill_count: 0
    .symbol:         _ZN9rocsparseL30bsrgemm_fill_block_per_row_2x2ILj256ELj16ELj128ELj137ElidEEv20rocsparse_direction_T4_S2_PKS2_S4_NS_24const_host_device_scalarIT5_EEPKT3_S4_PKS6_SA_S4_SC_S7_SA_S4_SC_SA_PS2_PS6_21rocsparse_index_base_SF_SF_SF_bbb.kd
    .uniform_work_group_size: 1
    .uses_dynamic_stack: false
    .vgpr_count:     40
    .vgpr_spill_count: 0
    .wavefront_size: 32
    .workgroup_processor_mode: 1
  - .args:
      - .offset:         0
        .size:           4
        .value_kind:     by_value
      - .offset:         4
        .size:           4
        .value_kind:     by_value
      - .offset:         8
        .size:           4
        .value_kind:     by_value
      - .actual_access:  read_only
        .address_space:  global
        .offset:         16
        .size:           8
        .value_kind:     global_buffer
      - .actual_access:  read_only
        .address_space:  global
        .offset:         24
        .size:           8
        .value_kind:     global_buffer
      - .offset:         32
        .size:           8
        .value_kind:     by_value
      - .actual_access:  read_only
        .address_space:  global
        .offset:         40
        .size:           8
        .value_kind:     global_buffer
      - .actual_access:  read_only
        .address_space:  global
        .offset:         48
        .size:           8
        .value_kind:     global_buffer
      - .actual_access:  read_only
        .address_space:  global
        .offset:         56
        .size:           8
        .value_kind:     global_buffer
      - .actual_access:  read_only
        .address_space:  global
        .offset:         64
        .size:           8
        .value_kind:     global_buffer
      - .actual_access:  read_only
        .address_space:  global
        .offset:         72
        .size:           8
        .value_kind:     global_buffer
      - .actual_access:  read_only
        .address_space:  global
        .offset:         80
        .size:           8
        .value_kind:     global_buffer
      - .offset:         88
        .size:           8
        .value_kind:     by_value
      - .actual_access:  read_only
        .address_space:  global
        .offset:         96
        .size:           8
        .value_kind:     global_buffer
      - .actual_access:  read_only
        .address_space:  global
        .offset:         104
        .size:           8
        .value_kind:     global_buffer
      - .actual_access:  read_only
        .address_space:  global
        .offset:         112
        .size:           8
        .value_kind:     global_buffer
      - .actual_access:  read_only
        .address_space:  global
        .offset:         120
        .size:           8
        .value_kind:     global_buffer
      - .actual_access:  write_only
        .address_space:  global
        .offset:         128
        .size:           8
        .value_kind:     global_buffer
      - .actual_access:  write_only
        .address_space:  global
        .offset:         136
        .size:           8
        .value_kind:     global_buffer
      - .offset:         144
        .size:           4
        .value_kind:     by_value
      - .offset:         148
        .size:           4
        .value_kind:     by_value
      - .offset:         152
        .size:           4
        .value_kind:     by_value
      - .offset:         156
        .size:           4
        .value_kind:     by_value
      - .offset:         160
        .size:           1
        .value_kind:     by_value
      - .offset:         161
        .size:           1
        .value_kind:     by_value
      - .offset:         162
        .size:           1
        .value_kind:     by_value
    .group_segment_fixed_size: 0
    .kernarg_segment_align: 8
    .kernarg_segment_size: 164
    .language:       OpenCL C
    .language_version:
      - 2
      - 0
    .max_flat_workgroup_size: 256
    .name:           _ZN9rocsparseL30bsrgemm_fill_block_per_row_2x2ILj256ELj16ELj256ELj137ElidEEv20rocsparse_direction_T4_S2_PKS2_S4_NS_24const_host_device_scalarIT5_EEPKT3_S4_PKS6_SA_S4_SC_S7_SA_S4_SC_SA_PS2_PS6_21rocsparse_index_base_SF_SF_SF_bbb
    .private_segment_fixed_size: 0
    .sgpr_count:     50
    .sgpr_spill_count: 0
    .symbol:         _ZN9rocsparseL30bsrgemm_fill_block_per_row_2x2ILj256ELj16ELj256ELj137ElidEEv20rocsparse_direction_T4_S2_PKS2_S4_NS_24const_host_device_scalarIT5_EEPKT3_S4_PKS6_SA_S4_SC_S7_SA_S4_SC_SA_PS2_PS6_21rocsparse_index_base_SF_SF_SF_bbb.kd
    .uniform_work_group_size: 1
    .uses_dynamic_stack: false
    .vgpr_count:     40
    .vgpr_spill_count: 0
    .wavefront_size: 32
    .workgroup_processor_mode: 1
  - .args:
      - .offset:         0
        .size:           4
        .value_kind:     by_value
      - .offset:         4
        .size:           4
        .value_kind:     by_value
      - .offset:         8
        .size:           4
        .value_kind:     by_value
      - .actual_access:  read_only
        .address_space:  global
        .offset:         16
        .size:           8
        .value_kind:     global_buffer
      - .actual_access:  read_only
        .address_space:  global
        .offset:         24
        .size:           8
        .value_kind:     global_buffer
      - .offset:         32
        .size:           8
        .value_kind:     by_value
      - .actual_access:  read_only
        .address_space:  global
        .offset:         40
        .size:           8
        .value_kind:     global_buffer
      - .actual_access:  read_only
        .address_space:  global
        .offset:         48
        .size:           8
        .value_kind:     global_buffer
      - .actual_access:  read_only
        .address_space:  global
        .offset:         56
        .size:           8
        .value_kind:     global_buffer
      - .actual_access:  read_only
        .address_space:  global
        .offset:         64
        .size:           8
        .value_kind:     global_buffer
      - .actual_access:  read_only
        .address_space:  global
        .offset:         72
        .size:           8
        .value_kind:     global_buffer
      - .actual_access:  read_only
        .address_space:  global
        .offset:         80
        .size:           8
        .value_kind:     global_buffer
      - .offset:         88
        .size:           8
        .value_kind:     by_value
      - .actual_access:  read_only
        .address_space:  global
        .offset:         96
        .size:           8
        .value_kind:     global_buffer
      - .actual_access:  read_only
        .address_space:  global
        .offset:         104
        .size:           8
        .value_kind:     global_buffer
      - .actual_access:  read_only
        .address_space:  global
        .offset:         112
        .size:           8
        .value_kind:     global_buffer
      - .actual_access:  read_only
        .address_space:  global
        .offset:         120
        .size:           8
        .value_kind:     global_buffer
      - .actual_access:  write_only
        .address_space:  global
        .offset:         128
        .size:           8
        .value_kind:     global_buffer
      - .actual_access:  write_only
        .address_space:  global
        .offset:         136
        .size:           8
        .value_kind:     global_buffer
      - .offset:         144
        .size:           4
        .value_kind:     by_value
      - .offset:         148
        .size:           4
        .value_kind:     by_value
      - .offset:         152
        .size:           4
        .value_kind:     by_value
      - .offset:         156
        .size:           4
        .value_kind:     by_value
      - .offset:         160
        .size:           1
        .value_kind:     by_value
      - .offset:         161
        .size:           1
        .value_kind:     by_value
      - .offset:         162
        .size:           1
        .value_kind:     by_value
    .group_segment_fixed_size: 0
    .kernarg_segment_align: 8
    .kernarg_segment_size: 164
    .language:       OpenCL C
    .language_version:
      - 2
      - 0
    .max_flat_workgroup_size: 256
    .name:           _ZN9rocsparseL30bsrgemm_fill_block_per_row_2x2ILj256ELj16ELj512ELj137ElidEEv20rocsparse_direction_T4_S2_PKS2_S4_NS_24const_host_device_scalarIT5_EEPKT3_S4_PKS6_SA_S4_SC_S7_SA_S4_SC_SA_PS2_PS6_21rocsparse_index_base_SF_SF_SF_bbb
    .private_segment_fixed_size: 0
    .sgpr_count:     50
    .sgpr_spill_count: 0
    .symbol:         _ZN9rocsparseL30bsrgemm_fill_block_per_row_2x2ILj256ELj16ELj512ELj137ElidEEv20rocsparse_direction_T4_S2_PKS2_S4_NS_24const_host_device_scalarIT5_EEPKT3_S4_PKS6_SA_S4_SC_S7_SA_S4_SC_SA_PS2_PS6_21rocsparse_index_base_SF_SF_SF_bbb.kd
    .uniform_work_group_size: 1
    .uses_dynamic_stack: false
    .vgpr_count:     39
    .vgpr_spill_count: 0
    .wavefront_size: 32
    .workgroup_processor_mode: 1
  - .args:
      - .offset:         0
        .size:           4
        .value_kind:     by_value
      - .offset:         4
        .size:           4
        .value_kind:     by_value
      - .offset:         8
        .size:           4
        .value_kind:     by_value
      - .actual_access:  read_only
        .address_space:  global
        .offset:         16
        .size:           8
        .value_kind:     global_buffer
      - .actual_access:  read_only
        .address_space:  global
        .offset:         24
        .size:           8
        .value_kind:     global_buffer
      - .offset:         32
        .size:           8
        .value_kind:     by_value
      - .actual_access:  read_only
        .address_space:  global
        .offset:         40
        .size:           8
        .value_kind:     global_buffer
      - .actual_access:  read_only
        .address_space:  global
        .offset:         48
        .size:           8
        .value_kind:     global_buffer
      - .actual_access:  read_only
        .address_space:  global
        .offset:         56
        .size:           8
        .value_kind:     global_buffer
      - .actual_access:  read_only
        .address_space:  global
        .offset:         64
        .size:           8
        .value_kind:     global_buffer
      - .actual_access:  read_only
        .address_space:  global
        .offset:         72
        .size:           8
        .value_kind:     global_buffer
      - .actual_access:  read_only
        .address_space:  global
        .offset:         80
        .size:           8
        .value_kind:     global_buffer
      - .offset:         88
        .size:           8
        .value_kind:     by_value
      - .actual_access:  read_only
        .address_space:  global
        .offset:         96
        .size:           8
        .value_kind:     global_buffer
      - .actual_access:  read_only
        .address_space:  global
        .offset:         104
        .size:           8
        .value_kind:     global_buffer
      - .actual_access:  read_only
        .address_space:  global
        .offset:         112
        .size:           8
        .value_kind:     global_buffer
      - .actual_access:  read_only
        .address_space:  global
        .offset:         120
        .size:           8
        .value_kind:     global_buffer
      - .actual_access:  write_only
        .address_space:  global
        .offset:         128
        .size:           8
        .value_kind:     global_buffer
      - .actual_access:  write_only
        .address_space:  global
        .offset:         136
        .size:           8
        .value_kind:     global_buffer
      - .address_space:  global
        .offset:         144
        .size:           8
        .value_kind:     global_buffer
      - .offset:         152
        .size:           4
        .value_kind:     by_value
      - .offset:         156
        .size:           4
        .value_kind:     by_value
      - .offset:         160
        .size:           4
        .value_kind:     by_value
      - .offset:         164
        .size:           4
        .value_kind:     by_value
      - .offset:         168
        .size:           1
        .value_kind:     by_value
      - .offset:         169
        .size:           1
        .value_kind:     by_value
      - .offset:         170
        .size:           1
        .value_kind:     by_value
    .group_segment_fixed_size: 11272
    .kernarg_segment_align: 8
    .kernarg_segment_size: 172
    .language:       OpenCL C
    .language_version:
      - 2
      - 0
    .max_flat_workgroup_size: 256
    .name:           _ZN9rocsparseL38bsrgemm_block_per_row_atomic_multipassILj256ELj256ELj2ElidEEv20rocsparse_direction_T3_S2_PKS2_S4_NS_24const_host_device_scalarIT4_EEPKT2_S4_PKS6_SA_S4_SC_S7_SA_S4_SC_SA_PS2_PS6_PS8_21rocsparse_index_base_SG_SG_SG_bbb
    .private_segment_fixed_size: 0
    .sgpr_count:     64
    .sgpr_spill_count: 0
    .symbol:         _ZN9rocsparseL38bsrgemm_block_per_row_atomic_multipassILj256ELj256ELj2ElidEEv20rocsparse_direction_T3_S2_PKS2_S4_NS_24const_host_device_scalarIT4_EEPKT2_S4_PKS6_SA_S4_SC_S7_SA_S4_SC_SA_PS2_PS6_PS8_21rocsparse_index_base_SG_SG_SG_bbb.kd
    .uniform_work_group_size: 1
    .uses_dynamic_stack: false
    .vgpr_count:     65
    .vgpr_spill_count: 0
    .wavefront_size: 32
    .workgroup_processor_mode: 1
  - .args:
      - .offset:         0
        .size:           4
        .value_kind:     by_value
      - .offset:         4
        .size:           4
        .value_kind:     by_value
      - .offset:         8
        .size:           4
        .value_kind:     by_value
      - .offset:         12
        .size:           4
        .value_kind:     by_value
      - .actual_access:  read_only
        .address_space:  global
        .offset:         16
        .size:           8
        .value_kind:     global_buffer
      - .actual_access:  read_only
        .address_space:  global
        .offset:         24
        .size:           8
        .value_kind:     global_buffer
      - .offset:         32
        .size:           8
        .value_kind:     by_value
      - .actual_access:  read_only
        .address_space:  global
        .offset:         40
        .size:           8
        .value_kind:     global_buffer
      - .actual_access:  read_only
        .address_space:  global
        .offset:         48
        .size:           8
        .value_kind:     global_buffer
      - .actual_access:  read_only
        .address_space:  global
        .offset:         56
        .size:           8
        .value_kind:     global_buffer
      - .actual_access:  read_only
        .address_space:  global
        .offset:         64
        .size:           8
        .value_kind:     global_buffer
      - .actual_access:  read_only
        .address_space:  global
        .offset:         72
        .size:           8
        .value_kind:     global_buffer
      - .actual_access:  read_only
        .address_space:  global
        .offset:         80
        .size:           8
        .value_kind:     global_buffer
      - .offset:         88
        .size:           8
        .value_kind:     by_value
      - .actual_access:  read_only
        .address_space:  global
        .offset:         96
        .size:           8
        .value_kind:     global_buffer
      - .actual_access:  read_only
        .address_space:  global
        .offset:         104
        .size:           8
        .value_kind:     global_buffer
      - .actual_access:  read_only
        .address_space:  global
        .offset:         112
        .size:           8
        .value_kind:     global_buffer
      - .actual_access:  read_only
        .address_space:  global
        .offset:         120
        .size:           8
        .value_kind:     global_buffer
      - .actual_access:  write_only
        .address_space:  global
        .offset:         128
        .size:           8
        .value_kind:     global_buffer
      - .actual_access:  write_only
        .address_space:  global
        .offset:         136
        .size:           8
        .value_kind:     global_buffer
      - .offset:         144
        .size:           4
        .value_kind:     by_value
      - .offset:         148
        .size:           4
        .value_kind:     by_value
      - .offset:         152
        .size:           4
        .value_kind:     by_value
      - .offset:         156
        .size:           4
        .value_kind:     by_value
      - .offset:         160
        .size:           1
        .value_kind:     by_value
      - .offset:         161
        .size:           1
        .value_kind:     by_value
      - .offset:         162
        .size:           1
        .value_kind:     by_value
    .group_segment_fixed_size: 4224
    .kernarg_segment_align: 8
    .kernarg_segment_size: 164
    .language:       OpenCL C
    .language_version:
      - 2
      - 0
    .max_flat_workgroup_size: 256
    .name:           _ZN9rocsparseL23bsrgemm_fill_wf_per_rowILj256ELj64ELj8ELj137ELj4ElidEEv20rocsparse_direction_T5_S2_S2_PKS2_S4_NS_24const_host_device_scalarIT6_EEPKT4_S4_PKS6_SA_S4_SC_S7_SA_S4_SC_SA_PS2_PS6_21rocsparse_index_base_SF_SF_SF_bbb
    .private_segment_fixed_size: 0
    .sgpr_count:     51
    .sgpr_spill_count: 0
    .symbol:         _ZN9rocsparseL23bsrgemm_fill_wf_per_rowILj256ELj64ELj8ELj137ELj4ElidEEv20rocsparse_direction_T5_S2_S2_PKS2_S4_NS_24const_host_device_scalarIT6_EEPKT4_S4_PKS6_SA_S4_SC_S7_SA_S4_SC_SA_PS2_PS6_21rocsparse_index_base_SF_SF_SF_bbb.kd
    .uniform_work_group_size: 1
    .uses_dynamic_stack: false
    .vgpr_count:     45
    .vgpr_spill_count: 0
    .wavefront_size: 32
    .workgroup_processor_mode: 1
  - .args:
      - .offset:         0
        .size:           4
        .value_kind:     by_value
      - .offset:         4
        .size:           4
        .value_kind:     by_value
      - .offset:         8
        .size:           4
        .value_kind:     by_value
      - .offset:         12
        .size:           4
        .value_kind:     by_value
      - .actual_access:  read_only
        .address_space:  global
        .offset:         16
        .size:           8
        .value_kind:     global_buffer
      - .actual_access:  read_only
        .address_space:  global
        .offset:         24
        .size:           8
        .value_kind:     global_buffer
      - .offset:         32
        .size:           8
        .value_kind:     by_value
      - .actual_access:  read_only
        .address_space:  global
        .offset:         40
        .size:           8
        .value_kind:     global_buffer
      - .actual_access:  read_only
        .address_space:  global
        .offset:         48
        .size:           8
        .value_kind:     global_buffer
      - .actual_access:  read_only
        .address_space:  global
        .offset:         56
        .size:           8
        .value_kind:     global_buffer
      - .actual_access:  read_only
        .address_space:  global
        .offset:         64
        .size:           8
        .value_kind:     global_buffer
      - .actual_access:  read_only
        .address_space:  global
        .offset:         72
        .size:           8
        .value_kind:     global_buffer
      - .actual_access:  read_only
        .address_space:  global
        .offset:         80
        .size:           8
        .value_kind:     global_buffer
      - .offset:         88
        .size:           8
        .value_kind:     by_value
      - .actual_access:  read_only
        .address_space:  global
        .offset:         96
        .size:           8
        .value_kind:     global_buffer
      - .actual_access:  read_only
        .address_space:  global
        .offset:         104
        .size:           8
        .value_kind:     global_buffer
      - .actual_access:  read_only
        .address_space:  global
        .offset:         112
        .size:           8
        .value_kind:     global_buffer
      - .actual_access:  read_only
        .address_space:  global
        .offset:         120
        .size:           8
        .value_kind:     global_buffer
      - .actual_access:  write_only
        .address_space:  global
        .offset:         128
        .size:           8
        .value_kind:     global_buffer
      - .actual_access:  write_only
        .address_space:  global
        .offset:         136
        .size:           8
        .value_kind:     global_buffer
      - .offset:         144
        .size:           4
        .value_kind:     by_value
      - .offset:         148
        .size:           4
        .value_kind:     by_value
      - .offset:         152
        .size:           4
        .value_kind:     by_value
      - .offset:         156
        .size:           4
        .value_kind:     by_value
      - .offset:         160
        .size:           1
        .value_kind:     by_value
      - .offset:         161
        .size:           1
        .value_kind:     by_value
      - .offset:         162
        .size:           1
        .value_kind:     by_value
    .group_segment_fixed_size: 8448
    .kernarg_segment_align: 8
    .kernarg_segment_size: 164
    .language:       OpenCL C
    .language_version:
      - 2
      - 0
    .max_flat_workgroup_size: 256
    .name:           _ZN9rocsparseL23bsrgemm_fill_wf_per_rowILj256ELj64ELj16ELj137ELj4ElidEEv20rocsparse_direction_T5_S2_S2_PKS2_S4_NS_24const_host_device_scalarIT6_EEPKT4_S4_PKS6_SA_S4_SC_S7_SA_S4_SC_SA_PS2_PS6_21rocsparse_index_base_SF_SF_SF_bbb
    .private_segment_fixed_size: 0
    .sgpr_count:     51
    .sgpr_spill_count: 0
    .symbol:         _ZN9rocsparseL23bsrgemm_fill_wf_per_rowILj256ELj64ELj16ELj137ELj4ElidEEv20rocsparse_direction_T5_S2_S2_PKS2_S4_NS_24const_host_device_scalarIT6_EEPKT4_S4_PKS6_SA_S4_SC_S7_SA_S4_SC_SA_PS2_PS6_21rocsparse_index_base_SF_SF_SF_bbb.kd
    .uniform_work_group_size: 1
    .uses_dynamic_stack: false
    .vgpr_count:     45
    .vgpr_spill_count: 0
    .wavefront_size: 32
    .workgroup_processor_mode: 1
  - .args:
      - .offset:         0
        .size:           4
        .value_kind:     by_value
      - .offset:         4
        .size:           4
        .value_kind:     by_value
      - .offset:         8
        .size:           4
        .value_kind:     by_value
      - .actual_access:  read_only
        .address_space:  global
        .offset:         16
        .size:           8
        .value_kind:     global_buffer
      - .actual_access:  read_only
        .address_space:  global
        .offset:         24
        .size:           8
        .value_kind:     global_buffer
      - .offset:         32
        .size:           8
        .value_kind:     by_value
      - .actual_access:  read_only
        .address_space:  global
        .offset:         40
        .size:           8
        .value_kind:     global_buffer
      - .actual_access:  read_only
        .address_space:  global
        .offset:         48
        .size:           8
        .value_kind:     global_buffer
      - .actual_access:  read_only
        .address_space:  global
        .offset:         56
        .size:           8
        .value_kind:     global_buffer
      - .actual_access:  read_only
        .address_space:  global
        .offset:         64
        .size:           8
        .value_kind:     global_buffer
      - .actual_access:  read_only
        .address_space:  global
        .offset:         72
        .size:           8
        .value_kind:     global_buffer
      - .actual_access:  read_only
        .address_space:  global
        .offset:         80
        .size:           8
        .value_kind:     global_buffer
      - .offset:         88
        .size:           8
        .value_kind:     by_value
      - .actual_access:  read_only
        .address_space:  global
        .offset:         96
        .size:           8
        .value_kind:     global_buffer
      - .actual_access:  read_only
        .address_space:  global
        .offset:         104
        .size:           8
        .value_kind:     global_buffer
      - .actual_access:  read_only
        .address_space:  global
        .offset:         112
        .size:           8
        .value_kind:     global_buffer
      - .actual_access:  read_only
        .address_space:  global
        .offset:         120
        .size:           8
        .value_kind:     global_buffer
      - .actual_access:  write_only
        .address_space:  global
        .offset:         128
        .size:           8
        .value_kind:     global_buffer
      - .actual_access:  write_only
        .address_space:  global
        .offset:         136
        .size:           8
        .value_kind:     global_buffer
      - .address_space:  global
        .offset:         144
        .size:           8
        .value_kind:     global_buffer
      - .offset:         152
        .size:           4
        .value_kind:     by_value
      - .offset:         156
        .size:           4
        .value_kind:     by_value
      - .offset:         160
        .size:           4
        .value_kind:     by_value
      - .offset:         164
        .size:           4
        .value_kind:     by_value
      - .offset:         168
        .size:           1
        .value_kind:     by_value
      - .offset:         169
        .size:           1
        .value_kind:     by_value
      - .offset:         170
        .size:           1
        .value_kind:     by_value
    .group_segment_fixed_size: 6280
    .kernarg_segment_align: 8
    .kernarg_segment_size: 172
    .language:       OpenCL C
    .language_version:
      - 2
      - 0
    .max_flat_workgroup_size: 256
    .name:           _ZN9rocsparseL38bsrgemm_block_per_row_atomic_multipassILj256ELj32ELj4ElidEEv20rocsparse_direction_T3_S2_PKS2_S4_NS_24const_host_device_scalarIT4_EEPKT2_S4_PKS6_SA_S4_SC_S7_SA_S4_SC_SA_PS2_PS6_PS8_21rocsparse_index_base_SG_SG_SG_bbb
    .private_segment_fixed_size: 0
    .sgpr_count:     66
    .sgpr_spill_count: 0
    .symbol:         _ZN9rocsparseL38bsrgemm_block_per_row_atomic_multipassILj256ELj32ELj4ElidEEv20rocsparse_direction_T3_S2_PKS2_S4_NS_24const_host_device_scalarIT4_EEPKT2_S4_PKS6_SA_S4_SC_S7_SA_S4_SC_SA_PS2_PS6_PS8_21rocsparse_index_base_SG_SG_SG_bbb.kd
    .uniform_work_group_size: 1
    .uses_dynamic_stack: false
    .vgpr_count:     61
    .vgpr_spill_count: 0
    .wavefront_size: 32
    .workgroup_processor_mode: 1
  - .args:
      - .offset:         0
        .size:           4
        .value_kind:     by_value
      - .offset:         4
        .size:           4
        .value_kind:     by_value
      - .offset:         8
        .size:           4
        .value_kind:     by_value
      - .actual_access:  read_only
        .address_space:  global
        .offset:         16
        .size:           8
        .value_kind:     global_buffer
      - .actual_access:  read_only
        .address_space:  global
        .offset:         24
        .size:           8
        .value_kind:     global_buffer
      - .offset:         32
        .size:           8
        .value_kind:     by_value
      - .actual_access:  read_only
        .address_space:  global
        .offset:         40
        .size:           8
        .value_kind:     global_buffer
      - .actual_access:  read_only
        .address_space:  global
        .offset:         48
        .size:           8
        .value_kind:     global_buffer
      - .actual_access:  read_only
        .address_space:  global
        .offset:         56
        .size:           8
        .value_kind:     global_buffer
      - .actual_access:  read_only
        .address_space:  global
        .offset:         64
        .size:           8
        .value_kind:     global_buffer
      - .actual_access:  read_only
        .address_space:  global
        .offset:         72
        .size:           8
        .value_kind:     global_buffer
      - .actual_access:  read_only
        .address_space:  global
        .offset:         80
        .size:           8
        .value_kind:     global_buffer
      - .offset:         88
        .size:           8
        .value_kind:     by_value
      - .actual_access:  read_only
        .address_space:  global
        .offset:         96
        .size:           8
        .value_kind:     global_buffer
      - .actual_access:  read_only
        .address_space:  global
        .offset:         104
        .size:           8
        .value_kind:     global_buffer
      - .actual_access:  read_only
        .address_space:  global
        .offset:         112
        .size:           8
        .value_kind:     global_buffer
      - .actual_access:  read_only
        .address_space:  global
        .offset:         120
        .size:           8
        .value_kind:     global_buffer
      - .actual_access:  write_only
        .address_space:  global
        .offset:         128
        .size:           8
        .value_kind:     global_buffer
      - .actual_access:  write_only
        .address_space:  global
        .offset:         136
        .size:           8
        .value_kind:     global_buffer
      - .address_space:  global
        .offset:         144
        .size:           8
        .value_kind:     global_buffer
      - .offset:         152
        .size:           4
        .value_kind:     by_value
      - .offset:         156
        .size:           4
        .value_kind:     by_value
      - .offset:         160
        .size:           4
        .value_kind:     by_value
      - .offset:         164
        .size:           4
        .value_kind:     by_value
      - .offset:         168
        .size:           1
        .value_kind:     by_value
      - .offset:         169
        .size:           1
        .value_kind:     by_value
      - .offset:         170
        .size:           1
        .value_kind:     by_value
    .group_segment_fixed_size: 10504
    .kernarg_segment_align: 8
    .kernarg_segment_size: 172
    .language:       OpenCL C
    .language_version:
      - 2
      - 0
    .max_flat_workgroup_size: 256
    .name:           _ZN9rocsparseL38bsrgemm_block_per_row_atomic_multipassILj256ELj64ELj4ElidEEv20rocsparse_direction_T3_S2_PKS2_S4_NS_24const_host_device_scalarIT4_EEPKT2_S4_PKS6_SA_S4_SC_S7_SA_S4_SC_SA_PS2_PS6_PS8_21rocsparse_index_base_SG_SG_SG_bbb
    .private_segment_fixed_size: 0
    .sgpr_count:     66
    .sgpr_spill_count: 0
    .symbol:         _ZN9rocsparseL38bsrgemm_block_per_row_atomic_multipassILj256ELj64ELj4ElidEEv20rocsparse_direction_T3_S2_PKS2_S4_NS_24const_host_device_scalarIT4_EEPKT2_S4_PKS6_SA_S4_SC_S7_SA_S4_SC_SA_PS2_PS6_PS8_21rocsparse_index_base_SG_SG_SG_bbb.kd
    .uniform_work_group_size: 1
    .uses_dynamic_stack: false
    .vgpr_count:     63
    .vgpr_spill_count: 0
    .wavefront_size: 32
    .workgroup_processor_mode: 1
  - .args:
      - .offset:         0
        .size:           4
        .value_kind:     by_value
      - .offset:         4
        .size:           4
        .value_kind:     by_value
      - .offset:         8
        .size:           4
        .value_kind:     by_value
      - .actual_access:  read_only
        .address_space:  global
        .offset:         16
        .size:           8
        .value_kind:     global_buffer
      - .actual_access:  read_only
        .address_space:  global
        .offset:         24
        .size:           8
        .value_kind:     global_buffer
      - .offset:         32
        .size:           8
        .value_kind:     by_value
      - .actual_access:  read_only
        .address_space:  global
        .offset:         40
        .size:           8
        .value_kind:     global_buffer
      - .actual_access:  read_only
        .address_space:  global
        .offset:         48
        .size:           8
        .value_kind:     global_buffer
      - .actual_access:  read_only
        .address_space:  global
        .offset:         56
        .size:           8
        .value_kind:     global_buffer
      - .actual_access:  read_only
        .address_space:  global
        .offset:         64
        .size:           8
        .value_kind:     global_buffer
      - .actual_access:  read_only
        .address_space:  global
        .offset:         72
        .size:           8
        .value_kind:     global_buffer
      - .actual_access:  read_only
        .address_space:  global
        .offset:         80
        .size:           8
        .value_kind:     global_buffer
      - .offset:         88
        .size:           8
        .value_kind:     by_value
      - .actual_access:  read_only
        .address_space:  global
        .offset:         96
        .size:           8
        .value_kind:     global_buffer
      - .actual_access:  read_only
        .address_space:  global
        .offset:         104
        .size:           8
        .value_kind:     global_buffer
      - .actual_access:  read_only
        .address_space:  global
        .offset:         112
        .size:           8
        .value_kind:     global_buffer
      - .actual_access:  read_only
        .address_space:  global
        .offset:         120
        .size:           8
        .value_kind:     global_buffer
      - .actual_access:  write_only
        .address_space:  global
        .offset:         128
        .size:           8
        .value_kind:     global_buffer
      - .actual_access:  write_only
        .address_space:  global
        .offset:         136
        .size:           8
        .value_kind:     global_buffer
      - .address_space:  global
        .offset:         144
        .size:           8
        .value_kind:     global_buffer
      - .offset:         152
        .size:           4
        .value_kind:     by_value
      - .offset:         156
        .size:           4
        .value_kind:     by_value
      - .offset:         160
        .size:           4
        .value_kind:     by_value
      - .offset:         164
        .size:           4
        .value_kind:     by_value
      - .offset:         168
        .size:           1
        .value_kind:     by_value
      - .offset:         169
        .size:           1
        .value_kind:     by_value
      - .offset:         170
        .size:           1
        .value_kind:     by_value
    .group_segment_fixed_size: 18952
    .kernarg_segment_align: 8
    .kernarg_segment_size: 172
    .language:       OpenCL C
    .language_version:
      - 2
      - 0
    .max_flat_workgroup_size: 256
    .name:           _ZN9rocsparseL38bsrgemm_block_per_row_atomic_multipassILj256ELj128ELj4ElidEEv20rocsparse_direction_T3_S2_PKS2_S4_NS_24const_host_device_scalarIT4_EEPKT2_S4_PKS6_SA_S4_SC_S7_SA_S4_SC_SA_PS2_PS6_PS8_21rocsparse_index_base_SG_SG_SG_bbb
    .private_segment_fixed_size: 0
    .sgpr_count:     70
    .sgpr_spill_count: 0
    .symbol:         _ZN9rocsparseL38bsrgemm_block_per_row_atomic_multipassILj256ELj128ELj4ElidEEv20rocsparse_direction_T3_S2_PKS2_S4_NS_24const_host_device_scalarIT4_EEPKT2_S4_PKS6_SA_S4_SC_S7_SA_S4_SC_SA_PS2_PS6_PS8_21rocsparse_index_base_SG_SG_SG_bbb.kd
    .uniform_work_group_size: 1
    .uses_dynamic_stack: false
    .vgpr_count:     64
    .vgpr_spill_count: 0
    .wavefront_size: 32
    .workgroup_processor_mode: 1
  - .args:
      - .offset:         0
        .size:           4
        .value_kind:     by_value
      - .offset:         4
        .size:           4
        .value_kind:     by_value
      - .offset:         8
        .size:           4
        .value_kind:     by_value
      - .offset:         12
        .size:           4
        .value_kind:     by_value
      - .actual_access:  read_only
        .address_space:  global
        .offset:         16
        .size:           8
        .value_kind:     global_buffer
      - .actual_access:  read_only
        .address_space:  global
        .offset:         24
        .size:           8
        .value_kind:     global_buffer
      - .offset:         32
        .size:           8
        .value_kind:     by_value
      - .actual_access:  read_only
        .address_space:  global
        .offset:         40
        .size:           8
        .value_kind:     global_buffer
      - .actual_access:  read_only
        .address_space:  global
        .offset:         48
        .size:           8
        .value_kind:     global_buffer
      - .actual_access:  read_only
        .address_space:  global
        .offset:         56
        .size:           8
        .value_kind:     global_buffer
      - .actual_access:  read_only
        .address_space:  global
        .offset:         64
        .size:           8
        .value_kind:     global_buffer
      - .actual_access:  read_only
        .address_space:  global
        .offset:         72
        .size:           8
        .value_kind:     global_buffer
      - .actual_access:  read_only
        .address_space:  global
        .offset:         80
        .size:           8
        .value_kind:     global_buffer
      - .offset:         88
        .size:           8
        .value_kind:     by_value
      - .actual_access:  read_only
        .address_space:  global
        .offset:         96
        .size:           8
        .value_kind:     global_buffer
      - .actual_access:  read_only
        .address_space:  global
        .offset:         104
        .size:           8
        .value_kind:     global_buffer
      - .actual_access:  read_only
        .address_space:  global
        .offset:         112
        .size:           8
        .value_kind:     global_buffer
      - .actual_access:  read_only
        .address_space:  global
        .offset:         120
        .size:           8
        .value_kind:     global_buffer
      - .actual_access:  write_only
        .address_space:  global
        .offset:         128
        .size:           8
        .value_kind:     global_buffer
      - .actual_access:  write_only
        .address_space:  global
        .offset:         136
        .size:           8
        .value_kind:     global_buffer
      - .offset:         144
        .size:           4
        .value_kind:     by_value
      - .offset:         148
        .size:           4
        .value_kind:     by_value
      - .offset:         152
        .size:           4
        .value_kind:     by_value
      - .offset:         156
        .size:           4
        .value_kind:     by_value
      - .offset:         160
        .size:           1
        .value_kind:     by_value
      - .offset:         161
        .size:           1
        .value_kind:     by_value
      - .offset:         162
        .size:           1
        .value_kind:     by_value
    .group_segment_fixed_size: 16512
    .kernarg_segment_align: 8
    .kernarg_segment_size: 164
    .language:       OpenCL C
    .language_version:
      - 2
      - 0
    .max_flat_workgroup_size: 256
    .name:           _ZN9rocsparseL23bsrgemm_fill_wf_per_rowILj256ELj64ELj8ELj137ELj8ElidEEv20rocsparse_direction_T5_S2_S2_PKS2_S4_NS_24const_host_device_scalarIT6_EEPKT4_S4_PKS6_SA_S4_SC_S7_SA_S4_SC_SA_PS2_PS6_21rocsparse_index_base_SF_SF_SF_bbb
    .private_segment_fixed_size: 0
    .sgpr_count:     50
    .sgpr_spill_count: 0
    .symbol:         _ZN9rocsparseL23bsrgemm_fill_wf_per_rowILj256ELj64ELj8ELj137ELj8ElidEEv20rocsparse_direction_T5_S2_S2_PKS2_S4_NS_24const_host_device_scalarIT6_EEPKT4_S4_PKS6_SA_S4_SC_S7_SA_S4_SC_SA_PS2_PS6_21rocsparse_index_base_SF_SF_SF_bbb.kd
    .uniform_work_group_size: 1
    .uses_dynamic_stack: false
    .vgpr_count:     44
    .vgpr_spill_count: 0
    .wavefront_size: 32
    .workgroup_processor_mode: 1
  - .args:
      - .offset:         0
        .size:           4
        .value_kind:     by_value
      - .offset:         4
        .size:           4
        .value_kind:     by_value
      - .offset:         8
        .size:           4
        .value_kind:     by_value
      - .actual_access:  read_only
        .address_space:  global
        .offset:         16
        .size:           8
        .value_kind:     global_buffer
      - .actual_access:  read_only
        .address_space:  global
        .offset:         24
        .size:           8
        .value_kind:     global_buffer
      - .offset:         32
        .size:           8
        .value_kind:     by_value
      - .actual_access:  read_only
        .address_space:  global
        .offset:         40
        .size:           8
        .value_kind:     global_buffer
      - .actual_access:  read_only
        .address_space:  global
        .offset:         48
        .size:           8
        .value_kind:     global_buffer
      - .actual_access:  read_only
        .address_space:  global
        .offset:         56
        .size:           8
        .value_kind:     global_buffer
      - .actual_access:  read_only
        .address_space:  global
        .offset:         64
        .size:           8
        .value_kind:     global_buffer
      - .actual_access:  read_only
        .address_space:  global
        .offset:         72
        .size:           8
        .value_kind:     global_buffer
      - .actual_access:  read_only
        .address_space:  global
        .offset:         80
        .size:           8
        .value_kind:     global_buffer
      - .offset:         88
        .size:           8
        .value_kind:     by_value
      - .actual_access:  read_only
        .address_space:  global
        .offset:         96
        .size:           8
        .value_kind:     global_buffer
      - .actual_access:  read_only
        .address_space:  global
        .offset:         104
        .size:           8
        .value_kind:     global_buffer
      - .actual_access:  read_only
        .address_space:  global
        .offset:         112
        .size:           8
        .value_kind:     global_buffer
      - .actual_access:  read_only
        .address_space:  global
        .offset:         120
        .size:           8
        .value_kind:     global_buffer
      - .actual_access:  write_only
        .address_space:  global
        .offset:         128
        .size:           8
        .value_kind:     global_buffer
      - .actual_access:  write_only
        .address_space:  global
        .offset:         136
        .size:           8
        .value_kind:     global_buffer
      - .address_space:  global
        .offset:         144
        .size:           8
        .value_kind:     global_buffer
      - .offset:         152
        .size:           4
        .value_kind:     by_value
      - .offset:         156
        .size:           4
        .value_kind:     by_value
      - .offset:         160
        .size:           4
        .value_kind:     by_value
      - .offset:         164
        .size:           4
        .value_kind:     by_value
      - .offset:         168
        .size:           1
        .value_kind:     by_value
      - .offset:         169
        .size:           1
        .value_kind:     by_value
      - .offset:         170
        .size:           1
        .value_kind:     by_value
    .group_segment_fixed_size: 10312
    .kernarg_segment_align: 8
    .kernarg_segment_size: 172
    .language:       OpenCL C
    .language_version:
      - 2
      - 0
    .max_flat_workgroup_size: 256
    .name:           _ZN9rocsparseL38bsrgemm_block_per_row_atomic_multipassILj256ELj16ELj8ElidEEv20rocsparse_direction_T3_S2_PKS2_S4_NS_24const_host_device_scalarIT4_EEPKT2_S4_PKS6_SA_S4_SC_S7_SA_S4_SC_SA_PS2_PS6_PS8_21rocsparse_index_base_SG_SG_SG_bbb
    .private_segment_fixed_size: 0
    .sgpr_count:     60
    .sgpr_spill_count: 0
    .symbol:         _ZN9rocsparseL38bsrgemm_block_per_row_atomic_multipassILj256ELj16ELj8ElidEEv20rocsparse_direction_T3_S2_PKS2_S4_NS_24const_host_device_scalarIT4_EEPKT2_S4_PKS6_SA_S4_SC_S7_SA_S4_SC_SA_PS2_PS6_PS8_21rocsparse_index_base_SG_SG_SG_bbb.kd
    .uniform_work_group_size: 1
    .uses_dynamic_stack: false
    .vgpr_count:     61
    .vgpr_spill_count: 0
    .wavefront_size: 32
    .workgroup_processor_mode: 1
  - .args:
      - .offset:         0
        .size:           4
        .value_kind:     by_value
      - .offset:         4
        .size:           4
        .value_kind:     by_value
      - .offset:         8
        .size:           4
        .value_kind:     by_value
      - .actual_access:  read_only
        .address_space:  global
        .offset:         16
        .size:           8
        .value_kind:     global_buffer
      - .actual_access:  read_only
        .address_space:  global
        .offset:         24
        .size:           8
        .value_kind:     global_buffer
      - .offset:         32
        .size:           8
        .value_kind:     by_value
      - .actual_access:  read_only
        .address_space:  global
        .offset:         40
        .size:           8
        .value_kind:     global_buffer
      - .actual_access:  read_only
        .address_space:  global
        .offset:         48
        .size:           8
        .value_kind:     global_buffer
      - .actual_access:  read_only
        .address_space:  global
        .offset:         56
        .size:           8
        .value_kind:     global_buffer
      - .actual_access:  read_only
        .address_space:  global
        .offset:         64
        .size:           8
        .value_kind:     global_buffer
      - .actual_access:  read_only
        .address_space:  global
        .offset:         72
        .size:           8
        .value_kind:     global_buffer
      - .actual_access:  read_only
        .address_space:  global
        .offset:         80
        .size:           8
        .value_kind:     global_buffer
      - .offset:         88
        .size:           8
        .value_kind:     by_value
      - .actual_access:  read_only
        .address_space:  global
        .offset:         96
        .size:           8
        .value_kind:     global_buffer
      - .actual_access:  read_only
        .address_space:  global
        .offset:         104
        .size:           8
        .value_kind:     global_buffer
      - .actual_access:  read_only
        .address_space:  global
        .offset:         112
        .size:           8
        .value_kind:     global_buffer
      - .actual_access:  read_only
        .address_space:  global
        .offset:         120
        .size:           8
        .value_kind:     global_buffer
      - .actual_access:  write_only
        .address_space:  global
        .offset:         128
        .size:           8
        .value_kind:     global_buffer
      - .actual_access:  write_only
        .address_space:  global
        .offset:         136
        .size:           8
        .value_kind:     global_buffer
      - .address_space:  global
        .offset:         144
        .size:           8
        .value_kind:     global_buffer
      - .offset:         152
        .size:           4
        .value_kind:     by_value
      - .offset:         156
        .size:           4
        .value_kind:     by_value
      - .offset:         160
        .size:           4
        .value_kind:     by_value
      - .offset:         164
        .size:           4
        .value_kind:     by_value
      - .offset:         168
        .size:           1
        .value_kind:     by_value
      - .offset:         169
        .size:           1
        .value_kind:     by_value
      - .offset:         170
        .size:           1
        .value_kind:     by_value
    .group_segment_fixed_size: 18568
    .kernarg_segment_align: 8
    .kernarg_segment_size: 172
    .language:       OpenCL C
    .language_version:
      - 2
      - 0
    .max_flat_workgroup_size: 256
    .name:           _ZN9rocsparseL38bsrgemm_block_per_row_atomic_multipassILj256ELj32ELj8ElidEEv20rocsparse_direction_T3_S2_PKS2_S4_NS_24const_host_device_scalarIT4_EEPKT2_S4_PKS6_SA_S4_SC_S7_SA_S4_SC_SA_PS2_PS6_PS8_21rocsparse_index_base_SG_SG_SG_bbb
    .private_segment_fixed_size: 0
    .sgpr_count:     64
    .sgpr_spill_count: 0
    .symbol:         _ZN9rocsparseL38bsrgemm_block_per_row_atomic_multipassILj256ELj32ELj8ElidEEv20rocsparse_direction_T3_S2_PKS2_S4_NS_24const_host_device_scalarIT4_EEPKT2_S4_PKS6_SA_S4_SC_S7_SA_S4_SC_SA_PS2_PS6_PS8_21rocsparse_index_base_SG_SG_SG_bbb.kd
    .uniform_work_group_size: 1
    .uses_dynamic_stack: false
    .vgpr_count:     62
    .vgpr_spill_count: 0
    .wavefront_size: 32
    .workgroup_processor_mode: 1
  - .args:
      - .offset:         0
        .size:           4
        .value_kind:     by_value
      - .offset:         4
        .size:           4
        .value_kind:     by_value
      - .offset:         8
        .size:           4
        .value_kind:     by_value
      - .actual_access:  read_only
        .address_space:  global
        .offset:         16
        .size:           8
        .value_kind:     global_buffer
      - .actual_access:  read_only
        .address_space:  global
        .offset:         24
        .size:           8
        .value_kind:     global_buffer
      - .offset:         32
        .size:           8
        .value_kind:     by_value
      - .actual_access:  read_only
        .address_space:  global
        .offset:         40
        .size:           8
        .value_kind:     global_buffer
      - .actual_access:  read_only
        .address_space:  global
        .offset:         48
        .size:           8
        .value_kind:     global_buffer
      - .actual_access:  read_only
        .address_space:  global
        .offset:         56
        .size:           8
        .value_kind:     global_buffer
      - .actual_access:  read_only
        .address_space:  global
        .offset:         64
        .size:           8
        .value_kind:     global_buffer
      - .actual_access:  read_only
        .address_space:  global
        .offset:         72
        .size:           8
        .value_kind:     global_buffer
      - .actual_access:  read_only
        .address_space:  global
        .offset:         80
        .size:           8
        .value_kind:     global_buffer
      - .offset:         88
        .size:           8
        .value_kind:     by_value
      - .actual_access:  read_only
        .address_space:  global
        .offset:         96
        .size:           8
        .value_kind:     global_buffer
      - .actual_access:  read_only
        .address_space:  global
        .offset:         104
        .size:           8
        .value_kind:     global_buffer
      - .actual_access:  read_only
        .address_space:  global
        .offset:         112
        .size:           8
        .value_kind:     global_buffer
      - .actual_access:  read_only
        .address_space:  global
        .offset:         120
        .size:           8
        .value_kind:     global_buffer
      - .actual_access:  write_only
        .address_space:  global
        .offset:         128
        .size:           8
        .value_kind:     global_buffer
      - .actual_access:  write_only
        .address_space:  global
        .offset:         136
        .size:           8
        .value_kind:     global_buffer
      - .address_space:  global
        .offset:         144
        .size:           8
        .value_kind:     global_buffer
      - .offset:         152
        .size:           4
        .value_kind:     by_value
      - .offset:         156
        .size:           4
        .value_kind:     by_value
      - .offset:         160
        .size:           4
        .value_kind:     by_value
      - .offset:         164
        .size:           4
        .value_kind:     by_value
      - .offset:         168
        .size:           1
        .value_kind:     by_value
      - .offset:         169
        .size:           1
        .value_kind:     by_value
      - .offset:         170
        .size:           1
        .value_kind:     by_value
    .group_segment_fixed_size: 16392
    .kernarg_segment_align: 8
    .kernarg_segment_size: 172
    .language:       OpenCL C
    .language_version:
      - 2
      - 0
    .max_flat_workgroup_size: 256
    .name:           _ZN9rocsparseL31bsrgemm_block_per_row_multipassILj256ELj8ELj16ElidEEv20rocsparse_direction_T3_S2_PKS2_S4_NS_24const_host_device_scalarIT4_EEPKT2_S4_PKS6_SA_S4_SC_S7_SA_S4_SC_SA_PS2_PS6_PS8_21rocsparse_index_base_SG_SG_SG_bbb
    .private_segment_fixed_size: 0
    .sgpr_count:     68
    .sgpr_spill_count: 0
    .symbol:         _ZN9rocsparseL31bsrgemm_block_per_row_multipassILj256ELj8ELj16ElidEEv20rocsparse_direction_T3_S2_PKS2_S4_NS_24const_host_device_scalarIT4_EEPKT2_S4_PKS6_SA_S4_SC_S7_SA_S4_SC_SA_PS2_PS6_PS8_21rocsparse_index_base_SG_SG_SG_bbb.kd
    .uniform_work_group_size: 1
    .uses_dynamic_stack: false
    .vgpr_count:     51
    .vgpr_spill_count: 0
    .wavefront_size: 32
    .workgroup_processor_mode: 1
  - .args:
      - .offset:         0
        .size:           4
        .value_kind:     by_value
      - .offset:         4
        .size:           4
        .value_kind:     by_value
      - .offset:         8
        .size:           4
        .value_kind:     by_value
      - .actual_access:  read_only
        .address_space:  global
        .offset:         16
        .size:           8
        .value_kind:     global_buffer
      - .actual_access:  read_only
        .address_space:  global
        .offset:         24
        .size:           8
        .value_kind:     global_buffer
      - .offset:         32
        .size:           8
        .value_kind:     by_value
      - .actual_access:  read_only
        .address_space:  global
        .offset:         40
        .size:           8
        .value_kind:     global_buffer
      - .actual_access:  read_only
        .address_space:  global
        .offset:         48
        .size:           8
        .value_kind:     global_buffer
      - .actual_access:  read_only
        .address_space:  global
        .offset:         56
        .size:           8
        .value_kind:     global_buffer
      - .actual_access:  read_only
        .address_space:  global
        .offset:         64
        .size:           8
        .value_kind:     global_buffer
      - .actual_access:  read_only
        .address_space:  global
        .offset:         72
        .size:           8
        .value_kind:     global_buffer
      - .actual_access:  read_only
        .address_space:  global
        .offset:         80
        .size:           8
        .value_kind:     global_buffer
      - .offset:         88
        .size:           8
        .value_kind:     by_value
      - .actual_access:  read_only
        .address_space:  global
        .offset:         96
        .size:           8
        .value_kind:     global_buffer
      - .actual_access:  read_only
        .address_space:  global
        .offset:         104
        .size:           8
        .value_kind:     global_buffer
      - .actual_access:  read_only
        .address_space:  global
        .offset:         112
        .size:           8
        .value_kind:     global_buffer
      - .actual_access:  read_only
        .address_space:  global
        .offset:         120
        .size:           8
        .value_kind:     global_buffer
      - .actual_access:  write_only
        .address_space:  global
        .offset:         128
        .size:           8
        .value_kind:     global_buffer
      - .actual_access:  write_only
        .address_space:  global
        .offset:         136
        .size:           8
        .value_kind:     global_buffer
      - .address_space:  global
        .offset:         144
        .size:           8
        .value_kind:     global_buffer
      - .offset:         152
        .size:           4
        .value_kind:     by_value
      - .offset:         156
        .size:           4
        .value_kind:     by_value
      - .offset:         160
        .size:           4
        .value_kind:     by_value
      - .offset:         164
        .size:           4
        .value_kind:     by_value
      - .offset:         168
        .size:           1
        .value_kind:     by_value
      - .offset:         169
        .size:           1
        .value_kind:     by_value
      - .offset:         170
        .size:           1
        .value_kind:     by_value
    .group_segment_fixed_size: 16392
    .kernarg_segment_align: 8
    .kernarg_segment_size: 172
    .language:       OpenCL C
    .language_version:
      - 2
      - 0
    .max_flat_workgroup_size: 256
    .name:           _ZN9rocsparseL31bsrgemm_block_per_row_multipassILj256ELj2ELj32ElidEEv20rocsparse_direction_T3_S2_PKS2_S4_NS_24const_host_device_scalarIT4_EEPKT2_S4_PKS6_SA_S4_SC_S7_SA_S4_SC_SA_PS2_PS6_PS8_21rocsparse_index_base_SG_SG_SG_bbb
    .private_segment_fixed_size: 0
    .sgpr_count:     74
    .sgpr_spill_count: 0
    .symbol:         _ZN9rocsparseL31bsrgemm_block_per_row_multipassILj256ELj2ELj32ElidEEv20rocsparse_direction_T3_S2_PKS2_S4_NS_24const_host_device_scalarIT4_EEPKT2_S4_PKS6_SA_S4_SC_S7_SA_S4_SC_SA_PS2_PS6_PS8_21rocsparse_index_base_SG_SG_SG_bbb.kd
    .uniform_work_group_size: 1
    .uses_dynamic_stack: false
    .vgpr_count:     91
    .vgpr_spill_count: 0
    .wavefront_size: 32
    .workgroup_processor_mode: 1
  - .args:
      - .offset:         0
        .size:           4
        .value_kind:     by_value
      - .actual_access:  read_only
        .address_space:  global
        .offset:         8
        .size:           8
        .value_kind:     global_buffer
      - .actual_access:  write_only
        .address_space:  global
        .offset:         16
        .size:           8
        .value_kind:     global_buffer
      - .actual_access:  write_only
        .address_space:  global
        .offset:         24
        .size:           8
        .value_kind:     global_buffer
      - .offset:         32
        .size:           4
        .value_kind:     hidden_block_count_x
      - .offset:         36
        .size:           4
        .value_kind:     hidden_block_count_y
      - .offset:         40
        .size:           4
        .value_kind:     hidden_block_count_z
      - .offset:         44
        .size:           2
        .value_kind:     hidden_group_size_x
      - .offset:         46
        .size:           2
        .value_kind:     hidden_group_size_y
      - .offset:         48
        .size:           2
        .value_kind:     hidden_group_size_z
      - .offset:         50
        .size:           2
        .value_kind:     hidden_remainder_x
      - .offset:         52
        .size:           2
        .value_kind:     hidden_remainder_y
      - .offset:         54
        .size:           2
        .value_kind:     hidden_remainder_z
      - .offset:         72
        .size:           8
        .value_kind:     hidden_global_offset_x
      - .offset:         80
        .size:           8
        .value_kind:     hidden_global_offset_y
      - .offset:         88
        .size:           8
        .value_kind:     hidden_global_offset_z
      - .offset:         96
        .size:           2
        .value_kind:     hidden_grid_dims
    .group_segment_fixed_size: 8192
    .kernarg_segment_align: 8
    .kernarg_segment_size: 288
    .language:       OpenCL C
    .language_version:
      - 2
      - 0
    .max_flat_workgroup_size: 256
    .name:           _ZN9rocsparseL26bsrgemm_group_reduce_part2ILj256ELj8ELj2E21rocsparse_complex_numIfEliEEvT4_PKT3_PS3_Pi
    .private_segment_fixed_size: 0
    .sgpr_count:     20
    .sgpr_spill_count: 0
    .symbol:         _ZN9rocsparseL26bsrgemm_group_reduce_part2ILj256ELj8ELj2E21rocsparse_complex_numIfEliEEvT4_PKT3_PS3_Pi.kd
    .uniform_work_group_size: 1
    .uses_dynamic_stack: false
    .vgpr_count:     18
    .vgpr_spill_count: 0
    .wavefront_size: 32
    .workgroup_processor_mode: 1
  - .args:
      - .offset:         0
        .size:           4
        .value_kind:     by_value
      - .actual_access:  read_only
        .address_space:  global
        .offset:         8
        .size:           8
        .value_kind:     global_buffer
      - .actual_access:  write_only
        .address_space:  global
        .offset:         16
        .size:           8
        .value_kind:     global_buffer
      - .actual_access:  write_only
        .address_space:  global
        .offset:         24
        .size:           8
        .value_kind:     global_buffer
      - .offset:         32
        .size:           4
        .value_kind:     hidden_block_count_x
      - .offset:         36
        .size:           4
        .value_kind:     hidden_block_count_y
      - .offset:         40
        .size:           4
        .value_kind:     hidden_block_count_z
      - .offset:         44
        .size:           2
        .value_kind:     hidden_group_size_x
      - .offset:         46
        .size:           2
        .value_kind:     hidden_group_size_y
      - .offset:         48
        .size:           2
        .value_kind:     hidden_group_size_z
      - .offset:         50
        .size:           2
        .value_kind:     hidden_remainder_x
      - .offset:         52
        .size:           2
        .value_kind:     hidden_remainder_y
      - .offset:         54
        .size:           2
        .value_kind:     hidden_remainder_z
      - .offset:         72
        .size:           8
        .value_kind:     hidden_global_offset_x
      - .offset:         80
        .size:           8
        .value_kind:     hidden_global_offset_y
      - .offset:         88
        .size:           8
        .value_kind:     hidden_global_offset_z
      - .offset:         96
        .size:           2
        .value_kind:     hidden_grid_dims
    .group_segment_fixed_size: 8192
    .kernarg_segment_align: 8
    .kernarg_segment_size: 288
    .language:       OpenCL C
    .language_version:
      - 2
      - 0
    .max_flat_workgroup_size: 256
    .name:           _ZN9rocsparseL26bsrgemm_group_reduce_part2ILj256ELj8ELj8E21rocsparse_complex_numIfEliEEvT4_PKT3_PS3_Pi
    .private_segment_fixed_size: 0
    .sgpr_count:     20
    .sgpr_spill_count: 0
    .symbol:         _ZN9rocsparseL26bsrgemm_group_reduce_part2ILj256ELj8ELj8E21rocsparse_complex_numIfEliEEvT4_PKT3_PS3_Pi.kd
    .uniform_work_group_size: 1
    .uses_dynamic_stack: false
    .vgpr_count:     18
    .vgpr_spill_count: 0
    .wavefront_size: 32
    .workgroup_processor_mode: 1
  - .args:
      - .offset:         0
        .size:           4
        .value_kind:     by_value
      - .offset:         4
        .size:           4
        .value_kind:     by_value
      - .offset:         8
        .size:           4
        .value_kind:     by_value
      - .actual_access:  read_only
        .address_space:  global
        .offset:         16
        .size:           8
        .value_kind:     global_buffer
      - .actual_access:  read_only
        .address_space:  global
        .offset:         24
        .size:           8
        .value_kind:     global_buffer
      - .offset:         32
        .size:           8
        .value_kind:     by_value
      - .actual_access:  read_only
        .address_space:  global
        .offset:         40
        .size:           8
        .value_kind:     global_buffer
      - .actual_access:  read_only
        .address_space:  global
        .offset:         48
        .size:           8
        .value_kind:     global_buffer
      - .actual_access:  read_only
        .address_space:  global
        .offset:         56
        .size:           8
        .value_kind:     global_buffer
      - .actual_access:  read_only
        .address_space:  global
        .offset:         64
        .size:           8
        .value_kind:     global_buffer
      - .actual_access:  read_only
        .address_space:  global
        .offset:         72
        .size:           8
        .value_kind:     global_buffer
      - .actual_access:  read_only
        .address_space:  global
        .offset:         80
        .size:           8
        .value_kind:     global_buffer
      - .offset:         88
        .size:           8
        .value_kind:     by_value
      - .actual_access:  read_only
        .address_space:  global
        .offset:         96
        .size:           8
        .value_kind:     global_buffer
      - .actual_access:  read_only
        .address_space:  global
        .offset:         104
        .size:           8
        .value_kind:     global_buffer
      - .actual_access:  read_only
        .address_space:  global
        .offset:         112
        .size:           8
        .value_kind:     global_buffer
      - .actual_access:  read_only
        .address_space:  global
        .offset:         120
        .size:           8
        .value_kind:     global_buffer
      - .actual_access:  write_only
        .address_space:  global
        .offset:         128
        .size:           8
        .value_kind:     global_buffer
      - .actual_access:  write_only
        .address_space:  global
        .offset:         136
        .size:           8
        .value_kind:     global_buffer
      - .offset:         144
        .size:           4
        .value_kind:     by_value
      - .offset:         148
        .size:           4
        .value_kind:     by_value
      - .offset:         152
        .size:           4
        .value_kind:     by_value
      - .offset:         156
        .size:           4
        .value_kind:     by_value
      - .offset:         160
        .size:           1
        .value_kind:     by_value
      - .offset:         161
        .size:           1
        .value_kind:     by_value
      - .offset:         162
        .size:           1
        .value_kind:     by_value
    .group_segment_fixed_size: 4608
    .kernarg_segment_align: 8
    .kernarg_segment_size: 164
    .language:       OpenCL C
    .language_version:
      - 2
      - 0
    .max_flat_workgroup_size: 256
    .name:           _ZN9rocsparseL27bsrgemm_fill_wf_per_row_2x2ILj256ELj16ELj8ELj137Eli21rocsparse_complex_numIfEEEv20rocsparse_direction_T4_S4_PKS4_S6_NS_24const_host_device_scalarIT5_EEPKT3_S6_PKS8_SC_S6_SE_S9_SC_S6_SE_SC_PS4_PS8_21rocsparse_index_base_SH_SH_SH_bbb
    .private_segment_fixed_size: 0
    .sgpr_count:     50
    .sgpr_spill_count: 0
    .symbol:         _ZN9rocsparseL27bsrgemm_fill_wf_per_row_2x2ILj256ELj16ELj8ELj137Eli21rocsparse_complex_numIfEEEv20rocsparse_direction_T4_S4_PKS4_S6_NS_24const_host_device_scalarIT5_EEPKT3_S6_PKS8_SC_S6_SE_S9_SC_S6_SE_SC_PS4_PS8_21rocsparse_index_base_SH_SH_SH_bbb.kd
    .uniform_work_group_size: 1
    .uses_dynamic_stack: false
    .vgpr_count:     39
    .vgpr_spill_count: 0
    .wavefront_size: 32
    .workgroup_processor_mode: 1
  - .args:
      - .offset:         0
        .size:           4
        .value_kind:     by_value
      - .offset:         4
        .size:           4
        .value_kind:     by_value
      - .offset:         8
        .size:           4
        .value_kind:     by_value
      - .actual_access:  read_only
        .address_space:  global
        .offset:         16
        .size:           8
        .value_kind:     global_buffer
      - .actual_access:  read_only
        .address_space:  global
        .offset:         24
        .size:           8
        .value_kind:     global_buffer
      - .offset:         32
        .size:           8
        .value_kind:     by_value
      - .actual_access:  read_only
        .address_space:  global
        .offset:         40
        .size:           8
        .value_kind:     global_buffer
      - .actual_access:  read_only
        .address_space:  global
        .offset:         48
        .size:           8
        .value_kind:     global_buffer
      - .actual_access:  read_only
        .address_space:  global
        .offset:         56
        .size:           8
        .value_kind:     global_buffer
      - .actual_access:  read_only
        .address_space:  global
        .offset:         64
        .size:           8
        .value_kind:     global_buffer
      - .actual_access:  read_only
        .address_space:  global
        .offset:         72
        .size:           8
        .value_kind:     global_buffer
      - .actual_access:  read_only
        .address_space:  global
        .offset:         80
        .size:           8
        .value_kind:     global_buffer
      - .offset:         88
        .size:           8
        .value_kind:     by_value
      - .actual_access:  read_only
        .address_space:  global
        .offset:         96
        .size:           8
        .value_kind:     global_buffer
      - .actual_access:  read_only
        .address_space:  global
        .offset:         104
        .size:           8
        .value_kind:     global_buffer
      - .actual_access:  read_only
        .address_space:  global
        .offset:         112
        .size:           8
        .value_kind:     global_buffer
      - .actual_access:  read_only
        .address_space:  global
        .offset:         120
        .size:           8
        .value_kind:     global_buffer
      - .actual_access:  write_only
        .address_space:  global
        .offset:         128
        .size:           8
        .value_kind:     global_buffer
      - .actual_access:  write_only
        .address_space:  global
        .offset:         136
        .size:           8
        .value_kind:     global_buffer
      - .offset:         144
        .size:           4
        .value_kind:     by_value
      - .offset:         148
        .size:           4
        .value_kind:     by_value
      - .offset:         152
        .size:           4
        .value_kind:     by_value
      - .offset:         156
        .size:           4
        .value_kind:     by_value
      - .offset:         160
        .size:           1
        .value_kind:     by_value
      - .offset:         161
        .size:           1
        .value_kind:     by_value
      - .offset:         162
        .size:           1
        .value_kind:     by_value
    .group_segment_fixed_size: 9216
    .kernarg_segment_align: 8
    .kernarg_segment_size: 164
    .language:       OpenCL C
    .language_version:
      - 2
      - 0
    .max_flat_workgroup_size: 256
    .name:           _ZN9rocsparseL27bsrgemm_fill_wf_per_row_2x2ILj256ELj16ELj16ELj137Eli21rocsparse_complex_numIfEEEv20rocsparse_direction_T4_S4_PKS4_S6_NS_24const_host_device_scalarIT5_EEPKT3_S6_PKS8_SC_S6_SE_S9_SC_S6_SE_SC_PS4_PS8_21rocsparse_index_base_SH_SH_SH_bbb
    .private_segment_fixed_size: 0
    .sgpr_count:     49
    .sgpr_spill_count: 0
    .symbol:         _ZN9rocsparseL27bsrgemm_fill_wf_per_row_2x2ILj256ELj16ELj16ELj137Eli21rocsparse_complex_numIfEEEv20rocsparse_direction_T4_S4_PKS4_S6_NS_24const_host_device_scalarIT5_EEPKT3_S6_PKS8_SC_S6_SE_S9_SC_S6_SE_SC_PS4_PS8_21rocsparse_index_base_SH_SH_SH_bbb.kd
    .uniform_work_group_size: 1
    .uses_dynamic_stack: false
    .vgpr_count:     40
    .vgpr_spill_count: 0
    .wavefront_size: 32
    .workgroup_processor_mode: 1
  - .args:
      - .offset:         0
        .size:           4
        .value_kind:     by_value
      - .offset:         4
        .size:           4
        .value_kind:     by_value
      - .offset:         8
        .size:           4
        .value_kind:     by_value
      - .actual_access:  read_only
        .address_space:  global
        .offset:         16
        .size:           8
        .value_kind:     global_buffer
      - .actual_access:  read_only
        .address_space:  global
        .offset:         24
        .size:           8
        .value_kind:     global_buffer
      - .offset:         32
        .size:           8
        .value_kind:     by_value
      - .actual_access:  read_only
        .address_space:  global
        .offset:         40
        .size:           8
        .value_kind:     global_buffer
      - .actual_access:  read_only
        .address_space:  global
        .offset:         48
        .size:           8
        .value_kind:     global_buffer
      - .actual_access:  read_only
        .address_space:  global
        .offset:         56
        .size:           8
        .value_kind:     global_buffer
      - .actual_access:  read_only
        .address_space:  global
        .offset:         64
        .size:           8
        .value_kind:     global_buffer
      - .actual_access:  read_only
        .address_space:  global
        .offset:         72
        .size:           8
        .value_kind:     global_buffer
      - .actual_access:  read_only
        .address_space:  global
        .offset:         80
        .size:           8
        .value_kind:     global_buffer
      - .offset:         88
        .size:           8
        .value_kind:     by_value
      - .actual_access:  read_only
        .address_space:  global
        .offset:         96
        .size:           8
        .value_kind:     global_buffer
      - .actual_access:  read_only
        .address_space:  global
        .offset:         104
        .size:           8
        .value_kind:     global_buffer
      - .actual_access:  read_only
        .address_space:  global
        .offset:         112
        .size:           8
        .value_kind:     global_buffer
      - .actual_access:  read_only
        .address_space:  global
        .offset:         120
        .size:           8
        .value_kind:     global_buffer
      - .actual_access:  write_only
        .address_space:  global
        .offset:         128
        .size:           8
        .value_kind:     global_buffer
      - .actual_access:  write_only
        .address_space:  global
        .offset:         136
        .size:           8
        .value_kind:     global_buffer
      - .offset:         144
        .size:           4
        .value_kind:     by_value
      - .offset:         148
        .size:           4
        .value_kind:     by_value
      - .offset:         152
        .size:           4
        .value_kind:     by_value
      - .offset:         156
        .size:           4
        .value_kind:     by_value
      - .offset:         160
        .size:           1
        .value_kind:     by_value
      - .offset:         161
        .size:           1
        .value_kind:     by_value
      - .offset:         162
        .size:           1
        .value_kind:     by_value
    .group_segment_fixed_size: 18432
    .kernarg_segment_align: 8
    .kernarg_segment_size: 164
    .language:       OpenCL C
    .language_version:
      - 2
      - 0
    .max_flat_workgroup_size: 256
    .name:           _ZN9rocsparseL27bsrgemm_fill_wf_per_row_2x2ILj256ELj16ELj32ELj137Eli21rocsparse_complex_numIfEEEv20rocsparse_direction_T4_S4_PKS4_S6_NS_24const_host_device_scalarIT5_EEPKT3_S6_PKS8_SC_S6_SE_S9_SC_S6_SE_SC_PS4_PS8_21rocsparse_index_base_SH_SH_SH_bbb
    .private_segment_fixed_size: 0
    .sgpr_count:     49
    .sgpr_spill_count: 0
    .symbol:         _ZN9rocsparseL27bsrgemm_fill_wf_per_row_2x2ILj256ELj16ELj32ELj137Eli21rocsparse_complex_numIfEEEv20rocsparse_direction_T4_S4_PKS4_S6_NS_24const_host_device_scalarIT5_EEPKT3_S6_PKS8_SC_S6_SE_S9_SC_S6_SE_SC_PS4_PS8_21rocsparse_index_base_SH_SH_SH_bbb.kd
    .uniform_work_group_size: 1
    .uses_dynamic_stack: false
    .vgpr_count:     42
    .vgpr_spill_count: 0
    .wavefront_size: 32
    .workgroup_processor_mode: 1
  - .args:
      - .offset:         0
        .size:           4
        .value_kind:     by_value
      - .offset:         4
        .size:           4
        .value_kind:     by_value
      - .offset:         8
        .size:           4
        .value_kind:     by_value
      - .actual_access:  read_only
        .address_space:  global
        .offset:         16
        .size:           8
        .value_kind:     global_buffer
      - .actual_access:  read_only
        .address_space:  global
        .offset:         24
        .size:           8
        .value_kind:     global_buffer
      - .offset:         32
        .size:           8
        .value_kind:     by_value
      - .actual_access:  read_only
        .address_space:  global
        .offset:         40
        .size:           8
        .value_kind:     global_buffer
      - .actual_access:  read_only
        .address_space:  global
        .offset:         48
        .size:           8
        .value_kind:     global_buffer
      - .actual_access:  read_only
        .address_space:  global
        .offset:         56
        .size:           8
        .value_kind:     global_buffer
      - .actual_access:  read_only
        .address_space:  global
        .offset:         64
        .size:           8
        .value_kind:     global_buffer
      - .actual_access:  read_only
        .address_space:  global
        .offset:         72
        .size:           8
        .value_kind:     global_buffer
      - .actual_access:  read_only
        .address_space:  global
        .offset:         80
        .size:           8
        .value_kind:     global_buffer
      - .offset:         88
        .size:           8
        .value_kind:     by_value
      - .actual_access:  read_only
        .address_space:  global
        .offset:         96
        .size:           8
        .value_kind:     global_buffer
      - .actual_access:  read_only
        .address_space:  global
        .offset:         104
        .size:           8
        .value_kind:     global_buffer
      - .actual_access:  read_only
        .address_space:  global
        .offset:         112
        .size:           8
        .value_kind:     global_buffer
      - .actual_access:  read_only
        .address_space:  global
        .offset:         120
        .size:           8
        .value_kind:     global_buffer
      - .actual_access:  write_only
        .address_space:  global
        .offset:         128
        .size:           8
        .value_kind:     global_buffer
      - .actual_access:  write_only
        .address_space:  global
        .offset:         136
        .size:           8
        .value_kind:     global_buffer
      - .offset:         144
        .size:           4
        .value_kind:     by_value
      - .offset:         148
        .size:           4
        .value_kind:     by_value
      - .offset:         152
        .size:           4
        .value_kind:     by_value
      - .offset:         156
        .size:           4
        .value_kind:     by_value
      - .offset:         160
        .size:           1
        .value_kind:     by_value
      - .offset:         161
        .size:           1
        .value_kind:     by_value
      - .offset:         162
        .size:           1
        .value_kind:     by_value
    .group_segment_fixed_size: 0
    .kernarg_segment_align: 8
    .kernarg_segment_size: 164
    .language:       OpenCL C
    .language_version:
      - 2
      - 0
    .max_flat_workgroup_size: 256
    .name:           _ZN9rocsparseL30bsrgemm_fill_block_per_row_2x2ILj256ELj16ELj64ELj137Eli21rocsparse_complex_numIfEEEv20rocsparse_direction_T4_S4_PKS4_S6_NS_24const_host_device_scalarIT5_EEPKT3_S6_PKS8_SC_S6_SE_S9_SC_S6_SE_SC_PS4_PS8_21rocsparse_index_base_SH_SH_SH_bbb
    .private_segment_fixed_size: 0
    .sgpr_count:     54
    .sgpr_spill_count: 0
    .symbol:         _ZN9rocsparseL30bsrgemm_fill_block_per_row_2x2ILj256ELj16ELj64ELj137Eli21rocsparse_complex_numIfEEEv20rocsparse_direction_T4_S4_PKS4_S6_NS_24const_host_device_scalarIT5_EEPKT3_S6_PKS8_SC_S6_SE_S9_SC_S6_SE_SC_PS4_PS8_21rocsparse_index_base_SH_SH_SH_bbb.kd
    .uniform_work_group_size: 1
    .uses_dynamic_stack: false
    .vgpr_count:     34
    .vgpr_spill_count: 0
    .wavefront_size: 32
    .workgroup_processor_mode: 1
  - .args:
      - .offset:         0
        .size:           4
        .value_kind:     by_value
      - .offset:         4
        .size:           4
        .value_kind:     by_value
      - .offset:         8
        .size:           4
        .value_kind:     by_value
      - .actual_access:  read_only
        .address_space:  global
        .offset:         16
        .size:           8
        .value_kind:     global_buffer
      - .actual_access:  read_only
        .address_space:  global
        .offset:         24
        .size:           8
        .value_kind:     global_buffer
      - .offset:         32
        .size:           8
        .value_kind:     by_value
      - .actual_access:  read_only
        .address_space:  global
        .offset:         40
        .size:           8
        .value_kind:     global_buffer
      - .actual_access:  read_only
        .address_space:  global
        .offset:         48
        .size:           8
        .value_kind:     global_buffer
      - .actual_access:  read_only
        .address_space:  global
        .offset:         56
        .size:           8
        .value_kind:     global_buffer
      - .actual_access:  read_only
        .address_space:  global
        .offset:         64
        .size:           8
        .value_kind:     global_buffer
      - .actual_access:  read_only
        .address_space:  global
        .offset:         72
        .size:           8
        .value_kind:     global_buffer
      - .actual_access:  read_only
        .address_space:  global
        .offset:         80
        .size:           8
        .value_kind:     global_buffer
      - .offset:         88
        .size:           8
        .value_kind:     by_value
      - .actual_access:  read_only
        .address_space:  global
        .offset:         96
        .size:           8
        .value_kind:     global_buffer
      - .actual_access:  read_only
        .address_space:  global
        .offset:         104
        .size:           8
        .value_kind:     global_buffer
      - .actual_access:  read_only
        .address_space:  global
        .offset:         112
        .size:           8
        .value_kind:     global_buffer
      - .actual_access:  read_only
        .address_space:  global
        .offset:         120
        .size:           8
        .value_kind:     global_buffer
      - .actual_access:  write_only
        .address_space:  global
        .offset:         128
        .size:           8
        .value_kind:     global_buffer
      - .actual_access:  write_only
        .address_space:  global
        .offset:         136
        .size:           8
        .value_kind:     global_buffer
      - .offset:         144
        .size:           4
        .value_kind:     by_value
      - .offset:         148
        .size:           4
        .value_kind:     by_value
      - .offset:         152
        .size:           4
        .value_kind:     by_value
      - .offset:         156
        .size:           4
        .value_kind:     by_value
      - .offset:         160
        .size:           1
        .value_kind:     by_value
      - .offset:         161
        .size:           1
        .value_kind:     by_value
      - .offset:         162
        .size:           1
        .value_kind:     by_value
    .group_segment_fixed_size: 0
    .kernarg_segment_align: 8
    .kernarg_segment_size: 164
    .language:       OpenCL C
    .language_version:
      - 2
      - 0
    .max_flat_workgroup_size: 256
    .name:           _ZN9rocsparseL30bsrgemm_fill_block_per_row_2x2ILj256ELj16ELj128ELj137Eli21rocsparse_complex_numIfEEEv20rocsparse_direction_T4_S4_PKS4_S6_NS_24const_host_device_scalarIT5_EEPKT3_S6_PKS8_SC_S6_SE_S9_SC_S6_SE_SC_PS4_PS8_21rocsparse_index_base_SH_SH_SH_bbb
    .private_segment_fixed_size: 0
    .sgpr_count:     54
    .sgpr_spill_count: 0
    .symbol:         _ZN9rocsparseL30bsrgemm_fill_block_per_row_2x2ILj256ELj16ELj128ELj137Eli21rocsparse_complex_numIfEEEv20rocsparse_direction_T4_S4_PKS4_S6_NS_24const_host_device_scalarIT5_EEPKT3_S6_PKS8_SC_S6_SE_S9_SC_S6_SE_SC_PS4_PS8_21rocsparse_index_base_SH_SH_SH_bbb.kd
    .uniform_work_group_size: 1
    .uses_dynamic_stack: false
    .vgpr_count:     34
    .vgpr_spill_count: 0
    .wavefront_size: 32
    .workgroup_processor_mode: 1
  - .args:
      - .offset:         0
        .size:           4
        .value_kind:     by_value
      - .offset:         4
        .size:           4
        .value_kind:     by_value
      - .offset:         8
        .size:           4
        .value_kind:     by_value
      - .actual_access:  read_only
        .address_space:  global
        .offset:         16
        .size:           8
        .value_kind:     global_buffer
      - .actual_access:  read_only
        .address_space:  global
        .offset:         24
        .size:           8
        .value_kind:     global_buffer
      - .offset:         32
        .size:           8
        .value_kind:     by_value
      - .actual_access:  read_only
        .address_space:  global
        .offset:         40
        .size:           8
        .value_kind:     global_buffer
      - .actual_access:  read_only
        .address_space:  global
        .offset:         48
        .size:           8
        .value_kind:     global_buffer
      - .actual_access:  read_only
        .address_space:  global
        .offset:         56
        .size:           8
        .value_kind:     global_buffer
      - .actual_access:  read_only
        .address_space:  global
        .offset:         64
        .size:           8
        .value_kind:     global_buffer
      - .actual_access:  read_only
        .address_space:  global
        .offset:         72
        .size:           8
        .value_kind:     global_buffer
      - .actual_access:  read_only
        .address_space:  global
        .offset:         80
        .size:           8
        .value_kind:     global_buffer
      - .offset:         88
        .size:           8
        .value_kind:     by_value
      - .actual_access:  read_only
        .address_space:  global
        .offset:         96
        .size:           8
        .value_kind:     global_buffer
      - .actual_access:  read_only
        .address_space:  global
        .offset:         104
        .size:           8
        .value_kind:     global_buffer
      - .actual_access:  read_only
        .address_space:  global
        .offset:         112
        .size:           8
        .value_kind:     global_buffer
      - .actual_access:  read_only
        .address_space:  global
        .offset:         120
        .size:           8
        .value_kind:     global_buffer
      - .actual_access:  write_only
        .address_space:  global
        .offset:         128
        .size:           8
        .value_kind:     global_buffer
      - .actual_access:  write_only
        .address_space:  global
        .offset:         136
        .size:           8
        .value_kind:     global_buffer
      - .offset:         144
        .size:           4
        .value_kind:     by_value
      - .offset:         148
        .size:           4
        .value_kind:     by_value
      - .offset:         152
        .size:           4
        .value_kind:     by_value
      - .offset:         156
        .size:           4
        .value_kind:     by_value
      - .offset:         160
        .size:           1
        .value_kind:     by_value
      - .offset:         161
        .size:           1
        .value_kind:     by_value
      - .offset:         162
        .size:           1
        .value_kind:     by_value
    .group_segment_fixed_size: 0
    .kernarg_segment_align: 8
    .kernarg_segment_size: 164
    .language:       OpenCL C
    .language_version:
      - 2
      - 0
    .max_flat_workgroup_size: 256
    .name:           _ZN9rocsparseL30bsrgemm_fill_block_per_row_2x2ILj256ELj16ELj256ELj137Eli21rocsparse_complex_numIfEEEv20rocsparse_direction_T4_S4_PKS4_S6_NS_24const_host_device_scalarIT5_EEPKT3_S6_PKS8_SC_S6_SE_S9_SC_S6_SE_SC_PS4_PS8_21rocsparse_index_base_SH_SH_SH_bbb
    .private_segment_fixed_size: 0
    .sgpr_count:     54
    .sgpr_spill_count: 0
    .symbol:         _ZN9rocsparseL30bsrgemm_fill_block_per_row_2x2ILj256ELj16ELj256ELj137Eli21rocsparse_complex_numIfEEEv20rocsparse_direction_T4_S4_PKS4_S6_NS_24const_host_device_scalarIT5_EEPKT3_S6_PKS8_SC_S6_SE_S9_SC_S6_SE_SC_PS4_PS8_21rocsparse_index_base_SH_SH_SH_bbb.kd
    .uniform_work_group_size: 1
    .uses_dynamic_stack: false
    .vgpr_count:     34
    .vgpr_spill_count: 0
    .wavefront_size: 32
    .workgroup_processor_mode: 1
  - .args:
      - .offset:         0
        .size:           4
        .value_kind:     by_value
      - .offset:         4
        .size:           4
        .value_kind:     by_value
      - .offset:         8
        .size:           4
        .value_kind:     by_value
      - .actual_access:  read_only
        .address_space:  global
        .offset:         16
        .size:           8
        .value_kind:     global_buffer
      - .actual_access:  read_only
        .address_space:  global
        .offset:         24
        .size:           8
        .value_kind:     global_buffer
      - .offset:         32
        .size:           8
        .value_kind:     by_value
      - .actual_access:  read_only
        .address_space:  global
        .offset:         40
        .size:           8
        .value_kind:     global_buffer
      - .actual_access:  read_only
        .address_space:  global
        .offset:         48
        .size:           8
        .value_kind:     global_buffer
      - .actual_access:  read_only
        .address_space:  global
        .offset:         56
        .size:           8
        .value_kind:     global_buffer
      - .actual_access:  read_only
        .address_space:  global
        .offset:         64
        .size:           8
        .value_kind:     global_buffer
      - .actual_access:  read_only
        .address_space:  global
        .offset:         72
        .size:           8
        .value_kind:     global_buffer
      - .actual_access:  read_only
        .address_space:  global
        .offset:         80
        .size:           8
        .value_kind:     global_buffer
      - .offset:         88
        .size:           8
        .value_kind:     by_value
      - .actual_access:  read_only
        .address_space:  global
        .offset:         96
        .size:           8
        .value_kind:     global_buffer
      - .actual_access:  read_only
        .address_space:  global
        .offset:         104
        .size:           8
        .value_kind:     global_buffer
      - .actual_access:  read_only
        .address_space:  global
        .offset:         112
        .size:           8
        .value_kind:     global_buffer
      - .actual_access:  read_only
        .address_space:  global
        .offset:         120
        .size:           8
        .value_kind:     global_buffer
      - .actual_access:  write_only
        .address_space:  global
        .offset:         128
        .size:           8
        .value_kind:     global_buffer
      - .actual_access:  write_only
        .address_space:  global
        .offset:         136
        .size:           8
        .value_kind:     global_buffer
      - .offset:         144
        .size:           4
        .value_kind:     by_value
      - .offset:         148
        .size:           4
        .value_kind:     by_value
      - .offset:         152
        .size:           4
        .value_kind:     by_value
      - .offset:         156
        .size:           4
        .value_kind:     by_value
      - .offset:         160
        .size:           1
        .value_kind:     by_value
      - .offset:         161
        .size:           1
        .value_kind:     by_value
      - .offset:         162
        .size:           1
        .value_kind:     by_value
    .group_segment_fixed_size: 0
    .kernarg_segment_align: 8
    .kernarg_segment_size: 164
    .language:       OpenCL C
    .language_version:
      - 2
      - 0
    .max_flat_workgroup_size: 256
    .name:           _ZN9rocsparseL30bsrgemm_fill_block_per_row_2x2ILj256ELj16ELj512ELj137Eli21rocsparse_complex_numIfEEEv20rocsparse_direction_T4_S4_PKS4_S6_NS_24const_host_device_scalarIT5_EEPKT3_S6_PKS8_SC_S6_SE_S9_SC_S6_SE_SC_PS4_PS8_21rocsparse_index_base_SH_SH_SH_bbb
    .private_segment_fixed_size: 0
    .sgpr_count:     54
    .sgpr_spill_count: 0
    .symbol:         _ZN9rocsparseL30bsrgemm_fill_block_per_row_2x2ILj256ELj16ELj512ELj137Eli21rocsparse_complex_numIfEEEv20rocsparse_direction_T4_S4_PKS4_S6_NS_24const_host_device_scalarIT5_EEPKT3_S6_PKS8_SC_S6_SE_S9_SC_S6_SE_SC_PS4_PS8_21rocsparse_index_base_SH_SH_SH_bbb.kd
    .uniform_work_group_size: 1
    .uses_dynamic_stack: false
    .vgpr_count:     33
    .vgpr_spill_count: 0
    .wavefront_size: 32
    .workgroup_processor_mode: 1
  - .args:
      - .offset:         0
        .size:           4
        .value_kind:     by_value
      - .offset:         4
        .size:           4
        .value_kind:     by_value
      - .offset:         8
        .size:           4
        .value_kind:     by_value
      - .actual_access:  read_only
        .address_space:  global
        .offset:         16
        .size:           8
        .value_kind:     global_buffer
      - .actual_access:  read_only
        .address_space:  global
        .offset:         24
        .size:           8
        .value_kind:     global_buffer
      - .offset:         32
        .size:           8
        .value_kind:     by_value
      - .actual_access:  read_only
        .address_space:  global
        .offset:         40
        .size:           8
        .value_kind:     global_buffer
      - .actual_access:  read_only
        .address_space:  global
        .offset:         48
        .size:           8
        .value_kind:     global_buffer
      - .actual_access:  read_only
        .address_space:  global
        .offset:         56
        .size:           8
        .value_kind:     global_buffer
      - .actual_access:  read_only
        .address_space:  global
        .offset:         64
        .size:           8
        .value_kind:     global_buffer
      - .actual_access:  read_only
        .address_space:  global
        .offset:         72
        .size:           8
        .value_kind:     global_buffer
      - .actual_access:  read_only
        .address_space:  global
        .offset:         80
        .size:           8
        .value_kind:     global_buffer
      - .offset:         88
        .size:           8
        .value_kind:     by_value
      - .actual_access:  read_only
        .address_space:  global
        .offset:         96
        .size:           8
        .value_kind:     global_buffer
      - .actual_access:  read_only
        .address_space:  global
        .offset:         104
        .size:           8
        .value_kind:     global_buffer
      - .actual_access:  read_only
        .address_space:  global
        .offset:         112
        .size:           8
        .value_kind:     global_buffer
      - .actual_access:  read_only
        .address_space:  global
        .offset:         120
        .size:           8
        .value_kind:     global_buffer
      - .actual_access:  write_only
        .address_space:  global
        .offset:         128
        .size:           8
        .value_kind:     global_buffer
      - .actual_access:  write_only
        .address_space:  global
        .offset:         136
        .size:           8
        .value_kind:     global_buffer
      - .address_space:  global
        .offset:         144
        .size:           8
        .value_kind:     global_buffer
      - .offset:         152
        .size:           4
        .value_kind:     by_value
      - .offset:         156
        .size:           4
        .value_kind:     by_value
      - .offset:         160
        .size:           4
        .value_kind:     by_value
      - .offset:         164
        .size:           4
        .value_kind:     by_value
      - .offset:         168
        .size:           1
        .value_kind:     by_value
      - .offset:         169
        .size:           1
        .value_kind:     by_value
      - .offset:         170
        .size:           1
        .value_kind:     by_value
    .group_segment_fixed_size: 11268
    .kernarg_segment_align: 8
    .kernarg_segment_size: 172
    .language:       OpenCL C
    .language_version:
      - 2
      - 0
    .max_flat_workgroup_size: 256
    .name:           _ZN9rocsparseL38bsrgemm_block_per_row_atomic_multipassILj256ELj256ELj2Eli21rocsparse_complex_numIfEEEv20rocsparse_direction_T3_S4_PKS4_S6_NS_24const_host_device_scalarIT4_EEPKT2_S6_PKS8_SC_S6_SE_S9_SC_S6_SE_SC_PS4_PS8_PSA_21rocsparse_index_base_SI_SI_SI_bbb
    .private_segment_fixed_size: 0
    .sgpr_count:     72
    .sgpr_spill_count: 0
    .symbol:         _ZN9rocsparseL38bsrgemm_block_per_row_atomic_multipassILj256ELj256ELj2Eli21rocsparse_complex_numIfEEEv20rocsparse_direction_T3_S4_PKS4_S6_NS_24const_host_device_scalarIT4_EEPKT2_S6_PKS8_SC_S6_SE_S9_SC_S6_SE_SC_PS4_PS8_PSA_21rocsparse_index_base_SI_SI_SI_bbb.kd
    .uniform_work_group_size: 1
    .uses_dynamic_stack: false
    .vgpr_count:     63
    .vgpr_spill_count: 0
    .wavefront_size: 32
    .workgroup_processor_mode: 1
  - .args:
      - .offset:         0
        .size:           4
        .value_kind:     by_value
      - .offset:         4
        .size:           4
        .value_kind:     by_value
      - .offset:         8
        .size:           4
        .value_kind:     by_value
      - .offset:         12
        .size:           4
        .value_kind:     by_value
      - .actual_access:  read_only
        .address_space:  global
        .offset:         16
        .size:           8
        .value_kind:     global_buffer
      - .actual_access:  read_only
        .address_space:  global
        .offset:         24
        .size:           8
        .value_kind:     global_buffer
      - .offset:         32
        .size:           8
        .value_kind:     by_value
      - .actual_access:  read_only
        .address_space:  global
        .offset:         40
        .size:           8
        .value_kind:     global_buffer
      - .actual_access:  read_only
        .address_space:  global
        .offset:         48
        .size:           8
        .value_kind:     global_buffer
      - .actual_access:  read_only
        .address_space:  global
        .offset:         56
        .size:           8
        .value_kind:     global_buffer
      - .actual_access:  read_only
        .address_space:  global
        .offset:         64
        .size:           8
        .value_kind:     global_buffer
      - .actual_access:  read_only
        .address_space:  global
        .offset:         72
        .size:           8
        .value_kind:     global_buffer
      - .actual_access:  read_only
        .address_space:  global
        .offset:         80
        .size:           8
        .value_kind:     global_buffer
      - .offset:         88
        .size:           8
        .value_kind:     by_value
      - .actual_access:  read_only
        .address_space:  global
        .offset:         96
        .size:           8
        .value_kind:     global_buffer
      - .actual_access:  read_only
        .address_space:  global
        .offset:         104
        .size:           8
        .value_kind:     global_buffer
      - .actual_access:  read_only
        .address_space:  global
        .offset:         112
        .size:           8
        .value_kind:     global_buffer
      - .actual_access:  read_only
        .address_space:  global
        .offset:         120
        .size:           8
        .value_kind:     global_buffer
      - .actual_access:  write_only
        .address_space:  global
        .offset:         128
        .size:           8
        .value_kind:     global_buffer
      - .actual_access:  write_only
        .address_space:  global
        .offset:         136
        .size:           8
        .value_kind:     global_buffer
      - .offset:         144
        .size:           4
        .value_kind:     by_value
      - .offset:         148
        .size:           4
        .value_kind:     by_value
      - .offset:         152
        .size:           4
        .value_kind:     by_value
      - .offset:         156
        .size:           4
        .value_kind:     by_value
      - .offset:         160
        .size:           1
        .value_kind:     by_value
      - .offset:         161
        .size:           1
        .value_kind:     by_value
      - .offset:         162
        .size:           1
        .value_kind:     by_value
    .group_segment_fixed_size: 4224
    .kernarg_segment_align: 8
    .kernarg_segment_size: 164
    .language:       OpenCL C
    .language_version:
      - 2
      - 0
    .max_flat_workgroup_size: 256
    .name:           _ZN9rocsparseL23bsrgemm_fill_wf_per_rowILj256ELj64ELj8ELj137ELj4Eli21rocsparse_complex_numIfEEEv20rocsparse_direction_T5_S4_S4_PKS4_S6_NS_24const_host_device_scalarIT6_EEPKT4_S6_PKS8_SC_S6_SE_S9_SC_S6_SE_SC_PS4_PS8_21rocsparse_index_base_SH_SH_SH_bbb
    .private_segment_fixed_size: 0
    .sgpr_count:     55
    .sgpr_spill_count: 0
    .symbol:         _ZN9rocsparseL23bsrgemm_fill_wf_per_rowILj256ELj64ELj8ELj137ELj4Eli21rocsparse_complex_numIfEEEv20rocsparse_direction_T5_S4_S4_PKS4_S6_NS_24const_host_device_scalarIT6_EEPKT4_S6_PKS8_SC_S6_SE_S9_SC_S6_SE_SC_PS4_PS8_21rocsparse_index_base_SH_SH_SH_bbb.kd
    .uniform_work_group_size: 1
    .uses_dynamic_stack: false
    .vgpr_count:     41
    .vgpr_spill_count: 0
    .wavefront_size: 32
    .workgroup_processor_mode: 1
  - .args:
      - .offset:         0
        .size:           4
        .value_kind:     by_value
      - .offset:         4
        .size:           4
        .value_kind:     by_value
      - .offset:         8
        .size:           4
        .value_kind:     by_value
      - .offset:         12
        .size:           4
        .value_kind:     by_value
      - .actual_access:  read_only
        .address_space:  global
        .offset:         16
        .size:           8
        .value_kind:     global_buffer
      - .actual_access:  read_only
        .address_space:  global
        .offset:         24
        .size:           8
        .value_kind:     global_buffer
      - .offset:         32
        .size:           8
        .value_kind:     by_value
      - .actual_access:  read_only
        .address_space:  global
        .offset:         40
        .size:           8
        .value_kind:     global_buffer
      - .actual_access:  read_only
        .address_space:  global
        .offset:         48
        .size:           8
        .value_kind:     global_buffer
      - .actual_access:  read_only
        .address_space:  global
        .offset:         56
        .size:           8
        .value_kind:     global_buffer
      - .actual_access:  read_only
        .address_space:  global
        .offset:         64
        .size:           8
        .value_kind:     global_buffer
      - .actual_access:  read_only
        .address_space:  global
        .offset:         72
        .size:           8
        .value_kind:     global_buffer
      - .actual_access:  read_only
        .address_space:  global
        .offset:         80
        .size:           8
        .value_kind:     global_buffer
      - .offset:         88
        .size:           8
        .value_kind:     by_value
      - .actual_access:  read_only
        .address_space:  global
        .offset:         96
        .size:           8
        .value_kind:     global_buffer
      - .actual_access:  read_only
        .address_space:  global
        .offset:         104
        .size:           8
        .value_kind:     global_buffer
      - .actual_access:  read_only
        .address_space:  global
        .offset:         112
        .size:           8
        .value_kind:     global_buffer
      - .actual_access:  read_only
        .address_space:  global
        .offset:         120
        .size:           8
        .value_kind:     global_buffer
      - .actual_access:  write_only
        .address_space:  global
        .offset:         128
        .size:           8
        .value_kind:     global_buffer
      - .actual_access:  write_only
        .address_space:  global
        .offset:         136
        .size:           8
        .value_kind:     global_buffer
      - .offset:         144
        .size:           4
        .value_kind:     by_value
      - .offset:         148
        .size:           4
        .value_kind:     by_value
      - .offset:         152
        .size:           4
        .value_kind:     by_value
      - .offset:         156
        .size:           4
        .value_kind:     by_value
      - .offset:         160
        .size:           1
        .value_kind:     by_value
      - .offset:         161
        .size:           1
        .value_kind:     by_value
      - .offset:         162
        .size:           1
        .value_kind:     by_value
    .group_segment_fixed_size: 8448
    .kernarg_segment_align: 8
    .kernarg_segment_size: 164
    .language:       OpenCL C
    .language_version:
      - 2
      - 0
    .max_flat_workgroup_size: 256
    .name:           _ZN9rocsparseL23bsrgemm_fill_wf_per_rowILj256ELj64ELj16ELj137ELj4Eli21rocsparse_complex_numIfEEEv20rocsparse_direction_T5_S4_S4_PKS4_S6_NS_24const_host_device_scalarIT6_EEPKT4_S6_PKS8_SC_S6_SE_S9_SC_S6_SE_SC_PS4_PS8_21rocsparse_index_base_SH_SH_SH_bbb
    .private_segment_fixed_size: 0
    .sgpr_count:     55
    .sgpr_spill_count: 0
    .symbol:         _ZN9rocsparseL23bsrgemm_fill_wf_per_rowILj256ELj64ELj16ELj137ELj4Eli21rocsparse_complex_numIfEEEv20rocsparse_direction_T5_S4_S4_PKS4_S6_NS_24const_host_device_scalarIT6_EEPKT4_S6_PKS8_SC_S6_SE_S9_SC_S6_SE_SC_PS4_PS8_21rocsparse_index_base_SH_SH_SH_bbb.kd
    .uniform_work_group_size: 1
    .uses_dynamic_stack: false
    .vgpr_count:     41
    .vgpr_spill_count: 0
    .wavefront_size: 32
    .workgroup_processor_mode: 1
  - .args:
      - .offset:         0
        .size:           4
        .value_kind:     by_value
      - .offset:         4
        .size:           4
        .value_kind:     by_value
      - .offset:         8
        .size:           4
        .value_kind:     by_value
      - .actual_access:  read_only
        .address_space:  global
        .offset:         16
        .size:           8
        .value_kind:     global_buffer
      - .actual_access:  read_only
        .address_space:  global
        .offset:         24
        .size:           8
        .value_kind:     global_buffer
      - .offset:         32
        .size:           8
        .value_kind:     by_value
      - .actual_access:  read_only
        .address_space:  global
        .offset:         40
        .size:           8
        .value_kind:     global_buffer
      - .actual_access:  read_only
        .address_space:  global
        .offset:         48
        .size:           8
        .value_kind:     global_buffer
      - .actual_access:  read_only
        .address_space:  global
        .offset:         56
        .size:           8
        .value_kind:     global_buffer
      - .actual_access:  read_only
        .address_space:  global
        .offset:         64
        .size:           8
        .value_kind:     global_buffer
      - .actual_access:  read_only
        .address_space:  global
        .offset:         72
        .size:           8
        .value_kind:     global_buffer
      - .actual_access:  read_only
        .address_space:  global
        .offset:         80
        .size:           8
        .value_kind:     global_buffer
      - .offset:         88
        .size:           8
        .value_kind:     by_value
      - .actual_access:  read_only
        .address_space:  global
        .offset:         96
        .size:           8
        .value_kind:     global_buffer
      - .actual_access:  read_only
        .address_space:  global
        .offset:         104
        .size:           8
        .value_kind:     global_buffer
      - .actual_access:  read_only
        .address_space:  global
        .offset:         112
        .size:           8
        .value_kind:     global_buffer
      - .actual_access:  read_only
        .address_space:  global
        .offset:         120
        .size:           8
        .value_kind:     global_buffer
      - .actual_access:  write_only
        .address_space:  global
        .offset:         128
        .size:           8
        .value_kind:     global_buffer
      - .actual_access:  write_only
        .address_space:  global
        .offset:         136
        .size:           8
        .value_kind:     global_buffer
      - .address_space:  global
        .offset:         144
        .size:           8
        .value_kind:     global_buffer
      - .offset:         152
        .size:           4
        .value_kind:     by_value
      - .offset:         156
        .size:           4
        .value_kind:     by_value
      - .offset:         160
        .size:           4
        .value_kind:     by_value
      - .offset:         164
        .size:           4
        .value_kind:     by_value
      - .offset:         168
        .size:           1
        .value_kind:     by_value
      - .offset:         169
        .size:           1
        .value_kind:     by_value
      - .offset:         170
        .size:           1
        .value_kind:     by_value
    .group_segment_fixed_size: 6276
    .kernarg_segment_align: 8
    .kernarg_segment_size: 172
    .language:       OpenCL C
    .language_version:
      - 2
      - 0
    .max_flat_workgroup_size: 256
    .name:           _ZN9rocsparseL38bsrgemm_block_per_row_atomic_multipassILj256ELj32ELj4Eli21rocsparse_complex_numIfEEEv20rocsparse_direction_T3_S4_PKS4_S6_NS_24const_host_device_scalarIT4_EEPKT2_S6_PKS8_SC_S6_SE_S9_SC_S6_SE_SC_PS4_PS8_PSA_21rocsparse_index_base_SI_SI_SI_bbb
    .private_segment_fixed_size: 0
    .sgpr_count:     70
    .sgpr_spill_count: 0
    .symbol:         _ZN9rocsparseL38bsrgemm_block_per_row_atomic_multipassILj256ELj32ELj4Eli21rocsparse_complex_numIfEEEv20rocsparse_direction_T3_S4_PKS4_S6_NS_24const_host_device_scalarIT4_EEPKT2_S6_PKS8_SC_S6_SE_S9_SC_S6_SE_SC_PS4_PS8_PSA_21rocsparse_index_base_SI_SI_SI_bbb.kd
    .uniform_work_group_size: 1
    .uses_dynamic_stack: false
    .vgpr_count:     59
    .vgpr_spill_count: 0
    .wavefront_size: 32
    .workgroup_processor_mode: 1
  - .args:
      - .offset:         0
        .size:           4
        .value_kind:     by_value
      - .offset:         4
        .size:           4
        .value_kind:     by_value
      - .offset:         8
        .size:           4
        .value_kind:     by_value
      - .actual_access:  read_only
        .address_space:  global
        .offset:         16
        .size:           8
        .value_kind:     global_buffer
      - .actual_access:  read_only
        .address_space:  global
        .offset:         24
        .size:           8
        .value_kind:     global_buffer
      - .offset:         32
        .size:           8
        .value_kind:     by_value
      - .actual_access:  read_only
        .address_space:  global
        .offset:         40
        .size:           8
        .value_kind:     global_buffer
      - .actual_access:  read_only
        .address_space:  global
        .offset:         48
        .size:           8
        .value_kind:     global_buffer
      - .actual_access:  read_only
        .address_space:  global
        .offset:         56
        .size:           8
        .value_kind:     global_buffer
      - .actual_access:  read_only
        .address_space:  global
        .offset:         64
        .size:           8
        .value_kind:     global_buffer
      - .actual_access:  read_only
        .address_space:  global
        .offset:         72
        .size:           8
        .value_kind:     global_buffer
      - .actual_access:  read_only
        .address_space:  global
        .offset:         80
        .size:           8
        .value_kind:     global_buffer
      - .offset:         88
        .size:           8
        .value_kind:     by_value
      - .actual_access:  read_only
        .address_space:  global
        .offset:         96
        .size:           8
        .value_kind:     global_buffer
      - .actual_access:  read_only
        .address_space:  global
        .offset:         104
        .size:           8
        .value_kind:     global_buffer
      - .actual_access:  read_only
        .address_space:  global
        .offset:         112
        .size:           8
        .value_kind:     global_buffer
      - .actual_access:  read_only
        .address_space:  global
        .offset:         120
        .size:           8
        .value_kind:     global_buffer
      - .actual_access:  write_only
        .address_space:  global
        .offset:         128
        .size:           8
        .value_kind:     global_buffer
      - .actual_access:  write_only
        .address_space:  global
        .offset:         136
        .size:           8
        .value_kind:     global_buffer
      - .address_space:  global
        .offset:         144
        .size:           8
        .value_kind:     global_buffer
      - .offset:         152
        .size:           4
        .value_kind:     by_value
      - .offset:         156
        .size:           4
        .value_kind:     by_value
      - .offset:         160
        .size:           4
        .value_kind:     by_value
      - .offset:         164
        .size:           4
        .value_kind:     by_value
      - .offset:         168
        .size:           1
        .value_kind:     by_value
      - .offset:         169
        .size:           1
        .value_kind:     by_value
      - .offset:         170
        .size:           1
        .value_kind:     by_value
    .group_segment_fixed_size: 10500
    .kernarg_segment_align: 8
    .kernarg_segment_size: 172
    .language:       OpenCL C
    .language_version:
      - 2
      - 0
    .max_flat_workgroup_size: 256
    .name:           _ZN9rocsparseL38bsrgemm_block_per_row_atomic_multipassILj256ELj64ELj4Eli21rocsparse_complex_numIfEEEv20rocsparse_direction_T3_S4_PKS4_S6_NS_24const_host_device_scalarIT4_EEPKT2_S6_PKS8_SC_S6_SE_S9_SC_S6_SE_SC_PS4_PS8_PSA_21rocsparse_index_base_SI_SI_SI_bbb
    .private_segment_fixed_size: 0
    .sgpr_count:     70
    .sgpr_spill_count: 0
    .symbol:         _ZN9rocsparseL38bsrgemm_block_per_row_atomic_multipassILj256ELj64ELj4Eli21rocsparse_complex_numIfEEEv20rocsparse_direction_T3_S4_PKS4_S6_NS_24const_host_device_scalarIT4_EEPKT2_S6_PKS8_SC_S6_SE_S9_SC_S6_SE_SC_PS4_PS8_PSA_21rocsparse_index_base_SI_SI_SI_bbb.kd
    .uniform_work_group_size: 1
    .uses_dynamic_stack: false
    .vgpr_count:     61
    .vgpr_spill_count: 0
    .wavefront_size: 32
    .workgroup_processor_mode: 1
  - .args:
      - .offset:         0
        .size:           4
        .value_kind:     by_value
      - .offset:         4
        .size:           4
        .value_kind:     by_value
      - .offset:         8
        .size:           4
        .value_kind:     by_value
      - .actual_access:  read_only
        .address_space:  global
        .offset:         16
        .size:           8
        .value_kind:     global_buffer
      - .actual_access:  read_only
        .address_space:  global
        .offset:         24
        .size:           8
        .value_kind:     global_buffer
      - .offset:         32
        .size:           8
        .value_kind:     by_value
      - .actual_access:  read_only
        .address_space:  global
        .offset:         40
        .size:           8
        .value_kind:     global_buffer
      - .actual_access:  read_only
        .address_space:  global
        .offset:         48
        .size:           8
        .value_kind:     global_buffer
      - .actual_access:  read_only
        .address_space:  global
        .offset:         56
        .size:           8
        .value_kind:     global_buffer
      - .actual_access:  read_only
        .address_space:  global
        .offset:         64
        .size:           8
        .value_kind:     global_buffer
      - .actual_access:  read_only
        .address_space:  global
        .offset:         72
        .size:           8
        .value_kind:     global_buffer
      - .actual_access:  read_only
        .address_space:  global
        .offset:         80
        .size:           8
        .value_kind:     global_buffer
      - .offset:         88
        .size:           8
        .value_kind:     by_value
      - .actual_access:  read_only
        .address_space:  global
        .offset:         96
        .size:           8
        .value_kind:     global_buffer
      - .actual_access:  read_only
        .address_space:  global
        .offset:         104
        .size:           8
        .value_kind:     global_buffer
      - .actual_access:  read_only
        .address_space:  global
        .offset:         112
        .size:           8
        .value_kind:     global_buffer
      - .actual_access:  read_only
        .address_space:  global
        .offset:         120
        .size:           8
        .value_kind:     global_buffer
      - .actual_access:  write_only
        .address_space:  global
        .offset:         128
        .size:           8
        .value_kind:     global_buffer
      - .actual_access:  write_only
        .address_space:  global
        .offset:         136
        .size:           8
        .value_kind:     global_buffer
      - .address_space:  global
        .offset:         144
        .size:           8
        .value_kind:     global_buffer
      - .offset:         152
        .size:           4
        .value_kind:     by_value
      - .offset:         156
        .size:           4
        .value_kind:     by_value
      - .offset:         160
        .size:           4
        .value_kind:     by_value
      - .offset:         164
        .size:           4
        .value_kind:     by_value
      - .offset:         168
        .size:           1
        .value_kind:     by_value
      - .offset:         169
        .size:           1
        .value_kind:     by_value
      - .offset:         170
        .size:           1
        .value_kind:     by_value
    .group_segment_fixed_size: 18948
    .kernarg_segment_align: 8
    .kernarg_segment_size: 172
    .language:       OpenCL C
    .language_version:
      - 2
      - 0
    .max_flat_workgroup_size: 256
    .name:           _ZN9rocsparseL38bsrgemm_block_per_row_atomic_multipassILj256ELj128ELj4Eli21rocsparse_complex_numIfEEEv20rocsparse_direction_T3_S4_PKS4_S6_NS_24const_host_device_scalarIT4_EEPKT2_S6_PKS8_SC_S6_SE_S9_SC_S6_SE_SC_PS4_PS8_PSA_21rocsparse_index_base_SI_SI_SI_bbb
    .private_segment_fixed_size: 0
    .sgpr_count:     74
    .sgpr_spill_count: 0
    .symbol:         _ZN9rocsparseL38bsrgemm_block_per_row_atomic_multipassILj256ELj128ELj4Eli21rocsparse_complex_numIfEEEv20rocsparse_direction_T3_S4_PKS4_S6_NS_24const_host_device_scalarIT4_EEPKT2_S6_PKS8_SC_S6_SE_S9_SC_S6_SE_SC_PS4_PS8_PSA_21rocsparse_index_base_SI_SI_SI_bbb.kd
    .uniform_work_group_size: 1
    .uses_dynamic_stack: false
    .vgpr_count:     62
    .vgpr_spill_count: 0
    .wavefront_size: 32
    .workgroup_processor_mode: 1
  - .args:
      - .offset:         0
        .size:           4
        .value_kind:     by_value
      - .offset:         4
        .size:           4
        .value_kind:     by_value
      - .offset:         8
        .size:           4
        .value_kind:     by_value
      - .offset:         12
        .size:           4
        .value_kind:     by_value
      - .actual_access:  read_only
        .address_space:  global
        .offset:         16
        .size:           8
        .value_kind:     global_buffer
      - .actual_access:  read_only
        .address_space:  global
        .offset:         24
        .size:           8
        .value_kind:     global_buffer
      - .offset:         32
        .size:           8
        .value_kind:     by_value
      - .actual_access:  read_only
        .address_space:  global
        .offset:         40
        .size:           8
        .value_kind:     global_buffer
      - .actual_access:  read_only
        .address_space:  global
        .offset:         48
        .size:           8
        .value_kind:     global_buffer
      - .actual_access:  read_only
        .address_space:  global
        .offset:         56
        .size:           8
        .value_kind:     global_buffer
      - .actual_access:  read_only
        .address_space:  global
        .offset:         64
        .size:           8
        .value_kind:     global_buffer
      - .actual_access:  read_only
        .address_space:  global
        .offset:         72
        .size:           8
        .value_kind:     global_buffer
      - .actual_access:  read_only
        .address_space:  global
        .offset:         80
        .size:           8
        .value_kind:     global_buffer
      - .offset:         88
        .size:           8
        .value_kind:     by_value
      - .actual_access:  read_only
        .address_space:  global
        .offset:         96
        .size:           8
        .value_kind:     global_buffer
      - .actual_access:  read_only
        .address_space:  global
        .offset:         104
        .size:           8
        .value_kind:     global_buffer
      - .actual_access:  read_only
        .address_space:  global
        .offset:         112
        .size:           8
        .value_kind:     global_buffer
      - .actual_access:  read_only
        .address_space:  global
        .offset:         120
        .size:           8
        .value_kind:     global_buffer
      - .actual_access:  write_only
        .address_space:  global
        .offset:         128
        .size:           8
        .value_kind:     global_buffer
      - .actual_access:  write_only
        .address_space:  global
        .offset:         136
        .size:           8
        .value_kind:     global_buffer
      - .offset:         144
        .size:           4
        .value_kind:     by_value
      - .offset:         148
        .size:           4
        .value_kind:     by_value
      - .offset:         152
        .size:           4
        .value_kind:     by_value
      - .offset:         156
        .size:           4
        .value_kind:     by_value
      - .offset:         160
        .size:           1
        .value_kind:     by_value
      - .offset:         161
        .size:           1
        .value_kind:     by_value
      - .offset:         162
        .size:           1
        .value_kind:     by_value
    .group_segment_fixed_size: 16512
    .kernarg_segment_align: 8
    .kernarg_segment_size: 164
    .language:       OpenCL C
    .language_version:
      - 2
      - 0
    .max_flat_workgroup_size: 256
    .name:           _ZN9rocsparseL23bsrgemm_fill_wf_per_rowILj256ELj64ELj8ELj137ELj8Eli21rocsparse_complex_numIfEEEv20rocsparse_direction_T5_S4_S4_PKS4_S6_NS_24const_host_device_scalarIT6_EEPKT4_S6_PKS8_SC_S6_SE_S9_SC_S6_SE_SC_PS4_PS8_21rocsparse_index_base_SH_SH_SH_bbb
    .private_segment_fixed_size: 0
    .sgpr_count:     53
    .sgpr_spill_count: 0
    .symbol:         _ZN9rocsparseL23bsrgemm_fill_wf_per_rowILj256ELj64ELj8ELj137ELj8Eli21rocsparse_complex_numIfEEEv20rocsparse_direction_T5_S4_S4_PKS4_S6_NS_24const_host_device_scalarIT6_EEPKT4_S6_PKS8_SC_S6_SE_S9_SC_S6_SE_SC_PS4_PS8_21rocsparse_index_base_SH_SH_SH_bbb.kd
    .uniform_work_group_size: 1
    .uses_dynamic_stack: false
    .vgpr_count:     40
    .vgpr_spill_count: 0
    .wavefront_size: 32
    .workgroup_processor_mode: 1
  - .args:
      - .offset:         0
        .size:           4
        .value_kind:     by_value
      - .offset:         4
        .size:           4
        .value_kind:     by_value
      - .offset:         8
        .size:           4
        .value_kind:     by_value
      - .actual_access:  read_only
        .address_space:  global
        .offset:         16
        .size:           8
        .value_kind:     global_buffer
      - .actual_access:  read_only
        .address_space:  global
        .offset:         24
        .size:           8
        .value_kind:     global_buffer
      - .offset:         32
        .size:           8
        .value_kind:     by_value
      - .actual_access:  read_only
        .address_space:  global
        .offset:         40
        .size:           8
        .value_kind:     global_buffer
      - .actual_access:  read_only
        .address_space:  global
        .offset:         48
        .size:           8
        .value_kind:     global_buffer
      - .actual_access:  read_only
        .address_space:  global
        .offset:         56
        .size:           8
        .value_kind:     global_buffer
      - .actual_access:  read_only
        .address_space:  global
        .offset:         64
        .size:           8
        .value_kind:     global_buffer
      - .actual_access:  read_only
        .address_space:  global
        .offset:         72
        .size:           8
        .value_kind:     global_buffer
      - .actual_access:  read_only
        .address_space:  global
        .offset:         80
        .size:           8
        .value_kind:     global_buffer
      - .offset:         88
        .size:           8
        .value_kind:     by_value
      - .actual_access:  read_only
        .address_space:  global
        .offset:         96
        .size:           8
        .value_kind:     global_buffer
      - .actual_access:  read_only
        .address_space:  global
        .offset:         104
        .size:           8
        .value_kind:     global_buffer
      - .actual_access:  read_only
        .address_space:  global
        .offset:         112
        .size:           8
        .value_kind:     global_buffer
      - .actual_access:  read_only
        .address_space:  global
        .offset:         120
        .size:           8
        .value_kind:     global_buffer
      - .actual_access:  write_only
        .address_space:  global
        .offset:         128
        .size:           8
        .value_kind:     global_buffer
      - .actual_access:  write_only
        .address_space:  global
        .offset:         136
        .size:           8
        .value_kind:     global_buffer
      - .address_space:  global
        .offset:         144
        .size:           8
        .value_kind:     global_buffer
      - .offset:         152
        .size:           4
        .value_kind:     by_value
      - .offset:         156
        .size:           4
        .value_kind:     by_value
      - .offset:         160
        .size:           4
        .value_kind:     by_value
      - .offset:         164
        .size:           4
        .value_kind:     by_value
      - .offset:         168
        .size:           1
        .value_kind:     by_value
      - .offset:         169
        .size:           1
        .value_kind:     by_value
      - .offset:         170
        .size:           1
        .value_kind:     by_value
    .group_segment_fixed_size: 10308
    .kernarg_segment_align: 8
    .kernarg_segment_size: 172
    .language:       OpenCL C
    .language_version:
      - 2
      - 0
    .max_flat_workgroup_size: 256
    .name:           _ZN9rocsparseL38bsrgemm_block_per_row_atomic_multipassILj256ELj16ELj8Eli21rocsparse_complex_numIfEEEv20rocsparse_direction_T3_S4_PKS4_S6_NS_24const_host_device_scalarIT4_EEPKT2_S6_PKS8_SC_S6_SE_S9_SC_S6_SE_SC_PS4_PS8_PSA_21rocsparse_index_base_SI_SI_SI_bbb
    .private_segment_fixed_size: 0
    .sgpr_count:     68
    .sgpr_spill_count: 0
    .symbol:         _ZN9rocsparseL38bsrgemm_block_per_row_atomic_multipassILj256ELj16ELj8Eli21rocsparse_complex_numIfEEEv20rocsparse_direction_T3_S4_PKS4_S6_NS_24const_host_device_scalarIT4_EEPKT2_S6_PKS8_SC_S6_SE_S9_SC_S6_SE_SC_PS4_PS8_PSA_21rocsparse_index_base_SI_SI_SI_bbb.kd
    .uniform_work_group_size: 1
    .uses_dynamic_stack: false
    .vgpr_count:     59
    .vgpr_spill_count: 0
    .wavefront_size: 32
    .workgroup_processor_mode: 1
  - .args:
      - .offset:         0
        .size:           4
        .value_kind:     by_value
      - .offset:         4
        .size:           4
        .value_kind:     by_value
      - .offset:         8
        .size:           4
        .value_kind:     by_value
      - .actual_access:  read_only
        .address_space:  global
        .offset:         16
        .size:           8
        .value_kind:     global_buffer
      - .actual_access:  read_only
        .address_space:  global
        .offset:         24
        .size:           8
        .value_kind:     global_buffer
      - .offset:         32
        .size:           8
        .value_kind:     by_value
      - .actual_access:  read_only
        .address_space:  global
        .offset:         40
        .size:           8
        .value_kind:     global_buffer
      - .actual_access:  read_only
        .address_space:  global
        .offset:         48
        .size:           8
        .value_kind:     global_buffer
      - .actual_access:  read_only
        .address_space:  global
        .offset:         56
        .size:           8
        .value_kind:     global_buffer
      - .actual_access:  read_only
        .address_space:  global
        .offset:         64
        .size:           8
        .value_kind:     global_buffer
      - .actual_access:  read_only
        .address_space:  global
        .offset:         72
        .size:           8
        .value_kind:     global_buffer
      - .actual_access:  read_only
        .address_space:  global
        .offset:         80
        .size:           8
        .value_kind:     global_buffer
      - .offset:         88
        .size:           8
        .value_kind:     by_value
      - .actual_access:  read_only
        .address_space:  global
        .offset:         96
        .size:           8
        .value_kind:     global_buffer
      - .actual_access:  read_only
        .address_space:  global
        .offset:         104
        .size:           8
        .value_kind:     global_buffer
      - .actual_access:  read_only
        .address_space:  global
        .offset:         112
        .size:           8
        .value_kind:     global_buffer
      - .actual_access:  read_only
        .address_space:  global
        .offset:         120
        .size:           8
        .value_kind:     global_buffer
      - .actual_access:  write_only
        .address_space:  global
        .offset:         128
        .size:           8
        .value_kind:     global_buffer
      - .actual_access:  write_only
        .address_space:  global
        .offset:         136
        .size:           8
        .value_kind:     global_buffer
      - .address_space:  global
        .offset:         144
        .size:           8
        .value_kind:     global_buffer
      - .offset:         152
        .size:           4
        .value_kind:     by_value
      - .offset:         156
        .size:           4
        .value_kind:     by_value
      - .offset:         160
        .size:           4
        .value_kind:     by_value
      - .offset:         164
        .size:           4
        .value_kind:     by_value
      - .offset:         168
        .size:           1
        .value_kind:     by_value
      - .offset:         169
        .size:           1
        .value_kind:     by_value
      - .offset:         170
        .size:           1
        .value_kind:     by_value
    .group_segment_fixed_size: 18564
    .kernarg_segment_align: 8
    .kernarg_segment_size: 172
    .language:       OpenCL C
    .language_version:
      - 2
      - 0
    .max_flat_workgroup_size: 256
    .name:           _ZN9rocsparseL38bsrgemm_block_per_row_atomic_multipassILj256ELj32ELj8Eli21rocsparse_complex_numIfEEEv20rocsparse_direction_T3_S4_PKS4_S6_NS_24const_host_device_scalarIT4_EEPKT2_S6_PKS8_SC_S6_SE_S9_SC_S6_SE_SC_PS4_PS8_PSA_21rocsparse_index_base_SI_SI_SI_bbb
    .private_segment_fixed_size: 0
    .sgpr_count:     72
    .sgpr_spill_count: 0
    .symbol:         _ZN9rocsparseL38bsrgemm_block_per_row_atomic_multipassILj256ELj32ELj8Eli21rocsparse_complex_numIfEEEv20rocsparse_direction_T3_S4_PKS4_S6_NS_24const_host_device_scalarIT4_EEPKT2_S6_PKS8_SC_S6_SE_S9_SC_S6_SE_SC_PS4_PS8_PSA_21rocsparse_index_base_SI_SI_SI_bbb.kd
    .uniform_work_group_size: 1
    .uses_dynamic_stack: false
    .vgpr_count:     60
    .vgpr_spill_count: 0
    .wavefront_size: 32
    .workgroup_processor_mode: 1
  - .args:
      - .offset:         0
        .size:           4
        .value_kind:     by_value
      - .offset:         4
        .size:           4
        .value_kind:     by_value
      - .offset:         8
        .size:           4
        .value_kind:     by_value
      - .actual_access:  read_only
        .address_space:  global
        .offset:         16
        .size:           8
        .value_kind:     global_buffer
      - .actual_access:  read_only
        .address_space:  global
        .offset:         24
        .size:           8
        .value_kind:     global_buffer
      - .offset:         32
        .size:           8
        .value_kind:     by_value
      - .actual_access:  read_only
        .address_space:  global
        .offset:         40
        .size:           8
        .value_kind:     global_buffer
      - .actual_access:  read_only
        .address_space:  global
        .offset:         48
        .size:           8
        .value_kind:     global_buffer
      - .actual_access:  read_only
        .address_space:  global
        .offset:         56
        .size:           8
        .value_kind:     global_buffer
      - .actual_access:  read_only
        .address_space:  global
        .offset:         64
        .size:           8
        .value_kind:     global_buffer
      - .actual_access:  read_only
        .address_space:  global
        .offset:         72
        .size:           8
        .value_kind:     global_buffer
      - .actual_access:  read_only
        .address_space:  global
        .offset:         80
        .size:           8
        .value_kind:     global_buffer
      - .offset:         88
        .size:           8
        .value_kind:     by_value
      - .actual_access:  read_only
        .address_space:  global
        .offset:         96
        .size:           8
        .value_kind:     global_buffer
      - .actual_access:  read_only
        .address_space:  global
        .offset:         104
        .size:           8
        .value_kind:     global_buffer
      - .actual_access:  read_only
        .address_space:  global
        .offset:         112
        .size:           8
        .value_kind:     global_buffer
      - .actual_access:  read_only
        .address_space:  global
        .offset:         120
        .size:           8
        .value_kind:     global_buffer
      - .actual_access:  write_only
        .address_space:  global
        .offset:         128
        .size:           8
        .value_kind:     global_buffer
      - .actual_access:  write_only
        .address_space:  global
        .offset:         136
        .size:           8
        .value_kind:     global_buffer
      - .address_space:  global
        .offset:         144
        .size:           8
        .value_kind:     global_buffer
      - .offset:         152
        .size:           4
        .value_kind:     by_value
      - .offset:         156
        .size:           4
        .value_kind:     by_value
      - .offset:         160
        .size:           4
        .value_kind:     by_value
      - .offset:         164
        .size:           4
        .value_kind:     by_value
      - .offset:         168
        .size:           1
        .value_kind:     by_value
      - .offset:         169
        .size:           1
        .value_kind:     by_value
      - .offset:         170
        .size:           1
        .value_kind:     by_value
    .group_segment_fixed_size: 16392
    .kernarg_segment_align: 8
    .kernarg_segment_size: 172
    .language:       OpenCL C
    .language_version:
      - 2
      - 0
    .max_flat_workgroup_size: 256
    .name:           _ZN9rocsparseL31bsrgemm_block_per_row_multipassILj256ELj8ELj16Eli21rocsparse_complex_numIfEEEv20rocsparse_direction_T3_S4_PKS4_S6_NS_24const_host_device_scalarIT4_EEPKT2_S6_PKS8_SC_S6_SE_S9_SC_S6_SE_SC_PS4_PS8_PSA_21rocsparse_index_base_SI_SI_SI_bbb
    .private_segment_fixed_size: 0
    .sgpr_count:     72
    .sgpr_spill_count: 0
    .symbol:         _ZN9rocsparseL31bsrgemm_block_per_row_multipassILj256ELj8ELj16Eli21rocsparse_complex_numIfEEEv20rocsparse_direction_T3_S4_PKS4_S6_NS_24const_host_device_scalarIT4_EEPKT2_S6_PKS8_SC_S6_SE_S9_SC_S6_SE_SC_PS4_PS8_PSA_21rocsparse_index_base_SI_SI_SI_bbb.kd
    .uniform_work_group_size: 1
    .uses_dynamic_stack: false
    .vgpr_count:     46
    .vgpr_spill_count: 0
    .wavefront_size: 32
    .workgroup_processor_mode: 1
  - .args:
      - .offset:         0
        .size:           4
        .value_kind:     by_value
      - .offset:         4
        .size:           4
        .value_kind:     by_value
      - .offset:         8
        .size:           4
        .value_kind:     by_value
      - .actual_access:  read_only
        .address_space:  global
        .offset:         16
        .size:           8
        .value_kind:     global_buffer
      - .actual_access:  read_only
        .address_space:  global
        .offset:         24
        .size:           8
        .value_kind:     global_buffer
      - .offset:         32
        .size:           8
        .value_kind:     by_value
      - .actual_access:  read_only
        .address_space:  global
        .offset:         40
        .size:           8
        .value_kind:     global_buffer
      - .actual_access:  read_only
        .address_space:  global
        .offset:         48
        .size:           8
        .value_kind:     global_buffer
      - .actual_access:  read_only
        .address_space:  global
        .offset:         56
        .size:           8
        .value_kind:     global_buffer
      - .actual_access:  read_only
        .address_space:  global
        .offset:         64
        .size:           8
        .value_kind:     global_buffer
      - .actual_access:  read_only
        .address_space:  global
        .offset:         72
        .size:           8
        .value_kind:     global_buffer
      - .actual_access:  read_only
        .address_space:  global
        .offset:         80
        .size:           8
        .value_kind:     global_buffer
      - .offset:         88
        .size:           8
        .value_kind:     by_value
      - .actual_access:  read_only
        .address_space:  global
        .offset:         96
        .size:           8
        .value_kind:     global_buffer
      - .actual_access:  read_only
        .address_space:  global
        .offset:         104
        .size:           8
        .value_kind:     global_buffer
      - .actual_access:  read_only
        .address_space:  global
        .offset:         112
        .size:           8
        .value_kind:     global_buffer
      - .actual_access:  read_only
        .address_space:  global
        .offset:         120
        .size:           8
        .value_kind:     global_buffer
      - .actual_access:  write_only
        .address_space:  global
        .offset:         128
        .size:           8
        .value_kind:     global_buffer
      - .actual_access:  write_only
        .address_space:  global
        .offset:         136
        .size:           8
        .value_kind:     global_buffer
      - .address_space:  global
        .offset:         144
        .size:           8
        .value_kind:     global_buffer
      - .offset:         152
        .size:           4
        .value_kind:     by_value
      - .offset:         156
        .size:           4
        .value_kind:     by_value
      - .offset:         160
        .size:           4
        .value_kind:     by_value
      - .offset:         164
        .size:           4
        .value_kind:     by_value
      - .offset:         168
        .size:           1
        .value_kind:     by_value
      - .offset:         169
        .size:           1
        .value_kind:     by_value
      - .offset:         170
        .size:           1
        .value_kind:     by_value
    .group_segment_fixed_size: 16388
    .kernarg_segment_align: 8
    .kernarg_segment_size: 172
    .language:       OpenCL C
    .language_version:
      - 2
      - 0
    .max_flat_workgroup_size: 256
    .name:           _ZN9rocsparseL31bsrgemm_block_per_row_multipassILj256ELj2ELj32Eli21rocsparse_complex_numIfEEEv20rocsparse_direction_T3_S4_PKS4_S6_NS_24const_host_device_scalarIT4_EEPKT2_S6_PKS8_SC_S6_SE_S9_SC_S6_SE_SC_PS4_PS8_PSA_21rocsparse_index_base_SI_SI_SI_bbb
    .private_segment_fixed_size: 0
    .sgpr_count:     80
    .sgpr_spill_count: 0
    .symbol:         _ZN9rocsparseL31bsrgemm_block_per_row_multipassILj256ELj2ELj32Eli21rocsparse_complex_numIfEEEv20rocsparse_direction_T3_S4_PKS4_S6_NS_24const_host_device_scalarIT4_EEPKT2_S6_PKS8_SC_S6_SE_S9_SC_S6_SE_SC_PS4_PS8_PSA_21rocsparse_index_base_SI_SI_SI_bbb.kd
    .uniform_work_group_size: 1
    .uses_dynamic_stack: false
    .vgpr_count:     85
    .vgpr_spill_count: 0
    .wavefront_size: 32
    .workgroup_processor_mode: 1
  - .args:
      - .offset:         0
        .size:           4
        .value_kind:     by_value
      - .actual_access:  read_only
        .address_space:  global
        .offset:         8
        .size:           8
        .value_kind:     global_buffer
      - .actual_access:  write_only
        .address_space:  global
        .offset:         16
        .size:           8
        .value_kind:     global_buffer
      - .actual_access:  write_only
        .address_space:  global
        .offset:         24
        .size:           8
        .value_kind:     global_buffer
      - .offset:         32
        .size:           4
        .value_kind:     hidden_block_count_x
      - .offset:         36
        .size:           4
        .value_kind:     hidden_block_count_y
      - .offset:         40
        .size:           4
        .value_kind:     hidden_block_count_z
      - .offset:         44
        .size:           2
        .value_kind:     hidden_group_size_x
      - .offset:         46
        .size:           2
        .value_kind:     hidden_group_size_y
      - .offset:         48
        .size:           2
        .value_kind:     hidden_group_size_z
      - .offset:         50
        .size:           2
        .value_kind:     hidden_remainder_x
      - .offset:         52
        .size:           2
        .value_kind:     hidden_remainder_y
      - .offset:         54
        .size:           2
        .value_kind:     hidden_remainder_z
      - .offset:         72
        .size:           8
        .value_kind:     hidden_global_offset_x
      - .offset:         80
        .size:           8
        .value_kind:     hidden_global_offset_y
      - .offset:         88
        .size:           8
        .value_kind:     hidden_global_offset_z
      - .offset:         96
        .size:           2
        .value_kind:     hidden_grid_dims
    .group_segment_fixed_size: 8192
    .kernarg_segment_align: 8
    .kernarg_segment_size: 288
    .language:       OpenCL C
    .language_version:
      - 2
      - 0
    .max_flat_workgroup_size: 256
    .name:           _ZN9rocsparseL26bsrgemm_group_reduce_part2ILj256ELj8ELj2E21rocsparse_complex_numIdEliEEvT4_PKT3_PS3_Pi
    .private_segment_fixed_size: 0
    .sgpr_count:     19
    .sgpr_spill_count: 0
    .symbol:         _ZN9rocsparseL26bsrgemm_group_reduce_part2ILj256ELj8ELj2E21rocsparse_complex_numIdEliEEvT4_PKT3_PS3_Pi.kd
    .uniform_work_group_size: 1
    .uses_dynamic_stack: false
    .vgpr_count:     18
    .vgpr_spill_count: 0
    .wavefront_size: 32
    .workgroup_processor_mode: 1
  - .args:
      - .offset:         0
        .size:           4
        .value_kind:     by_value
      - .actual_access:  read_only
        .address_space:  global
        .offset:         8
        .size:           8
        .value_kind:     global_buffer
      - .actual_access:  write_only
        .address_space:  global
        .offset:         16
        .size:           8
        .value_kind:     global_buffer
      - .actual_access:  write_only
        .address_space:  global
        .offset:         24
        .size:           8
        .value_kind:     global_buffer
      - .offset:         32
        .size:           4
        .value_kind:     hidden_block_count_x
      - .offset:         36
        .size:           4
        .value_kind:     hidden_block_count_y
      - .offset:         40
        .size:           4
        .value_kind:     hidden_block_count_z
      - .offset:         44
        .size:           2
        .value_kind:     hidden_group_size_x
      - .offset:         46
        .size:           2
        .value_kind:     hidden_group_size_y
      - .offset:         48
        .size:           2
        .value_kind:     hidden_group_size_z
      - .offset:         50
        .size:           2
        .value_kind:     hidden_remainder_x
      - .offset:         52
        .size:           2
        .value_kind:     hidden_remainder_y
      - .offset:         54
        .size:           2
        .value_kind:     hidden_remainder_z
      - .offset:         72
        .size:           8
        .value_kind:     hidden_global_offset_x
      - .offset:         80
        .size:           8
        .value_kind:     hidden_global_offset_y
      - .offset:         88
        .size:           8
        .value_kind:     hidden_global_offset_z
      - .offset:         96
        .size:           2
        .value_kind:     hidden_grid_dims
    .group_segment_fixed_size: 8192
    .kernarg_segment_align: 8
    .kernarg_segment_size: 288
    .language:       OpenCL C
    .language_version:
      - 2
      - 0
    .max_flat_workgroup_size: 256
    .name:           _ZN9rocsparseL26bsrgemm_group_reduce_part2ILj256ELj8ELj8E21rocsparse_complex_numIdEliEEvT4_PKT3_PS3_Pi
    .private_segment_fixed_size: 0
    .sgpr_count:     20
    .sgpr_spill_count: 0
    .symbol:         _ZN9rocsparseL26bsrgemm_group_reduce_part2ILj256ELj8ELj8E21rocsparse_complex_numIdEliEEvT4_PKT3_PS3_Pi.kd
    .uniform_work_group_size: 1
    .uses_dynamic_stack: false
    .vgpr_count:     18
    .vgpr_spill_count: 0
    .wavefront_size: 32
    .workgroup_processor_mode: 1
  - .args:
      - .offset:         0
        .size:           4
        .value_kind:     by_value
      - .offset:         4
        .size:           4
        .value_kind:     by_value
      - .offset:         8
        .size:           4
        .value_kind:     by_value
      - .actual_access:  read_only
        .address_space:  global
        .offset:         16
        .size:           8
        .value_kind:     global_buffer
      - .actual_access:  read_only
        .address_space:  global
        .offset:         24
        .size:           8
        .value_kind:     global_buffer
      - .offset:         32
        .size:           16
        .value_kind:     by_value
      - .actual_access:  read_only
        .address_space:  global
        .offset:         48
        .size:           8
        .value_kind:     global_buffer
      - .actual_access:  read_only
        .address_space:  global
        .offset:         56
        .size:           8
        .value_kind:     global_buffer
      - .actual_access:  read_only
        .address_space:  global
        .offset:         64
        .size:           8
        .value_kind:     global_buffer
      - .actual_access:  read_only
        .address_space:  global
        .offset:         72
        .size:           8
        .value_kind:     global_buffer
      - .actual_access:  read_only
        .address_space:  global
        .offset:         80
        .size:           8
        .value_kind:     global_buffer
      - .actual_access:  read_only
        .address_space:  global
        .offset:         88
        .size:           8
        .value_kind:     global_buffer
      - .offset:         96
        .size:           16
        .value_kind:     by_value
      - .actual_access:  read_only
        .address_space:  global
        .offset:         112
        .size:           8
        .value_kind:     global_buffer
      - .actual_access:  read_only
        .address_space:  global
        .offset:         120
        .size:           8
        .value_kind:     global_buffer
      - .actual_access:  read_only
        .address_space:  global
        .offset:         128
        .size:           8
        .value_kind:     global_buffer
      - .actual_access:  read_only
        .address_space:  global
        .offset:         136
        .size:           8
        .value_kind:     global_buffer
      - .actual_access:  write_only
        .address_space:  global
        .offset:         144
        .size:           8
        .value_kind:     global_buffer
      - .actual_access:  write_only
        .address_space:  global
        .offset:         152
        .size:           8
        .value_kind:     global_buffer
      - .offset:         160
        .size:           4
        .value_kind:     by_value
      - .offset:         164
        .size:           4
        .value_kind:     by_value
      - .offset:         168
        .size:           4
        .value_kind:     by_value
      - .offset:         172
        .size:           4
        .value_kind:     by_value
      - .offset:         176
        .size:           1
        .value_kind:     by_value
      - .offset:         177
        .size:           1
        .value_kind:     by_value
      - .offset:         178
        .size:           1
        .value_kind:     by_value
    .group_segment_fixed_size: 12800
    .kernarg_segment_align: 8
    .kernarg_segment_size: 180
    .language:       OpenCL C
    .language_version:
      - 2
      - 0
    .max_flat_workgroup_size: 256
    .name:           _ZN9rocsparseL27bsrgemm_fill_wf_per_row_2x2ILj256ELj16ELj8ELj137Eli21rocsparse_complex_numIdEEEv20rocsparse_direction_T4_S4_PKS4_S6_NS_24const_host_device_scalarIT5_EEPKT3_S6_PKS8_SC_S6_SE_S9_SC_S6_SE_SC_PS4_PS8_21rocsparse_index_base_SH_SH_SH_bbb
    .private_segment_fixed_size: 0
    .sgpr_count:     50
    .sgpr_spill_count: 0
    .symbol:         _ZN9rocsparseL27bsrgemm_fill_wf_per_row_2x2ILj256ELj16ELj8ELj137Eli21rocsparse_complex_numIdEEEv20rocsparse_direction_T4_S4_PKS4_S6_NS_24const_host_device_scalarIT5_EEPKT3_S6_PKS8_SC_S6_SE_S9_SC_S6_SE_SC_PS4_PS8_21rocsparse_index_base_SH_SH_SH_bbb.kd
    .uniform_work_group_size: 1
    .uses_dynamic_stack: false
    .vgpr_count:     68
    .vgpr_spill_count: 0
    .wavefront_size: 32
    .workgroup_processor_mode: 1
  - .args:
      - .offset:         0
        .size:           4
        .value_kind:     by_value
      - .offset:         4
        .size:           4
        .value_kind:     by_value
      - .offset:         8
        .size:           4
        .value_kind:     by_value
      - .actual_access:  read_only
        .address_space:  global
        .offset:         16
        .size:           8
        .value_kind:     global_buffer
      - .actual_access:  read_only
        .address_space:  global
        .offset:         24
        .size:           8
        .value_kind:     global_buffer
      - .offset:         32
        .size:           16
        .value_kind:     by_value
      - .actual_access:  read_only
        .address_space:  global
        .offset:         48
        .size:           8
        .value_kind:     global_buffer
      - .actual_access:  read_only
        .address_space:  global
        .offset:         56
        .size:           8
        .value_kind:     global_buffer
      - .actual_access:  read_only
        .address_space:  global
        .offset:         64
        .size:           8
        .value_kind:     global_buffer
      - .actual_access:  read_only
        .address_space:  global
        .offset:         72
        .size:           8
        .value_kind:     global_buffer
      - .actual_access:  read_only
        .address_space:  global
        .offset:         80
        .size:           8
        .value_kind:     global_buffer
      - .actual_access:  read_only
        .address_space:  global
        .offset:         88
        .size:           8
        .value_kind:     global_buffer
      - .offset:         96
        .size:           16
        .value_kind:     by_value
      - .actual_access:  read_only
        .address_space:  global
        .offset:         112
        .size:           8
        .value_kind:     global_buffer
      - .actual_access:  read_only
        .address_space:  global
        .offset:         120
        .size:           8
        .value_kind:     global_buffer
      - .actual_access:  read_only
        .address_space:  global
        .offset:         128
        .size:           8
        .value_kind:     global_buffer
      - .actual_access:  read_only
        .address_space:  global
        .offset:         136
        .size:           8
        .value_kind:     global_buffer
      - .actual_access:  write_only
        .address_space:  global
        .offset:         144
        .size:           8
        .value_kind:     global_buffer
      - .actual_access:  write_only
        .address_space:  global
        .offset:         152
        .size:           8
        .value_kind:     global_buffer
      - .offset:         160
        .size:           4
        .value_kind:     by_value
      - .offset:         164
        .size:           4
        .value_kind:     by_value
      - .offset:         168
        .size:           4
        .value_kind:     by_value
      - .offset:         172
        .size:           4
        .value_kind:     by_value
      - .offset:         176
        .size:           1
        .value_kind:     by_value
      - .offset:         177
        .size:           1
        .value_kind:     by_value
      - .offset:         178
        .size:           1
        .value_kind:     by_value
    .group_segment_fixed_size: 17408
    .kernarg_segment_align: 8
    .kernarg_segment_size: 180
    .language:       OpenCL C
    .language_version:
      - 2
      - 0
    .max_flat_workgroup_size: 256
    .name:           _ZN9rocsparseL27bsrgemm_fill_wf_per_row_2x2ILj256ELj16ELj16ELj137Eli21rocsparse_complex_numIdEEEv20rocsparse_direction_T4_S4_PKS4_S6_NS_24const_host_device_scalarIT5_EEPKT3_S6_PKS8_SC_S6_SE_S9_SC_S6_SE_SC_PS4_PS8_21rocsparse_index_base_SH_SH_SH_bbb
    .private_segment_fixed_size: 24
    .sgpr_count:     50
    .sgpr_spill_count: 0
    .symbol:         _ZN9rocsparseL27bsrgemm_fill_wf_per_row_2x2ILj256ELj16ELj16ELj137Eli21rocsparse_complex_numIdEEEv20rocsparse_direction_T4_S4_PKS4_S6_NS_24const_host_device_scalarIT5_EEPKT3_S6_PKS8_SC_S6_SE_S9_SC_S6_SE_SC_PS4_PS8_21rocsparse_index_base_SH_SH_SH_bbb.kd
    .uniform_work_group_size: 1
    .uses_dynamic_stack: false
    .vgpr_count:     69
    .vgpr_spill_count: 0
    .wavefront_size: 32
    .workgroup_processor_mode: 1
  - .args:
      - .offset:         0
        .size:           4
        .value_kind:     by_value
      - .offset:         4
        .size:           4
        .value_kind:     by_value
      - .offset:         8
        .size:           4
        .value_kind:     by_value
      - .actual_access:  read_only
        .address_space:  global
        .offset:         16
        .size:           8
        .value_kind:     global_buffer
      - .actual_access:  read_only
        .address_space:  global
        .offset:         24
        .size:           8
        .value_kind:     global_buffer
      - .offset:         32
        .size:           16
        .value_kind:     by_value
      - .actual_access:  read_only
        .address_space:  global
        .offset:         48
        .size:           8
        .value_kind:     global_buffer
      - .actual_access:  read_only
        .address_space:  global
        .offset:         56
        .size:           8
        .value_kind:     global_buffer
      - .actual_access:  read_only
        .address_space:  global
        .offset:         64
        .size:           8
        .value_kind:     global_buffer
      - .actual_access:  read_only
        .address_space:  global
        .offset:         72
        .size:           8
        .value_kind:     global_buffer
      - .actual_access:  read_only
        .address_space:  global
        .offset:         80
        .size:           8
        .value_kind:     global_buffer
      - .actual_access:  read_only
        .address_space:  global
        .offset:         88
        .size:           8
        .value_kind:     global_buffer
      - .offset:         96
        .size:           16
        .value_kind:     by_value
      - .actual_access:  read_only
        .address_space:  global
        .offset:         112
        .size:           8
        .value_kind:     global_buffer
      - .actual_access:  read_only
        .address_space:  global
        .offset:         120
        .size:           8
        .value_kind:     global_buffer
      - .actual_access:  read_only
        .address_space:  global
        .offset:         128
        .size:           8
        .value_kind:     global_buffer
      - .actual_access:  read_only
        .address_space:  global
        .offset:         136
        .size:           8
        .value_kind:     global_buffer
      - .actual_access:  write_only
        .address_space:  global
        .offset:         144
        .size:           8
        .value_kind:     global_buffer
      - .actual_access:  write_only
        .address_space:  global
        .offset:         152
        .size:           8
        .value_kind:     global_buffer
      - .offset:         160
        .size:           4
        .value_kind:     by_value
      - .offset:         164
        .size:           4
        .value_kind:     by_value
      - .offset:         168
        .size:           4
        .value_kind:     by_value
      - .offset:         172
        .size:           4
        .value_kind:     by_value
      - .offset:         176
        .size:           1
        .value_kind:     by_value
      - .offset:         177
        .size:           1
        .value_kind:     by_value
      - .offset:         178
        .size:           1
        .value_kind:     by_value
    .group_segment_fixed_size: 38912
    .kernarg_segment_align: 8
    .kernarg_segment_size: 180
    .language:       OpenCL C
    .language_version:
      - 2
      - 0
    .max_flat_workgroup_size: 256
    .name:           _ZN9rocsparseL27bsrgemm_fill_wf_per_row_2x2ILj256ELj16ELj32ELj137Eli21rocsparse_complex_numIdEEEv20rocsparse_direction_T4_S4_PKS4_S6_NS_24const_host_device_scalarIT5_EEPKT3_S6_PKS8_SC_S6_SE_S9_SC_S6_SE_SC_PS4_PS8_21rocsparse_index_base_SH_SH_SH_bbb
    .private_segment_fixed_size: 0
    .sgpr_count:     50
    .sgpr_spill_count: 0
    .symbol:         _ZN9rocsparseL27bsrgemm_fill_wf_per_row_2x2ILj256ELj16ELj32ELj137Eli21rocsparse_complex_numIdEEEv20rocsparse_direction_T4_S4_PKS4_S6_NS_24const_host_device_scalarIT5_EEPKT3_S6_PKS8_SC_S6_SE_S9_SC_S6_SE_SC_PS4_PS8_21rocsparse_index_base_SH_SH_SH_bbb.kd
    .uniform_work_group_size: 1
    .uses_dynamic_stack: false
    .vgpr_count:     71
    .vgpr_spill_count: 0
    .wavefront_size: 32
    .workgroup_processor_mode: 1
  - .args:
      - .offset:         0
        .size:           4
        .value_kind:     by_value
      - .offset:         4
        .size:           4
        .value_kind:     by_value
      - .offset:         8
        .size:           4
        .value_kind:     by_value
      - .actual_access:  read_only
        .address_space:  global
        .offset:         16
        .size:           8
        .value_kind:     global_buffer
      - .actual_access:  read_only
        .address_space:  global
        .offset:         24
        .size:           8
        .value_kind:     global_buffer
      - .offset:         32
        .size:           16
        .value_kind:     by_value
      - .actual_access:  read_only
        .address_space:  global
        .offset:         48
        .size:           8
        .value_kind:     global_buffer
      - .actual_access:  read_only
        .address_space:  global
        .offset:         56
        .size:           8
        .value_kind:     global_buffer
      - .actual_access:  read_only
        .address_space:  global
        .offset:         64
        .size:           8
        .value_kind:     global_buffer
      - .actual_access:  read_only
        .address_space:  global
        .offset:         72
        .size:           8
        .value_kind:     global_buffer
      - .actual_access:  read_only
        .address_space:  global
        .offset:         80
        .size:           8
        .value_kind:     global_buffer
      - .actual_access:  read_only
        .address_space:  global
        .offset:         88
        .size:           8
        .value_kind:     global_buffer
      - .offset:         96
        .size:           16
        .value_kind:     by_value
      - .actual_access:  read_only
        .address_space:  global
        .offset:         112
        .size:           8
        .value_kind:     global_buffer
      - .actual_access:  read_only
        .address_space:  global
        .offset:         120
        .size:           8
        .value_kind:     global_buffer
      - .actual_access:  read_only
        .address_space:  global
        .offset:         128
        .size:           8
        .value_kind:     global_buffer
      - .actual_access:  read_only
        .address_space:  global
        .offset:         136
        .size:           8
        .value_kind:     global_buffer
      - .actual_access:  write_only
        .address_space:  global
        .offset:         144
        .size:           8
        .value_kind:     global_buffer
      - .actual_access:  write_only
        .address_space:  global
        .offset:         152
        .size:           8
        .value_kind:     global_buffer
      - .offset:         160
        .size:           4
        .value_kind:     by_value
      - .offset:         164
        .size:           4
        .value_kind:     by_value
      - .offset:         168
        .size:           4
        .value_kind:     by_value
      - .offset:         172
        .size:           4
        .value_kind:     by_value
      - .offset:         176
        .size:           1
        .value_kind:     by_value
      - .offset:         177
        .size:           1
        .value_kind:     by_value
      - .offset:         178
        .size:           1
        .value_kind:     by_value
    .group_segment_fixed_size: 0
    .kernarg_segment_align: 8
    .kernarg_segment_size: 180
    .language:       OpenCL C
    .language_version:
      - 2
      - 0
    .max_flat_workgroup_size: 256
    .name:           _ZN9rocsparseL30bsrgemm_fill_block_per_row_2x2ILj256ELj16ELj64ELj137Eli21rocsparse_complex_numIdEEEv20rocsparse_direction_T4_S4_PKS4_S6_NS_24const_host_device_scalarIT5_EEPKT3_S6_PKS8_SC_S6_SE_S9_SC_S6_SE_SC_PS4_PS8_21rocsparse_index_base_SH_SH_SH_bbb
    .private_segment_fixed_size: 24
    .sgpr_count:     40
    .sgpr_spill_count: 0
    .symbol:         _ZN9rocsparseL30bsrgemm_fill_block_per_row_2x2ILj256ELj16ELj64ELj137Eli21rocsparse_complex_numIdEEEv20rocsparse_direction_T4_S4_PKS4_S6_NS_24const_host_device_scalarIT5_EEPKT3_S6_PKS8_SC_S6_SE_S9_SC_S6_SE_SC_PS4_PS8_21rocsparse_index_base_SH_SH_SH_bbb.kd
    .uniform_work_group_size: 1
    .uses_dynamic_stack: false
    .vgpr_count:     62
    .vgpr_spill_count: 0
    .wavefront_size: 32
    .workgroup_processor_mode: 1
  - .args:
      - .offset:         0
        .size:           4
        .value_kind:     by_value
      - .offset:         4
        .size:           4
        .value_kind:     by_value
      - .offset:         8
        .size:           4
        .value_kind:     by_value
      - .actual_access:  read_only
        .address_space:  global
        .offset:         16
        .size:           8
        .value_kind:     global_buffer
      - .actual_access:  read_only
        .address_space:  global
        .offset:         24
        .size:           8
        .value_kind:     global_buffer
      - .offset:         32
        .size:           16
        .value_kind:     by_value
      - .actual_access:  read_only
        .address_space:  global
        .offset:         48
        .size:           8
        .value_kind:     global_buffer
      - .actual_access:  read_only
        .address_space:  global
        .offset:         56
        .size:           8
        .value_kind:     global_buffer
      - .actual_access:  read_only
        .address_space:  global
        .offset:         64
        .size:           8
        .value_kind:     global_buffer
      - .actual_access:  read_only
        .address_space:  global
        .offset:         72
        .size:           8
        .value_kind:     global_buffer
      - .actual_access:  read_only
        .address_space:  global
        .offset:         80
        .size:           8
        .value_kind:     global_buffer
      - .actual_access:  read_only
        .address_space:  global
        .offset:         88
        .size:           8
        .value_kind:     global_buffer
      - .offset:         96
        .size:           16
        .value_kind:     by_value
      - .actual_access:  read_only
        .address_space:  global
        .offset:         112
        .size:           8
        .value_kind:     global_buffer
      - .actual_access:  read_only
        .address_space:  global
        .offset:         120
        .size:           8
        .value_kind:     global_buffer
      - .actual_access:  read_only
        .address_space:  global
        .offset:         128
        .size:           8
        .value_kind:     global_buffer
      - .actual_access:  read_only
        .address_space:  global
        .offset:         136
        .size:           8
        .value_kind:     global_buffer
      - .actual_access:  write_only
        .address_space:  global
        .offset:         144
        .size:           8
        .value_kind:     global_buffer
      - .actual_access:  write_only
        .address_space:  global
        .offset:         152
        .size:           8
        .value_kind:     global_buffer
      - .offset:         160
        .size:           4
        .value_kind:     by_value
      - .offset:         164
        .size:           4
        .value_kind:     by_value
      - .offset:         168
        .size:           4
        .value_kind:     by_value
      - .offset:         172
        .size:           4
        .value_kind:     by_value
      - .offset:         176
        .size:           1
        .value_kind:     by_value
      - .offset:         177
        .size:           1
        .value_kind:     by_value
      - .offset:         178
        .size:           1
        .value_kind:     by_value
    .group_segment_fixed_size: 0
    .kernarg_segment_align: 8
    .kernarg_segment_size: 180
    .language:       OpenCL C
    .language_version:
      - 2
      - 0
    .max_flat_workgroup_size: 256
    .name:           _ZN9rocsparseL30bsrgemm_fill_block_per_row_2x2ILj256ELj16ELj128ELj137Eli21rocsparse_complex_numIdEEEv20rocsparse_direction_T4_S4_PKS4_S6_NS_24const_host_device_scalarIT5_EEPKT3_S6_PKS8_SC_S6_SE_S9_SC_S6_SE_SC_PS4_PS8_21rocsparse_index_base_SH_SH_SH_bbb
    .private_segment_fixed_size: 24
    .sgpr_count:     50
    .sgpr_spill_count: 0
    .symbol:         _ZN9rocsparseL30bsrgemm_fill_block_per_row_2x2ILj256ELj16ELj128ELj137Eli21rocsparse_complex_numIdEEEv20rocsparse_direction_T4_S4_PKS4_S6_NS_24const_host_device_scalarIT5_EEPKT3_S6_PKS8_SC_S6_SE_S9_SC_S6_SE_SC_PS4_PS8_21rocsparse_index_base_SH_SH_SH_bbb.kd
    .uniform_work_group_size: 1
    .uses_dynamic_stack: false
    .vgpr_count:     62
    .vgpr_spill_count: 0
    .wavefront_size: 32
    .workgroup_processor_mode: 1
  - .args:
      - .offset:         0
        .size:           4
        .value_kind:     by_value
      - .offset:         4
        .size:           4
        .value_kind:     by_value
      - .offset:         8
        .size:           4
        .value_kind:     by_value
      - .actual_access:  read_only
        .address_space:  global
        .offset:         16
        .size:           8
        .value_kind:     global_buffer
      - .actual_access:  read_only
        .address_space:  global
        .offset:         24
        .size:           8
        .value_kind:     global_buffer
      - .offset:         32
        .size:           16
        .value_kind:     by_value
      - .actual_access:  read_only
        .address_space:  global
        .offset:         48
        .size:           8
        .value_kind:     global_buffer
      - .actual_access:  read_only
        .address_space:  global
        .offset:         56
        .size:           8
        .value_kind:     global_buffer
      - .actual_access:  read_only
        .address_space:  global
        .offset:         64
        .size:           8
        .value_kind:     global_buffer
      - .actual_access:  read_only
        .address_space:  global
        .offset:         72
        .size:           8
        .value_kind:     global_buffer
      - .actual_access:  read_only
        .address_space:  global
        .offset:         80
        .size:           8
        .value_kind:     global_buffer
      - .actual_access:  read_only
        .address_space:  global
        .offset:         88
        .size:           8
        .value_kind:     global_buffer
      - .offset:         96
        .size:           16
        .value_kind:     by_value
      - .actual_access:  read_only
        .address_space:  global
        .offset:         112
        .size:           8
        .value_kind:     global_buffer
      - .actual_access:  read_only
        .address_space:  global
        .offset:         120
        .size:           8
        .value_kind:     global_buffer
      - .actual_access:  read_only
        .address_space:  global
        .offset:         128
        .size:           8
        .value_kind:     global_buffer
      - .actual_access:  read_only
        .address_space:  global
        .offset:         136
        .size:           8
        .value_kind:     global_buffer
      - .actual_access:  write_only
        .address_space:  global
        .offset:         144
        .size:           8
        .value_kind:     global_buffer
      - .actual_access:  write_only
        .address_space:  global
        .offset:         152
        .size:           8
        .value_kind:     global_buffer
      - .offset:         160
        .size:           4
        .value_kind:     by_value
      - .offset:         164
        .size:           4
        .value_kind:     by_value
      - .offset:         168
        .size:           4
        .value_kind:     by_value
      - .offset:         172
        .size:           4
        .value_kind:     by_value
      - .offset:         176
        .size:           1
        .value_kind:     by_value
      - .offset:         177
        .size:           1
        .value_kind:     by_value
      - .offset:         178
        .size:           1
        .value_kind:     by_value
    .group_segment_fixed_size: 0
    .kernarg_segment_align: 8
    .kernarg_segment_size: 180
    .language:       OpenCL C
    .language_version:
      - 2
      - 0
    .max_flat_workgroup_size: 256
    .name:           _ZN9rocsparseL30bsrgemm_fill_block_per_row_2x2ILj256ELj16ELj256ELj137Eli21rocsparse_complex_numIdEEEv20rocsparse_direction_T4_S4_PKS4_S6_NS_24const_host_device_scalarIT5_EEPKT3_S6_PKS8_SC_S6_SE_S9_SC_S6_SE_SC_PS4_PS8_21rocsparse_index_base_SH_SH_SH_bbb
    .private_segment_fixed_size: 24
    .sgpr_count:     50
    .sgpr_spill_count: 0
    .symbol:         _ZN9rocsparseL30bsrgemm_fill_block_per_row_2x2ILj256ELj16ELj256ELj137Eli21rocsparse_complex_numIdEEEv20rocsparse_direction_T4_S4_PKS4_S6_NS_24const_host_device_scalarIT5_EEPKT3_S6_PKS8_SC_S6_SE_S9_SC_S6_SE_SC_PS4_PS8_21rocsparse_index_base_SH_SH_SH_bbb.kd
    .uniform_work_group_size: 1
    .uses_dynamic_stack: false
    .vgpr_count:     62
    .vgpr_spill_count: 0
    .wavefront_size: 32
    .workgroup_processor_mode: 1
  - .args:
      - .offset:         0
        .size:           4
        .value_kind:     by_value
      - .offset:         4
        .size:           4
        .value_kind:     by_value
      - .offset:         8
        .size:           4
        .value_kind:     by_value
      - .actual_access:  read_only
        .address_space:  global
        .offset:         16
        .size:           8
        .value_kind:     global_buffer
      - .actual_access:  read_only
        .address_space:  global
        .offset:         24
        .size:           8
        .value_kind:     global_buffer
      - .offset:         32
        .size:           16
        .value_kind:     by_value
      - .actual_access:  read_only
        .address_space:  global
        .offset:         48
        .size:           8
        .value_kind:     global_buffer
      - .actual_access:  read_only
        .address_space:  global
        .offset:         56
        .size:           8
        .value_kind:     global_buffer
      - .actual_access:  read_only
        .address_space:  global
        .offset:         64
        .size:           8
        .value_kind:     global_buffer
      - .actual_access:  read_only
        .address_space:  global
        .offset:         72
        .size:           8
        .value_kind:     global_buffer
      - .actual_access:  read_only
        .address_space:  global
        .offset:         80
        .size:           8
        .value_kind:     global_buffer
      - .actual_access:  read_only
        .address_space:  global
        .offset:         88
        .size:           8
        .value_kind:     global_buffer
      - .offset:         96
        .size:           16
        .value_kind:     by_value
      - .actual_access:  read_only
        .address_space:  global
        .offset:         112
        .size:           8
        .value_kind:     global_buffer
      - .actual_access:  read_only
        .address_space:  global
        .offset:         120
        .size:           8
        .value_kind:     global_buffer
      - .actual_access:  read_only
        .address_space:  global
        .offset:         128
        .size:           8
        .value_kind:     global_buffer
      - .actual_access:  read_only
        .address_space:  global
        .offset:         136
        .size:           8
        .value_kind:     global_buffer
      - .actual_access:  write_only
        .address_space:  global
        .offset:         144
        .size:           8
        .value_kind:     global_buffer
      - .actual_access:  write_only
        .address_space:  global
        .offset:         152
        .size:           8
        .value_kind:     global_buffer
      - .address_space:  global
        .offset:         160
        .size:           8
        .value_kind:     global_buffer
      - .offset:         168
        .size:           4
        .value_kind:     by_value
      - .offset:         172
        .size:           4
        .value_kind:     by_value
      - .offset:         176
        .size:           4
        .value_kind:     by_value
      - .offset:         180
        .size:           4
        .value_kind:     by_value
      - .offset:         184
        .size:           1
        .value_kind:     by_value
      - .offset:         185
        .size:           1
        .value_kind:     by_value
      - .offset:         186
        .size:           1
        .value_kind:     by_value
    .group_segment_fixed_size: 21512
    .kernarg_segment_align: 8
    .kernarg_segment_size: 188
    .language:       OpenCL C
    .language_version:
      - 2
      - 0
    .max_flat_workgroup_size: 256
    .name:           _ZN9rocsparseL38bsrgemm_block_per_row_atomic_multipassILj256ELj256ELj2Eli21rocsparse_complex_numIdEEEv20rocsparse_direction_T3_S4_PKS4_S6_NS_24const_host_device_scalarIT4_EEPKT2_S6_PKS8_SC_S6_SE_S9_SC_S6_SE_SC_PS4_PS8_PSA_21rocsparse_index_base_SI_SI_SI_bbb
    .private_segment_fixed_size: 24
    .sgpr_count:     66
    .sgpr_spill_count: 0
    .symbol:         _ZN9rocsparseL38bsrgemm_block_per_row_atomic_multipassILj256ELj256ELj2Eli21rocsparse_complex_numIdEEEv20rocsparse_direction_T3_S4_PKS4_S6_NS_24const_host_device_scalarIT4_EEPKT2_S6_PKS8_SC_S6_SE_S9_SC_S6_SE_SC_PS4_PS8_PSA_21rocsparse_index_base_SI_SI_SI_bbb.kd
    .uniform_work_group_size: 1
    .uses_dynamic_stack: false
    .vgpr_count:     77
    .vgpr_spill_count: 0
    .wavefront_size: 32
    .workgroup_processor_mode: 1
  - .args:
      - .offset:         0
        .size:           4
        .value_kind:     by_value
      - .offset:         4
        .size:           4
        .value_kind:     by_value
      - .offset:         8
        .size:           4
        .value_kind:     by_value
      - .offset:         12
        .size:           4
        .value_kind:     by_value
      - .actual_access:  read_only
        .address_space:  global
        .offset:         16
        .size:           8
        .value_kind:     global_buffer
      - .actual_access:  read_only
        .address_space:  global
        .offset:         24
        .size:           8
        .value_kind:     global_buffer
      - .offset:         32
        .size:           16
        .value_kind:     by_value
      - .actual_access:  read_only
        .address_space:  global
        .offset:         48
        .size:           8
        .value_kind:     global_buffer
      - .actual_access:  read_only
        .address_space:  global
        .offset:         56
        .size:           8
        .value_kind:     global_buffer
      - .actual_access:  read_only
        .address_space:  global
        .offset:         64
        .size:           8
        .value_kind:     global_buffer
      - .actual_access:  read_only
        .address_space:  global
        .offset:         72
        .size:           8
        .value_kind:     global_buffer
      - .actual_access:  read_only
        .address_space:  global
        .offset:         80
        .size:           8
        .value_kind:     global_buffer
      - .actual_access:  read_only
        .address_space:  global
        .offset:         88
        .size:           8
        .value_kind:     global_buffer
      - .offset:         96
        .size:           16
        .value_kind:     by_value
      - .actual_access:  read_only
        .address_space:  global
        .offset:         112
        .size:           8
        .value_kind:     global_buffer
      - .actual_access:  read_only
        .address_space:  global
        .offset:         120
        .size:           8
        .value_kind:     global_buffer
      - .actual_access:  read_only
        .address_space:  global
        .offset:         128
        .size:           8
        .value_kind:     global_buffer
      - .actual_access:  read_only
        .address_space:  global
        .offset:         136
        .size:           8
        .value_kind:     global_buffer
      - .actual_access:  write_only
        .address_space:  global
        .offset:         144
        .size:           8
        .value_kind:     global_buffer
      - .actual_access:  write_only
        .address_space:  global
        .offset:         152
        .size:           8
        .value_kind:     global_buffer
      - .offset:         160
        .size:           4
        .value_kind:     by_value
      - .offset:         164
        .size:           4
        .value_kind:     by_value
      - .offset:         168
        .size:           4
        .value_kind:     by_value
      - .offset:         172
        .size:           4
        .value_kind:     by_value
      - .offset:         176
        .size:           1
        .value_kind:     by_value
      - .offset:         177
        .size:           1
        .value_kind:     by_value
      - .offset:         178
        .size:           1
        .value_kind:     by_value
    .group_segment_fixed_size: 12416
    .kernarg_segment_align: 8
    .kernarg_segment_size: 180
    .language:       OpenCL C
    .language_version:
      - 2
      - 0
    .max_flat_workgroup_size: 256
    .name:           _ZN9rocsparseL23bsrgemm_fill_wf_per_rowILj256ELj64ELj8ELj137ELj4Eli21rocsparse_complex_numIdEEEv20rocsparse_direction_T5_S4_S4_PKS4_S6_NS_24const_host_device_scalarIT6_EEPKT4_S6_PKS8_SC_S6_SE_S9_SC_S6_SE_SC_PS4_PS8_21rocsparse_index_base_SH_SH_SH_bbb
    .private_segment_fixed_size: 0
    .sgpr_count:     51
    .sgpr_spill_count: 0
    .symbol:         _ZN9rocsparseL23bsrgemm_fill_wf_per_rowILj256ELj64ELj8ELj137ELj4Eli21rocsparse_complex_numIdEEEv20rocsparse_direction_T5_S4_S4_PKS4_S6_NS_24const_host_device_scalarIT6_EEPKT4_S6_PKS8_SC_S6_SE_S9_SC_S6_SE_SC_PS4_PS8_21rocsparse_index_base_SH_SH_SH_bbb.kd
    .uniform_work_group_size: 1
    .uses_dynamic_stack: false
    .vgpr_count:     55
    .vgpr_spill_count: 0
    .wavefront_size: 32
    .workgroup_processor_mode: 1
  - .args:
      - .offset:         0
        .size:           4
        .value_kind:     by_value
      - .offset:         4
        .size:           4
        .value_kind:     by_value
      - .offset:         8
        .size:           4
        .value_kind:     by_value
      - .offset:         12
        .size:           4
        .value_kind:     by_value
      - .actual_access:  read_only
        .address_space:  global
        .offset:         16
        .size:           8
        .value_kind:     global_buffer
      - .actual_access:  read_only
        .address_space:  global
        .offset:         24
        .size:           8
        .value_kind:     global_buffer
      - .offset:         32
        .size:           16
        .value_kind:     by_value
      - .actual_access:  read_only
        .address_space:  global
        .offset:         48
        .size:           8
        .value_kind:     global_buffer
      - .actual_access:  read_only
        .address_space:  global
        .offset:         56
        .size:           8
        .value_kind:     global_buffer
      - .actual_access:  read_only
        .address_space:  global
        .offset:         64
        .size:           8
        .value_kind:     global_buffer
      - .actual_access:  read_only
        .address_space:  global
        .offset:         72
        .size:           8
        .value_kind:     global_buffer
      - .actual_access:  read_only
        .address_space:  global
        .offset:         80
        .size:           8
        .value_kind:     global_buffer
      - .actual_access:  read_only
        .address_space:  global
        .offset:         88
        .size:           8
        .value_kind:     global_buffer
      - .offset:         96
        .size:           16
        .value_kind:     by_value
      - .actual_access:  read_only
        .address_space:  global
        .offset:         112
        .size:           8
        .value_kind:     global_buffer
      - .actual_access:  read_only
        .address_space:  global
        .offset:         120
        .size:           8
        .value_kind:     global_buffer
      - .actual_access:  read_only
        .address_space:  global
        .offset:         128
        .size:           8
        .value_kind:     global_buffer
      - .actual_access:  read_only
        .address_space:  global
        .offset:         136
        .size:           8
        .value_kind:     global_buffer
      - .actual_access:  write_only
        .address_space:  global
        .offset:         144
        .size:           8
        .value_kind:     global_buffer
      - .actual_access:  write_only
        .address_space:  global
        .offset:         152
        .size:           8
        .value_kind:     global_buffer
      - .offset:         160
        .size:           4
        .value_kind:     by_value
      - .offset:         164
        .size:           4
        .value_kind:     by_value
      - .offset:         168
        .size:           4
        .value_kind:     by_value
      - .offset:         172
        .size:           4
        .value_kind:     by_value
      - .offset:         176
        .size:           1
        .value_kind:     by_value
      - .offset:         177
        .size:           1
        .value_kind:     by_value
      - .offset:         178
        .size:           1
        .value_kind:     by_value
    .group_segment_fixed_size: 18688
    .kernarg_segment_align: 8
    .kernarg_segment_size: 180
    .language:       OpenCL C
    .language_version:
      - 2
      - 0
    .max_flat_workgroup_size: 256
    .name:           _ZN9rocsparseL23bsrgemm_fill_wf_per_rowILj256ELj64ELj16ELj137ELj4Eli21rocsparse_complex_numIdEEEv20rocsparse_direction_T5_S4_S4_PKS4_S6_NS_24const_host_device_scalarIT6_EEPKT4_S6_PKS8_SC_S6_SE_S9_SC_S6_SE_SC_PS4_PS8_21rocsparse_index_base_SH_SH_SH_bbb
    .private_segment_fixed_size: 16
    .sgpr_count:     51
    .sgpr_spill_count: 0
    .symbol:         _ZN9rocsparseL23bsrgemm_fill_wf_per_rowILj256ELj64ELj16ELj137ELj4Eli21rocsparse_complex_numIdEEEv20rocsparse_direction_T5_S4_S4_PKS4_S6_NS_24const_host_device_scalarIT6_EEPKT4_S6_PKS8_SC_S6_SE_S9_SC_S6_SE_SC_PS4_PS8_21rocsparse_index_base_SH_SH_SH_bbb.kd
    .uniform_work_group_size: 1
    .uses_dynamic_stack: false
    .vgpr_count:     55
    .vgpr_spill_count: 0
    .wavefront_size: 32
    .workgroup_processor_mode: 1
  - .args:
      - .offset:         0
        .size:           4
        .value_kind:     by_value
      - .offset:         4
        .size:           4
        .value_kind:     by_value
      - .offset:         8
        .size:           4
        .value_kind:     by_value
      - .actual_access:  read_only
        .address_space:  global
        .offset:         16
        .size:           8
        .value_kind:     global_buffer
      - .actual_access:  read_only
        .address_space:  global
        .offset:         24
        .size:           8
        .value_kind:     global_buffer
      - .offset:         32
        .size:           16
        .value_kind:     by_value
      - .actual_access:  read_only
        .address_space:  global
        .offset:         48
        .size:           8
        .value_kind:     global_buffer
      - .actual_access:  read_only
        .address_space:  global
        .offset:         56
        .size:           8
        .value_kind:     global_buffer
      - .actual_access:  read_only
        .address_space:  global
        .offset:         64
        .size:           8
        .value_kind:     global_buffer
      - .actual_access:  read_only
        .address_space:  global
        .offset:         72
        .size:           8
        .value_kind:     global_buffer
      - .actual_access:  read_only
        .address_space:  global
        .offset:         80
        .size:           8
        .value_kind:     global_buffer
      - .actual_access:  read_only
        .address_space:  global
        .offset:         88
        .size:           8
        .value_kind:     global_buffer
      - .offset:         96
        .size:           16
        .value_kind:     by_value
      - .actual_access:  read_only
        .address_space:  global
        .offset:         112
        .size:           8
        .value_kind:     global_buffer
      - .actual_access:  read_only
        .address_space:  global
        .offset:         120
        .size:           8
        .value_kind:     global_buffer
      - .actual_access:  read_only
        .address_space:  global
        .offset:         128
        .size:           8
        .value_kind:     global_buffer
      - .actual_access:  read_only
        .address_space:  global
        .offset:         136
        .size:           8
        .value_kind:     global_buffer
      - .actual_access:  write_only
        .address_space:  global
        .offset:         144
        .size:           8
        .value_kind:     global_buffer
      - .actual_access:  write_only
        .address_space:  global
        .offset:         152
        .size:           8
        .value_kind:     global_buffer
      - .address_space:  global
        .offset:         160
        .size:           8
        .value_kind:     global_buffer
      - .offset:         168
        .size:           4
        .value_kind:     by_value
      - .offset:         172
        .size:           4
        .value_kind:     by_value
      - .offset:         176
        .size:           4
        .value_kind:     by_value
      - .offset:         180
        .size:           4
        .value_kind:     by_value
      - .offset:         184
        .size:           1
        .value_kind:     by_value
      - .offset:         185
        .size:           1
        .value_kind:     by_value
      - .offset:         186
        .size:           1
        .value_kind:     by_value
    .group_segment_fixed_size: 14472
    .kernarg_segment_align: 8
    .kernarg_segment_size: 188
    .language:       OpenCL C
    .language_version:
      - 2
      - 0
    .max_flat_workgroup_size: 256
    .name:           _ZN9rocsparseL38bsrgemm_block_per_row_atomic_multipassILj256ELj32ELj4Eli21rocsparse_complex_numIdEEEv20rocsparse_direction_T3_S4_PKS4_S6_NS_24const_host_device_scalarIT4_EEPKT2_S6_PKS8_SC_S6_SE_S9_SC_S6_SE_SC_PS4_PS8_PSA_21rocsparse_index_base_SI_SI_SI_bbb
    .private_segment_fixed_size: 16
    .sgpr_count:     66
    .sgpr_spill_count: 0
    .symbol:         _ZN9rocsparseL38bsrgemm_block_per_row_atomic_multipassILj256ELj32ELj4Eli21rocsparse_complex_numIdEEEv20rocsparse_direction_T3_S4_PKS4_S6_NS_24const_host_device_scalarIT4_EEPKT2_S6_PKS8_SC_S6_SE_S9_SC_S6_SE_SC_PS4_PS8_PSA_21rocsparse_index_base_SI_SI_SI_bbb.kd
    .uniform_work_group_size: 1
    .uses_dynamic_stack: false
    .vgpr_count:     74
    .vgpr_spill_count: 0
    .wavefront_size: 32
    .workgroup_processor_mode: 1
  - .args:
      - .offset:         0
        .size:           4
        .value_kind:     by_value
      - .offset:         4
        .size:           4
        .value_kind:     by_value
      - .offset:         8
        .size:           4
        .value_kind:     by_value
      - .actual_access:  read_only
        .address_space:  global
        .offset:         16
        .size:           8
        .value_kind:     global_buffer
      - .actual_access:  read_only
        .address_space:  global
        .offset:         24
        .size:           8
        .value_kind:     global_buffer
      - .offset:         32
        .size:           16
        .value_kind:     by_value
      - .actual_access:  read_only
        .address_space:  global
        .offset:         48
        .size:           8
        .value_kind:     global_buffer
      - .actual_access:  read_only
        .address_space:  global
        .offset:         56
        .size:           8
        .value_kind:     global_buffer
      - .actual_access:  read_only
        .address_space:  global
        .offset:         64
        .size:           8
        .value_kind:     global_buffer
      - .actual_access:  read_only
        .address_space:  global
        .offset:         72
        .size:           8
        .value_kind:     global_buffer
      - .actual_access:  read_only
        .address_space:  global
        .offset:         80
        .size:           8
        .value_kind:     global_buffer
      - .actual_access:  read_only
        .address_space:  global
        .offset:         88
        .size:           8
        .value_kind:     global_buffer
      - .offset:         96
        .size:           16
        .value_kind:     by_value
      - .actual_access:  read_only
        .address_space:  global
        .offset:         112
        .size:           8
        .value_kind:     global_buffer
      - .actual_access:  read_only
        .address_space:  global
        .offset:         120
        .size:           8
        .value_kind:     global_buffer
      - .actual_access:  read_only
        .address_space:  global
        .offset:         128
        .size:           8
        .value_kind:     global_buffer
      - .actual_access:  read_only
        .address_space:  global
        .offset:         136
        .size:           8
        .value_kind:     global_buffer
      - .actual_access:  write_only
        .address_space:  global
        .offset:         144
        .size:           8
        .value_kind:     global_buffer
      - .actual_access:  write_only
        .address_space:  global
        .offset:         152
        .size:           8
        .value_kind:     global_buffer
      - .address_space:  global
        .offset:         160
        .size:           8
        .value_kind:     global_buffer
      - .offset:         168
        .size:           4
        .value_kind:     by_value
      - .offset:         172
        .size:           4
        .value_kind:     by_value
      - .offset:         176
        .size:           4
        .value_kind:     by_value
      - .offset:         180
        .size:           4
        .value_kind:     by_value
      - .offset:         184
        .size:           1
        .value_kind:     by_value
      - .offset:         185
        .size:           1
        .value_kind:     by_value
      - .offset:         186
        .size:           1
        .value_kind:     by_value
    .group_segment_fixed_size: 20744
    .kernarg_segment_align: 8
    .kernarg_segment_size: 188
    .language:       OpenCL C
    .language_version:
      - 2
      - 0
    .max_flat_workgroup_size: 256
    .name:           _ZN9rocsparseL38bsrgemm_block_per_row_atomic_multipassILj256ELj64ELj4Eli21rocsparse_complex_numIdEEEv20rocsparse_direction_T3_S4_PKS4_S6_NS_24const_host_device_scalarIT4_EEPKT2_S6_PKS8_SC_S6_SE_S9_SC_S6_SE_SC_PS4_PS8_PSA_21rocsparse_index_base_SI_SI_SI_bbb
    .private_segment_fixed_size: 24
    .sgpr_count:     66
    .sgpr_spill_count: 0
    .symbol:         _ZN9rocsparseL38bsrgemm_block_per_row_atomic_multipassILj256ELj64ELj4Eli21rocsparse_complex_numIdEEEv20rocsparse_direction_T3_S4_PKS4_S6_NS_24const_host_device_scalarIT4_EEPKT2_S6_PKS8_SC_S6_SE_S9_SC_S6_SE_SC_PS4_PS8_PSA_21rocsparse_index_base_SI_SI_SI_bbb.kd
    .uniform_work_group_size: 1
    .uses_dynamic_stack: false
    .vgpr_count:     75
    .vgpr_spill_count: 0
    .wavefront_size: 32
    .workgroup_processor_mode: 1
  - .args:
      - .offset:         0
        .size:           4
        .value_kind:     by_value
      - .offset:         4
        .size:           4
        .value_kind:     by_value
      - .offset:         8
        .size:           4
        .value_kind:     by_value
      - .actual_access:  read_only
        .address_space:  global
        .offset:         16
        .size:           8
        .value_kind:     global_buffer
      - .actual_access:  read_only
        .address_space:  global
        .offset:         24
        .size:           8
        .value_kind:     global_buffer
      - .offset:         32
        .size:           16
        .value_kind:     by_value
      - .actual_access:  read_only
        .address_space:  global
        .offset:         48
        .size:           8
        .value_kind:     global_buffer
      - .actual_access:  read_only
        .address_space:  global
        .offset:         56
        .size:           8
        .value_kind:     global_buffer
      - .actual_access:  read_only
        .address_space:  global
        .offset:         64
        .size:           8
        .value_kind:     global_buffer
      - .actual_access:  read_only
        .address_space:  global
        .offset:         72
        .size:           8
        .value_kind:     global_buffer
      - .actual_access:  read_only
        .address_space:  global
        .offset:         80
        .size:           8
        .value_kind:     global_buffer
      - .actual_access:  read_only
        .address_space:  global
        .offset:         88
        .size:           8
        .value_kind:     global_buffer
      - .offset:         96
        .size:           16
        .value_kind:     by_value
      - .actual_access:  read_only
        .address_space:  global
        .offset:         112
        .size:           8
        .value_kind:     global_buffer
      - .actual_access:  read_only
        .address_space:  global
        .offset:         120
        .size:           8
        .value_kind:     global_buffer
      - .actual_access:  read_only
        .address_space:  global
        .offset:         128
        .size:           8
        .value_kind:     global_buffer
      - .actual_access:  read_only
        .address_space:  global
        .offset:         136
        .size:           8
        .value_kind:     global_buffer
      - .actual_access:  write_only
        .address_space:  global
        .offset:         144
        .size:           8
        .value_kind:     global_buffer
      - .actual_access:  write_only
        .address_space:  global
        .offset:         152
        .size:           8
        .value_kind:     global_buffer
      - .address_space:  global
        .offset:         160
        .size:           8
        .value_kind:     global_buffer
      - .offset:         168
        .size:           4
        .value_kind:     by_value
      - .offset:         172
        .size:           4
        .value_kind:     by_value
      - .offset:         176
        .size:           4
        .value_kind:     by_value
      - .offset:         180
        .size:           4
        .value_kind:     by_value
      - .offset:         184
        .size:           1
        .value_kind:     by_value
      - .offset:         185
        .size:           1
        .value_kind:     by_value
      - .offset:         186
        .size:           1
        .value_kind:     by_value
    .group_segment_fixed_size: 41480
    .kernarg_segment_align: 8
    .kernarg_segment_size: 188
    .language:       OpenCL C
    .language_version:
      - 2
      - 0
    .max_flat_workgroup_size: 256
    .name:           _ZN9rocsparseL38bsrgemm_block_per_row_atomic_multipassILj256ELj128ELj4Eli21rocsparse_complex_numIdEEEv20rocsparse_direction_T3_S4_PKS4_S6_NS_24const_host_device_scalarIT4_EEPKT2_S6_PKS8_SC_S6_SE_S9_SC_S6_SE_SC_PS4_PS8_PSA_21rocsparse_index_base_SI_SI_SI_bbb
    .private_segment_fixed_size: 0
    .sgpr_count:     66
    .sgpr_spill_count: 0
    .symbol:         _ZN9rocsparseL38bsrgemm_block_per_row_atomic_multipassILj256ELj128ELj4Eli21rocsparse_complex_numIdEEEv20rocsparse_direction_T3_S4_PKS4_S6_NS_24const_host_device_scalarIT4_EEPKT2_S6_PKS8_SC_S6_SE_S9_SC_S6_SE_SC_PS4_PS8_PSA_21rocsparse_index_base_SI_SI_SI_bbb.kd
    .uniform_work_group_size: 1
    .uses_dynamic_stack: false
    .vgpr_count:     78
    .vgpr_spill_count: 0
    .wavefront_size: 32
    .workgroup_processor_mode: 1
  - .args:
      - .offset:         0
        .size:           4
        .value_kind:     by_value
      - .offset:         4
        .size:           4
        .value_kind:     by_value
      - .offset:         8
        .size:           4
        .value_kind:     by_value
      - .offset:         12
        .size:           4
        .value_kind:     by_value
      - .actual_access:  read_only
        .address_space:  global
        .offset:         16
        .size:           8
        .value_kind:     global_buffer
      - .actual_access:  read_only
        .address_space:  global
        .offset:         24
        .size:           8
        .value_kind:     global_buffer
      - .offset:         32
        .size:           16
        .value_kind:     by_value
      - .actual_access:  read_only
        .address_space:  global
        .offset:         48
        .size:           8
        .value_kind:     global_buffer
      - .actual_access:  read_only
        .address_space:  global
        .offset:         56
        .size:           8
        .value_kind:     global_buffer
      - .actual_access:  read_only
        .address_space:  global
        .offset:         64
        .size:           8
        .value_kind:     global_buffer
      - .actual_access:  read_only
        .address_space:  global
        .offset:         72
        .size:           8
        .value_kind:     global_buffer
      - .actual_access:  read_only
        .address_space:  global
        .offset:         80
        .size:           8
        .value_kind:     global_buffer
      - .actual_access:  read_only
        .address_space:  global
        .offset:         88
        .size:           8
        .value_kind:     global_buffer
      - .offset:         96
        .size:           16
        .value_kind:     by_value
      - .actual_access:  read_only
        .address_space:  global
        .offset:         112
        .size:           8
        .value_kind:     global_buffer
      - .actual_access:  read_only
        .address_space:  global
        .offset:         120
        .size:           8
        .value_kind:     global_buffer
      - .actual_access:  read_only
        .address_space:  global
        .offset:         128
        .size:           8
        .value_kind:     global_buffer
      - .actual_access:  read_only
        .address_space:  global
        .offset:         136
        .size:           8
        .value_kind:     global_buffer
      - .actual_access:  write_only
        .address_space:  global
        .offset:         144
        .size:           8
        .value_kind:     global_buffer
      - .actual_access:  write_only
        .address_space:  global
        .offset:         152
        .size:           8
        .value_kind:     global_buffer
      - .offset:         160
        .size:           4
        .value_kind:     by_value
      - .offset:         164
        .size:           4
        .value_kind:     by_value
      - .offset:         168
        .size:           4
        .value_kind:     by_value
      - .offset:         172
        .size:           4
        .value_kind:     by_value
      - .offset:         176
        .size:           1
        .value_kind:     by_value
      - .offset:         177
        .size:           1
        .value_kind:     by_value
      - .offset:         178
        .size:           1
        .value_kind:     by_value
    .group_segment_fixed_size: 36992
    .kernarg_segment_align: 8
    .kernarg_segment_size: 180
    .language:       OpenCL C
    .language_version:
      - 2
      - 0
    .max_flat_workgroup_size: 256
    .name:           _ZN9rocsparseL23bsrgemm_fill_wf_per_rowILj256ELj64ELj8ELj137ELj8Eli21rocsparse_complex_numIdEEEv20rocsparse_direction_T5_S4_S4_PKS4_S6_NS_24const_host_device_scalarIT6_EEPKT4_S6_PKS8_SC_S6_SE_S9_SC_S6_SE_SC_PS4_PS8_21rocsparse_index_base_SH_SH_SH_bbb
    .private_segment_fixed_size: 0
    .sgpr_count:     50
    .sgpr_spill_count: 0
    .symbol:         _ZN9rocsparseL23bsrgemm_fill_wf_per_rowILj256ELj64ELj8ELj137ELj8Eli21rocsparse_complex_numIdEEEv20rocsparse_direction_T5_S4_S4_PKS4_S6_NS_24const_host_device_scalarIT6_EEPKT4_S6_PKS8_SC_S6_SE_S9_SC_S6_SE_SC_PS4_PS8_21rocsparse_index_base_SH_SH_SH_bbb.kd
    .uniform_work_group_size: 1
    .uses_dynamic_stack: false
    .vgpr_count:     56
    .vgpr_spill_count: 0
    .wavefront_size: 32
    .workgroup_processor_mode: 1
  - .args:
      - .offset:         0
        .size:           4
        .value_kind:     by_value
      - .offset:         4
        .size:           4
        .value_kind:     by_value
      - .offset:         8
        .size:           4
        .value_kind:     by_value
      - .actual_access:  read_only
        .address_space:  global
        .offset:         16
        .size:           8
        .value_kind:     global_buffer
      - .actual_access:  read_only
        .address_space:  global
        .offset:         24
        .size:           8
        .value_kind:     global_buffer
      - .offset:         32
        .size:           16
        .value_kind:     by_value
      - .actual_access:  read_only
        .address_space:  global
        .offset:         48
        .size:           8
        .value_kind:     global_buffer
      - .actual_access:  read_only
        .address_space:  global
        .offset:         56
        .size:           8
        .value_kind:     global_buffer
      - .actual_access:  read_only
        .address_space:  global
        .offset:         64
        .size:           8
        .value_kind:     global_buffer
      - .actual_access:  read_only
        .address_space:  global
        .offset:         72
        .size:           8
        .value_kind:     global_buffer
      - .actual_access:  read_only
        .address_space:  global
        .offset:         80
        .size:           8
        .value_kind:     global_buffer
      - .actual_access:  read_only
        .address_space:  global
        .offset:         88
        .size:           8
        .value_kind:     global_buffer
      - .offset:         96
        .size:           16
        .value_kind:     by_value
      - .actual_access:  read_only
        .address_space:  global
        .offset:         112
        .size:           8
        .value_kind:     global_buffer
      - .actual_access:  read_only
        .address_space:  global
        .offset:         120
        .size:           8
        .value_kind:     global_buffer
      - .actual_access:  read_only
        .address_space:  global
        .offset:         128
        .size:           8
        .value_kind:     global_buffer
      - .actual_access:  read_only
        .address_space:  global
        .offset:         136
        .size:           8
        .value_kind:     global_buffer
      - .actual_access:  write_only
        .address_space:  global
        .offset:         144
        .size:           8
        .value_kind:     global_buffer
      - .actual_access:  write_only
        .address_space:  global
        .offset:         152
        .size:           8
        .value_kind:     global_buffer
      - .address_space:  global
        .offset:         160
        .size:           8
        .value_kind:     global_buffer
      - .offset:         168
        .size:           4
        .value_kind:     by_value
      - .offset:         172
        .size:           4
        .value_kind:     by_value
      - .offset:         176
        .size:           4
        .value_kind:     by_value
      - .offset:         180
        .size:           4
        .value_kind:     by_value
      - .offset:         184
        .size:           1
        .value_kind:     by_value
      - .offset:         185
        .size:           1
        .value_kind:     by_value
      - .offset:         186
        .size:           1
        .value_kind:     by_value
    .group_segment_fixed_size: 20552
    .kernarg_segment_align: 8
    .kernarg_segment_size: 188
    .language:       OpenCL C
    .language_version:
      - 2
      - 0
    .max_flat_workgroup_size: 256
    .name:           _ZN9rocsparseL38bsrgemm_block_per_row_atomic_multipassILj256ELj16ELj8Eli21rocsparse_complex_numIdEEEv20rocsparse_direction_T3_S4_PKS4_S6_NS_24const_host_device_scalarIT4_EEPKT2_S6_PKS8_SC_S6_SE_S9_SC_S6_SE_SC_PS4_PS8_PSA_21rocsparse_index_base_SI_SI_SI_bbb
    .private_segment_fixed_size: 24
    .sgpr_count:     62
    .sgpr_spill_count: 0
    .symbol:         _ZN9rocsparseL38bsrgemm_block_per_row_atomic_multipassILj256ELj16ELj8Eli21rocsparse_complex_numIdEEEv20rocsparse_direction_T3_S4_PKS4_S6_NS_24const_host_device_scalarIT4_EEPKT2_S6_PKS8_SC_S6_SE_S9_SC_S6_SE_SC_PS4_PS8_PSA_21rocsparse_index_base_SI_SI_SI_bbb.kd
    .uniform_work_group_size: 1
    .uses_dynamic_stack: false
    .vgpr_count:     73
    .vgpr_spill_count: 0
    .wavefront_size: 32
    .workgroup_processor_mode: 1
  - .args:
      - .offset:         0
        .size:           4
        .value_kind:     by_value
      - .offset:         4
        .size:           4
        .value_kind:     by_value
      - .offset:         8
        .size:           4
        .value_kind:     by_value
      - .actual_access:  read_only
        .address_space:  global
        .offset:         16
        .size:           8
        .value_kind:     global_buffer
      - .actual_access:  read_only
        .address_space:  global
        .offset:         24
        .size:           8
        .value_kind:     global_buffer
      - .offset:         32
        .size:           16
        .value_kind:     by_value
      - .actual_access:  read_only
        .address_space:  global
        .offset:         48
        .size:           8
        .value_kind:     global_buffer
      - .actual_access:  read_only
        .address_space:  global
        .offset:         56
        .size:           8
        .value_kind:     global_buffer
      - .actual_access:  read_only
        .address_space:  global
        .offset:         64
        .size:           8
        .value_kind:     global_buffer
      - .actual_access:  read_only
        .address_space:  global
        .offset:         72
        .size:           8
        .value_kind:     global_buffer
      - .actual_access:  read_only
        .address_space:  global
        .offset:         80
        .size:           8
        .value_kind:     global_buffer
      - .actual_access:  read_only
        .address_space:  global
        .offset:         88
        .size:           8
        .value_kind:     global_buffer
      - .offset:         96
        .size:           16
        .value_kind:     by_value
      - .actual_access:  read_only
        .address_space:  global
        .offset:         112
        .size:           8
        .value_kind:     global_buffer
      - .actual_access:  read_only
        .address_space:  global
        .offset:         120
        .size:           8
        .value_kind:     global_buffer
      - .actual_access:  read_only
        .address_space:  global
        .offset:         128
        .size:           8
        .value_kind:     global_buffer
      - .actual_access:  read_only
        .address_space:  global
        .offset:         136
        .size:           8
        .value_kind:     global_buffer
      - .actual_access:  write_only
        .address_space:  global
        .offset:         144
        .size:           8
        .value_kind:     global_buffer
      - .actual_access:  write_only
        .address_space:  global
        .offset:         152
        .size:           8
        .value_kind:     global_buffer
      - .address_space:  global
        .offset:         160
        .size:           8
        .value_kind:     global_buffer
      - .offset:         168
        .size:           4
        .value_kind:     by_value
      - .offset:         172
        .size:           4
        .value_kind:     by_value
      - .offset:         176
        .size:           4
        .value_kind:     by_value
      - .offset:         180
        .size:           4
        .value_kind:     by_value
      - .offset:         184
        .size:           1
        .value_kind:     by_value
      - .offset:         185
        .size:           1
        .value_kind:     by_value
      - .offset:         186
        .size:           1
        .value_kind:     by_value
    .group_segment_fixed_size: 41096
    .kernarg_segment_align: 8
    .kernarg_segment_size: 188
    .language:       OpenCL C
    .language_version:
      - 2
      - 0
    .max_flat_workgroup_size: 256
    .name:           _ZN9rocsparseL38bsrgemm_block_per_row_atomic_multipassILj256ELj32ELj8Eli21rocsparse_complex_numIdEEEv20rocsparse_direction_T3_S4_PKS4_S6_NS_24const_host_device_scalarIT4_EEPKT2_S6_PKS8_SC_S6_SE_S9_SC_S6_SE_SC_PS4_PS8_PSA_21rocsparse_index_base_SI_SI_SI_bbb
    .private_segment_fixed_size: 0
    .sgpr_count:     66
    .sgpr_spill_count: 0
    .symbol:         _ZN9rocsparseL38bsrgemm_block_per_row_atomic_multipassILj256ELj32ELj8Eli21rocsparse_complex_numIdEEEv20rocsparse_direction_T3_S4_PKS4_S6_NS_24const_host_device_scalarIT4_EEPKT2_S6_PKS8_SC_S6_SE_S9_SC_S6_SE_SC_PS4_PS8_PSA_21rocsparse_index_base_SI_SI_SI_bbb.kd
    .uniform_work_group_size: 1
    .uses_dynamic_stack: false
    .vgpr_count:     76
    .vgpr_spill_count: 0
    .wavefront_size: 32
    .workgroup_processor_mode: 1
  - .args:
      - .offset:         0
        .size:           4
        .value_kind:     by_value
      - .offset:         4
        .size:           4
        .value_kind:     by_value
      - .offset:         8
        .size:           4
        .value_kind:     by_value
      - .actual_access:  read_only
        .address_space:  global
        .offset:         16
        .size:           8
        .value_kind:     global_buffer
      - .actual_access:  read_only
        .address_space:  global
        .offset:         24
        .size:           8
        .value_kind:     global_buffer
      - .offset:         32
        .size:           16
        .value_kind:     by_value
      - .actual_access:  read_only
        .address_space:  global
        .offset:         48
        .size:           8
        .value_kind:     global_buffer
      - .actual_access:  read_only
        .address_space:  global
        .offset:         56
        .size:           8
        .value_kind:     global_buffer
      - .actual_access:  read_only
        .address_space:  global
        .offset:         64
        .size:           8
        .value_kind:     global_buffer
      - .actual_access:  read_only
        .address_space:  global
        .offset:         72
        .size:           8
        .value_kind:     global_buffer
      - .actual_access:  read_only
        .address_space:  global
        .offset:         80
        .size:           8
        .value_kind:     global_buffer
      - .actual_access:  read_only
        .address_space:  global
        .offset:         88
        .size:           8
        .value_kind:     global_buffer
      - .offset:         96
        .size:           16
        .value_kind:     by_value
      - .actual_access:  read_only
        .address_space:  global
        .offset:         112
        .size:           8
        .value_kind:     global_buffer
      - .actual_access:  read_only
        .address_space:  global
        .offset:         120
        .size:           8
        .value_kind:     global_buffer
      - .actual_access:  read_only
        .address_space:  global
        .offset:         128
        .size:           8
        .value_kind:     global_buffer
      - .actual_access:  read_only
        .address_space:  global
        .offset:         136
        .size:           8
        .value_kind:     global_buffer
      - .actual_access:  write_only
        .address_space:  global
        .offset:         144
        .size:           8
        .value_kind:     global_buffer
      - .actual_access:  write_only
        .address_space:  global
        .offset:         152
        .size:           8
        .value_kind:     global_buffer
      - .address_space:  global
        .offset:         160
        .size:           8
        .value_kind:     global_buffer
      - .offset:         168
        .size:           4
        .value_kind:     by_value
      - .offset:         172
        .size:           4
        .value_kind:     by_value
      - .offset:         176
        .size:           4
        .value_kind:     by_value
      - .offset:         180
        .size:           4
        .value_kind:     by_value
      - .offset:         184
        .size:           1
        .value_kind:     by_value
      - .offset:         185
        .size:           1
        .value_kind:     by_value
      - .offset:         186
        .size:           1
        .value_kind:     by_value
    .group_segment_fixed_size: 36872
    .kernarg_segment_align: 8
    .kernarg_segment_size: 188
    .language:       OpenCL C
    .language_version:
      - 2
      - 0
    .max_flat_workgroup_size: 256
    .name:           _ZN9rocsparseL31bsrgemm_block_per_row_multipassILj256ELj8ELj16Eli21rocsparse_complex_numIdEEEv20rocsparse_direction_T3_S4_PKS4_S6_NS_24const_host_device_scalarIT4_EEPKT2_S6_PKS8_SC_S6_SE_S9_SC_S6_SE_SC_PS4_PS8_PSA_21rocsparse_index_base_SI_SI_SI_bbb
    .private_segment_fixed_size: 0
    .sgpr_count:     66
    .sgpr_spill_count: 0
    .symbol:         _ZN9rocsparseL31bsrgemm_block_per_row_multipassILj256ELj8ELj16Eli21rocsparse_complex_numIdEEEv20rocsparse_direction_T3_S4_PKS4_S6_NS_24const_host_device_scalarIT4_EEPKT2_S6_PKS8_SC_S6_SE_S9_SC_S6_SE_SC_PS4_PS8_PSA_21rocsparse_index_base_SI_SI_SI_bbb.kd
    .uniform_work_group_size: 1
    .uses_dynamic_stack: false
    .vgpr_count:     68
    .vgpr_spill_count: 0
    .wavefront_size: 32
    .workgroup_processor_mode: 1
  - .args:
      - .offset:         0
        .size:           4
        .value_kind:     by_value
      - .offset:         4
        .size:           4
        .value_kind:     by_value
      - .offset:         8
        .size:           4
        .value_kind:     by_value
      - .actual_access:  read_only
        .address_space:  global
        .offset:         16
        .size:           8
        .value_kind:     global_buffer
      - .actual_access:  read_only
        .address_space:  global
        .offset:         24
        .size:           8
        .value_kind:     global_buffer
      - .offset:         32
        .size:           16
        .value_kind:     by_value
      - .actual_access:  read_only
        .address_space:  global
        .offset:         48
        .size:           8
        .value_kind:     global_buffer
      - .actual_access:  read_only
        .address_space:  global
        .offset:         56
        .size:           8
        .value_kind:     global_buffer
      - .actual_access:  read_only
        .address_space:  global
        .offset:         64
        .size:           8
        .value_kind:     global_buffer
      - .actual_access:  read_only
        .address_space:  global
        .offset:         72
        .size:           8
        .value_kind:     global_buffer
      - .actual_access:  read_only
        .address_space:  global
        .offset:         80
        .size:           8
        .value_kind:     global_buffer
      - .actual_access:  read_only
        .address_space:  global
        .offset:         88
        .size:           8
        .value_kind:     global_buffer
      - .offset:         96
        .size:           16
        .value_kind:     by_value
      - .actual_access:  read_only
        .address_space:  global
        .offset:         112
        .size:           8
        .value_kind:     global_buffer
      - .actual_access:  read_only
        .address_space:  global
        .offset:         120
        .size:           8
        .value_kind:     global_buffer
      - .actual_access:  read_only
        .address_space:  global
        .offset:         128
        .size:           8
        .value_kind:     global_buffer
      - .actual_access:  read_only
        .address_space:  global
        .offset:         136
        .size:           8
        .value_kind:     global_buffer
      - .actual_access:  write_only
        .address_space:  global
        .offset:         144
        .size:           8
        .value_kind:     global_buffer
      - .actual_access:  write_only
        .address_space:  global
        .offset:         152
        .size:           8
        .value_kind:     global_buffer
      - .address_space:  global
        .offset:         160
        .size:           8
        .value_kind:     global_buffer
      - .offset:         168
        .size:           4
        .value_kind:     by_value
      - .offset:         172
        .size:           4
        .value_kind:     by_value
      - .offset:         176
        .size:           4
        .value_kind:     by_value
      - .offset:         180
        .size:           4
        .value_kind:     by_value
      - .offset:         184
        .size:           1
        .value_kind:     by_value
      - .offset:         185
        .size:           1
        .value_kind:     by_value
      - .offset:         186
        .size:           1
        .value_kind:     by_value
    .group_segment_fixed_size: 36872
    .kernarg_segment_align: 8
    .kernarg_segment_size: 188
    .language:       OpenCL C
    .language_version:
      - 2
      - 0
    .max_flat_workgroup_size: 256
    .name:           _ZN9rocsparseL31bsrgemm_block_per_row_multipassILj256ELj2ELj32Eli21rocsparse_complex_numIdEEEv20rocsparse_direction_T3_S4_PKS4_S6_NS_24const_host_device_scalarIT4_EEPKT2_S6_PKS8_SC_S6_SE_S9_SC_S6_SE_SC_PS4_PS8_PSA_21rocsparse_index_base_SI_SI_SI_bbb
    .private_segment_fixed_size: 0
    .sgpr_count:     72
    .sgpr_spill_count: 0
    .symbol:         _ZN9rocsparseL31bsrgemm_block_per_row_multipassILj256ELj2ELj32Eli21rocsparse_complex_numIdEEEv20rocsparse_direction_T3_S4_PKS4_S6_NS_24const_host_device_scalarIT4_EEPKT2_S6_PKS8_SC_S6_SE_S9_SC_S6_SE_SC_PS4_PS8_PSA_21rocsparse_index_base_SI_SI_SI_bbb.kd
    .uniform_work_group_size: 1
    .uses_dynamic_stack: false
    .vgpr_count:     108
    .vgpr_spill_count: 0
    .wavefront_size: 32
    .workgroup_processor_mode: 1
amdhsa.target:   amdgcn-amd-amdhsa--gfx1100
amdhsa.version:
  - 1
  - 2
...

	.end_amdgpu_metadata
